;; amdgpu-corpus repo=vllm-project/vllm kind=compiled arch=gfx942 opt=O3
	.text
	.amdgcn_target "amdgcn-amd-amdhsa--gfx942"
	.amdhsa_code_object_version 6
	.section	.text._ZN4vllm38concat_and_cache_mla_rope_fused_kernelIffLb1EffLNS_18Fp8KVCacheDataTypeE0EEEvPKlPT_S5_PKS4_PKT0_illlliPT3_S3_iiiiPKf,"axG",@progbits,_ZN4vllm38concat_and_cache_mla_rope_fused_kernelIffLb1EffLNS_18Fp8KVCacheDataTypeE0EEEvPKlPT_S5_PKS4_PKT0_illlliPT3_S3_iiiiPKf,comdat
	.protected	_ZN4vllm38concat_and_cache_mla_rope_fused_kernelIffLb1EffLNS_18Fp8KVCacheDataTypeE0EEEvPKlPT_S5_PKS4_PKT0_illlliPT3_S3_iiiiPKf ; -- Begin function _ZN4vllm38concat_and_cache_mla_rope_fused_kernelIffLb1EffLNS_18Fp8KVCacheDataTypeE0EEEvPKlPT_S5_PKS4_PKT0_illlliPT3_S3_iiiiPKf
	.globl	_ZN4vllm38concat_and_cache_mla_rope_fused_kernelIffLb1EffLNS_18Fp8KVCacheDataTypeE0EEEvPKlPT_S5_PKS4_PKT0_illlliPT3_S3_iiiiPKf
	.p2align	8
	.type	_ZN4vllm38concat_and_cache_mla_rope_fused_kernelIffLb1EffLNS_18Fp8KVCacheDataTypeE0EEEvPKlPT_S5_PKS4_PKT0_illlliPT3_S3_iiiiPKf,@function
_ZN4vllm38concat_and_cache_mla_rope_fused_kernelIffLb1EffLNS_18Fp8KVCacheDataTypeE0EEEvPKlPT_S5_PKS4_PKT0_illlliPT3_S3_iiiiPKf: ; @_ZN4vllm38concat_and_cache_mla_rope_fused_kernelIffLb1EffLNS_18Fp8KVCacheDataTypeE0EEEvPKlPT_S5_PKS4_PKT0_illlliPT3_S3_iiiiPKf
; %bb.0:
	s_load_dwordx2 s[6:7], s[0:1], 0x60
	s_mov_b32 s3, 0
	s_lshl_b64 s[4:5], s[2:3], 3
	s_waitcnt lgkmcnt(0)
	s_add_u32 s6, s6, s4
	s_addc_u32 s7, s7, s5
	s_load_dwordx2 s[30:31], s[6:7], 0x0
	s_waitcnt lgkmcnt(0)
	v_cmp_lt_i64_e64 s[6:7], s[30:31], 0
	s_and_b64 vcc, exec, s[6:7]
	s_cbranch_vccnz .LBB0_13
; %bb.1:
	s_load_dword s3, s[0:1], 0x28
	s_load_dwordx2 s[6:7], s[0:1], 0x0
	s_load_dwordx4 s[12:15], s[0:1], 0x10
	s_waitcnt lgkmcnt(0)
	s_ashr_i32 s22, s3, 31
	s_add_u32 s16, s6, s4
	s_addc_u32 s17, s7, s5
	s_load_dwordx2 s[18:19], s[16:17], 0x0
	s_load_dwordx2 s[26:27], s[0:1], 0x20
	s_load_dwordx8 s[4:11], s[0:1], 0x30
	s_load_dwordx2 s[20:21], s[0:1], 0x58
	s_load_dword s25, s[0:1], 0x50
	s_waitcnt lgkmcnt(0)
	s_mul_i32 s16, s18, s22
	s_mul_hi_u32 s17, s18, s3
	s_mul_i32 s19, s19, s3
	s_add_i32 s16, s17, s16
	s_add_i32 s17, s16, s19
	s_mul_i32 s16, s18, s3
	s_lshl_b64 s[28:29], s[16:17], 2
	s_add_u32 s22, s26, s28
	s_addc_u32 s23, s27, s29
	s_lshr_b32 s16, s3, 31
	s_add_i32 s3, s3, s16
	s_ashr_i32 s24, s3, 1
	s_mul_i32 s3, s24, s25
	v_cmp_gt_i32_e32 vcc, s3, v0
	s_and_saveexec_b64 s[16:17], vcc
	s_cbranch_execz .LBB0_4
; %bb.2:
	s_load_dwordx2 s[18:19], s[0:1], 0x8
	s_load_dword s34, s[0:1], 0x8c
	s_mul_i32 s5, s2, s5
	s_mul_hi_u32 s33, s2, s4
	s_add_i32 s5, s33, s5
	s_mul_i32 s4, s2, s4
	s_ashr_i32 s25, s24, 31
	s_lshl_b64 s[4:5], s[4:5], 2
	s_waitcnt lgkmcnt(0)
	s_add_u32 s4, s18, s4
	s_addc_u32 s5, s19, s5
	s_abs_i32 s33, s24
	v_cvt_f32_u32_e32 v1, s33
	s_sub_i32 s38, 0, s33
	s_mov_b64 s[18:19], 0
	s_and_b32 s36, s34, 0xffff
	v_rcp_iflag_f32_e32 v1, v1
	s_sub_i32 s37, 0, s24
	s_lshl_b64 s[34:35], s[24:25], 2
	v_mul_f32_e32 v1, 0x4f7ffffe, v1
	v_cvt_u32_f32_e32 v1, v1
	v_mul_lo_u32 v2, s38, v1
	v_mul_hi_u32 v2, v1, v2
	v_add_u32_e32 v1, v1, v2
	v_mov_b32_e32 v2, v0
.LBB0_3:                                ; =>This Inner Loop Header: Depth=1
	v_sub_u32_e32 v4, 0, v2
	v_max_i32_e32 v4, v2, v4
	v_mul_hi_u32 v5, v4, v1
	v_mul_lo_u32 v6, v5, s33
	v_sub_u32_e32 v4, v4, v6
	v_add_u32_e32 v7, 1, v5
	v_cmp_le_u32_e32 vcc, s33, v4
	v_subrev_u32_e32 v6, s33, v4
	v_ashrrev_i32_e32 v3, 31, v2
	v_cndmask_b32_e32 v5, v5, v7, vcc
	v_cndmask_b32_e32 v4, v4, v6, vcc
	v_add_u32_e32 v6, 1, v5
	v_cmp_le_u32_e32 vcc, s33, v4
	v_xor_b32_e32 v3, s25, v3
	s_nop 0
	v_cndmask_b32_e32 v4, v5, v6, vcc
	v_xor_b32_e32 v4, v4, v3
	v_sub_u32_e32 v3, v4, v3
	v_ashrrev_i32_e32 v8, 31, v3
	v_mad_u64_u32 v[4:5], s[38:39], s37, v3, v[2:3]
	v_mul_lo_u32 v9, v3, s7
	v_mad_u64_u32 v[6:7], s[38:39], v3, s6, 0
	v_mul_lo_u32 v3, v8, s6
	v_ashrrev_i32_e32 v5, 31, v4
	v_add3_u32 v7, v7, v9, v3
	v_lshlrev_b64 v[4:5], 2, v[4:5]
	v_lshl_add_u64 v[6:7], v[6:7], 2, s[4:5]
	v_lshl_add_u64 v[8:9], s[22:23], 0, v[4:5]
	;; [unrolled: 1-line block ×4, first 2 shown]
	global_load_dword v3, v[8:9], off
	global_load_dword v12, v[10:11], off
	v_lshl_add_u64 v[6:7], v[4:5], 0, s[34:35]
	global_load_dword v8, v[4:5], off
	global_load_dword v9, v[6:7], off
	v_add_u32_e32 v2, s36, v2
	v_cmp_le_i32_e32 vcc, s3, v2
	s_or_b64 s[18:19], vcc, s[18:19]
	s_waitcnt vmcnt(0)
	v_mul_f32_e32 v10, v12, v9
	v_mul_f32_e32 v9, v3, v9
	v_fma_f32 v3, v3, v8, -v10
	v_fmac_f32_e32 v9, v12, v8
	global_store_dword v[4:5], v3, off
	global_store_dword v[6:7], v9, off
	s_andn2_b64 exec, exec, s[18:19]
	s_cbranch_execnz .LBB0_3
.LBB0_4:
	s_or_b64 exec, exec, s[16:17]
	s_load_dwordx4 s[16:19], s[0:1], 0x68
	s_waitcnt lgkmcnt(0)
	s_ashr_i32 s7, s19, 31
	s_mov_b32 s6, s19
	s_or_b64 s[4:5], s[30:31], s[6:7]
	s_mov_b32 s4, 0
	s_cmp_lg_u64 s[4:5], 0
	s_cbranch_scc0 .LBB0_14
; %bb.5:
	s_add_u32 s4, s6, s7
	s_mov_b32 s36, s7
	s_mov_b32 s37, s7
	s_addc_u32 s5, s7, s7
	s_xor_b64 s[38:39], s[4:5], s[36:37]
	v_cvt_f32_u32_e32 v1, s38
	v_cvt_f32_u32_e32 v2, s39
	s_sub_u32 s3, 0, s38
	s_subb_u32 s4, 0, s39
	v_fmamk_f32 v1, v2, 0x4f800000, v1
	v_rcp_f32_e32 v1, v1
	s_nop 0
	v_mul_f32_e32 v1, 0x5f7ffffc, v1
	v_mul_f32_e32 v2, 0x2f800000, v1
	v_trunc_f32_e32 v2, v2
	v_fmamk_f32 v1, v2, 0xcf800000, v1
	v_cvt_u32_f32_e32 v2, v2
	v_cvt_u32_f32_e32 v1, v1
	v_readfirstlane_b32 s5, v2
	v_readfirstlane_b32 s19, v1
	s_mul_i32 s25, s3, s5
	s_mul_hi_u32 s40, s3, s19
	s_mul_i32 s33, s4, s19
	s_add_i32 s25, s40, s25
	s_add_i32 s25, s25, s33
	s_mul_i32 s41, s3, s19
	s_mul_hi_u32 s33, s19, s25
	s_mul_i32 s40, s19, s25
	s_mul_hi_u32 s19, s19, s41
	s_add_u32 s19, s19, s40
	s_addc_u32 s33, 0, s33
	s_mul_hi_u32 s42, s5, s41
	s_mul_i32 s41, s5, s41
	s_add_u32 s19, s19, s41
	s_mul_hi_u32 s40, s5, s25
	s_addc_u32 s19, s33, s42
	s_addc_u32 s33, s40, 0
	s_mul_i32 s25, s5, s25
	s_add_u32 s19, s19, s25
	s_addc_u32 s25, 0, s33
	v_add_co_u32_e32 v1, vcc, s19, v1
	s_cmp_lg_u64 vcc, 0
	s_addc_u32 s5, s5, s25
	v_readfirstlane_b32 s25, v1
	s_mul_i32 s19, s3, s5
	s_mul_hi_u32 s33, s3, s25
	s_add_i32 s19, s33, s19
	s_mul_i32 s4, s4, s25
	s_add_i32 s19, s19, s4
	s_mul_i32 s3, s3, s25
	s_mul_hi_u32 s33, s5, s3
	s_mul_i32 s40, s5, s3
	s_mul_i32 s42, s25, s19
	s_mul_hi_u32 s3, s25, s3
	s_mul_hi_u32 s41, s25, s19
	s_add_u32 s3, s3, s42
	s_addc_u32 s25, 0, s41
	s_add_u32 s3, s3, s40
	s_mul_hi_u32 s4, s5, s19
	s_addc_u32 s3, s25, s33
	s_addc_u32 s4, s4, 0
	s_mul_i32 s19, s5, s19
	s_add_u32 s3, s3, s19
	s_addc_u32 s4, 0, s4
	v_add_co_u32_e32 v1, vcc, s3, v1
	s_cmp_lg_u64 vcc, 0
	s_addc_u32 s3, s5, s4
	s_ashr_i32 s40, s31, 31
	s_add_u32 s4, s30, s40
	s_mov_b32 s41, s40
	s_addc_u32 s5, s31, s40
	s_xor_b64 s[42:43], s[4:5], s[40:41]
	v_readfirstlane_b32 s19, v1
	s_mul_i32 s5, s42, s3
	s_mul_hi_u32 s25, s42, s19
	s_mul_hi_u32 s4, s42, s3
	s_add_u32 s5, s25, s5
	s_addc_u32 s4, 0, s4
	s_mul_hi_u32 s33, s43, s19
	s_mul_i32 s19, s43, s19
	s_add_u32 s5, s5, s19
	s_mul_hi_u32 s25, s43, s3
	s_addc_u32 s4, s4, s33
	s_addc_u32 s5, s25, 0
	s_mul_i32 s3, s43, s3
	s_add_u32 s3, s4, s3
	s_addc_u32 s19, 0, s5
	s_mul_i32 s4, s38, s19
	s_mul_hi_u32 s5, s38, s3
	s_add_i32 s4, s5, s4
	s_mul_i32 s5, s39, s3
	s_add_i32 s25, s4, s5
	s_mul_i32 s5, s38, s3
	v_mov_b32_e32 v1, s5
	s_sub_i32 s4, s43, s25
	v_sub_co_u32_e32 v1, vcc, s42, v1
	s_cmp_lg_u64 vcc, 0
	s_subb_u32 s33, s4, s39
	v_subrev_co_u32_e64 v2, s[4:5], s38, v1
	s_cmp_lg_u64 s[4:5], 0
	s_subb_u32 s4, s33, 0
	s_cmp_ge_u32 s4, s39
	v_readfirstlane_b32 s33, v2
	s_cselect_b32 s5, -1, 0
	s_cmp_ge_u32 s33, s38
	s_cselect_b32 s33, -1, 0
	s_cmp_eq_u32 s4, s39
	s_cselect_b32 s4, s33, s5
	s_add_u32 s5, s3, 1
	s_addc_u32 s33, s19, 0
	s_add_u32 s42, s3, 2
	s_addc_u32 s44, s19, 0
	s_cmp_lg_u32 s4, 0
	s_cselect_b32 s4, s42, s5
	s_cselect_b32 s5, s44, s33
	s_cmp_lg_u64 vcc, 0
	s_subb_u32 s25, s43, s25
	s_cmp_ge_u32 s25, s39
	v_readfirstlane_b32 s42, v1
	s_cselect_b32 s33, -1, 0
	s_cmp_ge_u32 s42, s38
	s_cselect_b32 s38, -1, 0
	s_cmp_eq_u32 s25, s39
	s_cselect_b32 s25, s38, s33
	s_cmp_lg_u32 s25, 0
	s_cselect_b32 s5, s5, s19
	s_cselect_b32 s4, s4, s3
	s_xor_b64 s[36:37], s[40:41], s[36:37]
	s_xor_b64 s[4:5], s[4:5], s[36:37]
	s_sub_u32 s4, s4, s36
	s_subb_u32 s5, s5, s37
	s_cbranch_execnz .LBB0_7
.LBB0_6:
	v_cvt_f32_u32_e32 v1, s6
	s_sub_i32 s3, 0, s6
	s_mov_b32 s5, 0
	v_rcp_iflag_f32_e32 v1, v1
	s_nop 0
	v_mul_f32_e32 v1, 0x4f7ffffe, v1
	v_cvt_u32_f32_e32 v1, v1
	s_nop 0
	v_readfirstlane_b32 s4, v1
	s_mul_i32 s3, s3, s4
	s_mul_hi_u32 s3, s4, s3
	s_add_i32 s4, s4, s3
	s_mul_hi_u32 s3, s30, s4
	s_mul_i32 s19, s3, s6
	s_sub_i32 s19, s30, s19
	s_add_i32 s4, s3, 1
	s_sub_i32 s25, s19, s6
	s_cmp_ge_u32 s19, s6
	s_cselect_b32 s3, s4, s3
	s_cselect_b32 s19, s25, s19
	s_add_i32 s4, s3, 1
	s_cmp_ge_u32 s19, s6
	s_cselect_b32 s4, s4, s3
.LBB0_7:
	s_mul_i32 s3, s4, s7
	s_mul_hi_u32 s7, s4, s6
	s_add_i32 s3, s7, s3
	s_mul_i32 s7, s5, s6
	s_add_i32 s3, s3, s7
	s_mul_i32 s6, s4, s6
	s_sub_u32 s33, s30, s6
	s_subb_u32 s3, s31, s3
	v_cmp_gt_i32_e32 vcc, s24, v0
	s_mul_hi_u32 s41, s4, s16
	s_mul_i32 s42, s5, s16
	s_mul_i32 s30, s4, s16
	s_mul_hi_u32 s40, s33, s17
	s_mul_i32 s5, s3, s17
	s_mul_i32 s6, s33, s17
	s_and_saveexec_b64 s[34:35], vcc
	s_cbranch_execz .LBB0_10
; %bb.8:
	s_mul_i32 s3, s2, s9
	s_mul_hi_u32 s7, s2, s8
	s_add_i32 s9, s7, s3
	s_mul_i32 s8, s2, s8
	s_ashr_i32 s25, s24, 31
	s_lshl_b64 s[38:39], s[8:9], 2
	s_add_u32 s8, s12, s38
	s_addc_u32 s9, s13, s39
	s_ashr_i32 s3, s16, 31
	s_mul_i32 s3, s4, s3
	s_add_i32 s3, s41, s3
	s_add_i32 s31, s3, s42
	s_ashr_i32 s3, s17, 31
	s_mul_i32 s3, s33, s3
	s_add_i32 s3, s40, s3
	s_add_i32 s7, s3, s5
	s_lshl_b64 s[36:37], s[30:31], 2
	s_lshl_b64 s[44:45], s[6:7], 2
	s_add_u32 s31, s36, s44
	s_addc_u32 s43, s37, s45
	s_load_dword s46, s[0:1], 0x8c
	s_add_u32 s3, s31, s20
	s_addc_u32 s7, s43, s21
	s_ashr_i32 s19, s18, 31
	s_lshl_b64 s[44:45], s[18:19], 2
	s_add_u32 s36, s3, s44
	s_addc_u32 s37, s7, s45
	s_waitcnt lgkmcnt(0)
	s_and_b32 s3, s46, 0xffff
	s_lshl_b32 s7, s3, 2
	s_lshl_b64 s[46:47], s[24:25], 2
	s_add_u32 s19, s28, s46
	s_addc_u32 s25, s29, s47
	s_add_u32 s26, s26, s19
	s_addc_u32 s27, s27, s25
	;; [unrolled: 2-line block ×6, first 2 shown]
	s_add_u32 s28, s20, s19
	v_lshlrev_b32_e32 v2, 2, v0
	v_mov_b32_e32 v3, 0
	s_addc_u32 s29, s21, s25
	s_mov_b64 s[38:39], 0
	v_mov_b32_e32 v1, v0
.LBB0_9:                                ; =>This Inner Loop Header: Depth=1
	v_lshl_add_u64 v[6:7], s[26:27], 0, v[2:3]
	v_lshl_add_u64 v[4:5], s[22:23], 0, v[2:3]
	;; [unrolled: 1-line block ×4, first 2 shown]
	global_load_dword v12, v[6:7], off
	global_load_dword v13, v[10:11], off
	;; [unrolled: 1-line block ×4, first 2 shown]
	s_add_u32 s22, s22, s7
	s_addc_u32 s23, s23, 0
	s_add_u32 s26, s26, s7
	s_addc_u32 s27, s27, 0
	;; [unrolled: 2-line block ×4, first 2 shown]
	v_lshl_add_u64 v[6:7], s[28:29], 0, v[2:3]
	s_add_u32 s28, s28, s7
	s_addc_u32 s29, s29, 0
	v_lshl_add_u64 v[4:5], s[36:37], 0, v[2:3]
	v_add_u32_e32 v1, s3, v1
	s_add_u32 s36, s36, s7
	v_cmp_le_i32_e32 vcc, s24, v1
	s_addc_u32 s37, s37, 0
	s_or_b64 s[38:39], vcc, s[38:39]
	s_waitcnt vmcnt(2)
	v_mul_f32_e32 v16, v12, v13
	s_waitcnt vmcnt(1)
	v_mul_f32_e32 v13, v14, v13
	s_waitcnt vmcnt(0)
	v_fma_f32 v14, v14, v15, -v16
	v_fmac_f32_e32 v13, v12, v15
	global_store_dword v[8:9], v14, off
	global_store_dword v[10:11], v13, off
	;; [unrolled: 1-line block ×4, first 2 shown]
	s_andn2_b64 exec, exec, s[38:39]
	s_cbranch_execnz .LBB0_9
.LBB0_10:
	s_or_b64 exec, exec, s[34:35]
	v_cmp_gt_i32_e32 vcc, s18, v0
	s_and_saveexec_b64 s[8:9], vcc
	s_cbranch_execz .LBB0_13
; %bb.11:
	s_mul_i32 s3, s2, s11
	s_mul_hi_u32 s7, s2, s10
	s_add_i32 s3, s7, s3
	s_mul_i32 s2, s2, s10
	s_lshl_b64 s[2:3], s[2:3], 2
	s_add_u32 s2, s14, s2
	s_addc_u32 s3, s15, s3
	s_ashr_i32 s7, s16, 31
	s_mul_i32 s4, s4, s7
	s_add_i32 s4, s41, s4
	s_add_i32 s31, s4, s42
	s_lshl_b64 s[8:9], s[30:31], 2
	s_add_u32 s4, s20, s8
	s_addc_u32 s8, s21, s9
	s_ashr_i32 s7, s17, 31
	s_mul_i32 s33, s33, s7
	s_load_dword s9, s[0:1], 0x8c
	s_add_i32 s7, s40, s33
	s_add_i32 s7, s7, s5
	s_lshl_b64 s[0:1], s[6:7], 2
	s_add_u32 s0, s4, s0
	s_addc_u32 s1, s8, s1
	s_waitcnt lgkmcnt(0)
	s_and_b32 s6, s9, 0xffff
	s_mov_b64 s[4:5], 0
.LBB0_12:                               ; =>This Inner Loop Header: Depth=1
	v_ashrrev_i32_e32 v1, 31, v0
	v_lshlrev_b64 v[2:3], 2, v[0:1]
	v_lshl_add_u64 v[4:5], s[2:3], 0, v[2:3]
	global_load_dword v1, v[4:5], off
	v_add_u32_e32 v0, s6, v0
	v_cmp_le_i32_e32 vcc, s18, v0
	v_lshl_add_u64 v[2:3], s[0:1], 0, v[2:3]
	s_or_b64 s[4:5], vcc, s[4:5]
	s_waitcnt vmcnt(0)
	global_store_dword v[2:3], v1, off
	s_andn2_b64 exec, exec, s[4:5]
	s_cbranch_execnz .LBB0_12
.LBB0_13:
	s_endpgm
.LBB0_14:
                                        ; implicit-def: $sgpr4_sgpr5
	s_branch .LBB0_6
	.section	.rodata,"a",@progbits
	.p2align	6, 0x0
	.amdhsa_kernel _ZN4vllm38concat_and_cache_mla_rope_fused_kernelIffLb1EffLNS_18Fp8KVCacheDataTypeE0EEEvPKlPT_S5_PKS4_PKT0_illlliPT3_S3_iiiiPKf
		.amdhsa_group_segment_fixed_size 0
		.amdhsa_private_segment_fixed_size 0
		.amdhsa_kernarg_size 384
		.amdhsa_user_sgpr_count 2
		.amdhsa_user_sgpr_dispatch_ptr 0
		.amdhsa_user_sgpr_queue_ptr 0
		.amdhsa_user_sgpr_kernarg_segment_ptr 1
		.amdhsa_user_sgpr_dispatch_id 0
		.amdhsa_user_sgpr_kernarg_preload_length 0
		.amdhsa_user_sgpr_kernarg_preload_offset 0
		.amdhsa_user_sgpr_private_segment_size 0
		.amdhsa_uses_dynamic_stack 0
		.amdhsa_enable_private_segment 0
		.amdhsa_system_sgpr_workgroup_id_x 1
		.amdhsa_system_sgpr_workgroup_id_y 0
		.amdhsa_system_sgpr_workgroup_id_z 0
		.amdhsa_system_sgpr_workgroup_info 0
		.amdhsa_system_vgpr_workitem_id 0
		.amdhsa_next_free_vgpr 17
		.amdhsa_next_free_sgpr 48
		.amdhsa_accum_offset 20
		.amdhsa_reserve_vcc 1
		.amdhsa_float_round_mode_32 0
		.amdhsa_float_round_mode_16_64 0
		.amdhsa_float_denorm_mode_32 3
		.amdhsa_float_denorm_mode_16_64 3
		.amdhsa_dx10_clamp 1
		.amdhsa_ieee_mode 1
		.amdhsa_fp16_overflow 0
		.amdhsa_tg_split 0
		.amdhsa_exception_fp_ieee_invalid_op 0
		.amdhsa_exception_fp_denorm_src 0
		.amdhsa_exception_fp_ieee_div_zero 0
		.amdhsa_exception_fp_ieee_overflow 0
		.amdhsa_exception_fp_ieee_underflow 0
		.amdhsa_exception_fp_ieee_inexact 0
		.amdhsa_exception_int_div_zero 0
	.end_amdhsa_kernel
	.section	.text._ZN4vllm38concat_and_cache_mla_rope_fused_kernelIffLb1EffLNS_18Fp8KVCacheDataTypeE0EEEvPKlPT_S5_PKS4_PKT0_illlliPT3_S3_iiiiPKf,"axG",@progbits,_ZN4vllm38concat_and_cache_mla_rope_fused_kernelIffLb1EffLNS_18Fp8KVCacheDataTypeE0EEEvPKlPT_S5_PKS4_PKT0_illlliPT3_S3_iiiiPKf,comdat
.Lfunc_end0:
	.size	_ZN4vllm38concat_and_cache_mla_rope_fused_kernelIffLb1EffLNS_18Fp8KVCacheDataTypeE0EEEvPKlPT_S5_PKS4_PKT0_illlliPT3_S3_iiiiPKf, .Lfunc_end0-_ZN4vllm38concat_and_cache_mla_rope_fused_kernelIffLb1EffLNS_18Fp8KVCacheDataTypeE0EEEvPKlPT_S5_PKS4_PKT0_illlliPT3_S3_iiiiPKf
                                        ; -- End function
	.section	.AMDGPU.csdata,"",@progbits
; Kernel info:
; codeLenInByte = 1964
; NumSgprs: 54
; NumVgprs: 17
; NumAgprs: 0
; TotalNumVgprs: 17
; ScratchSize: 0
; MemoryBound: 0
; FloatMode: 240
; IeeeMode: 1
; LDSByteSize: 0 bytes/workgroup (compile time only)
; SGPRBlocks: 6
; VGPRBlocks: 2
; NumSGPRsForWavesPerEU: 54
; NumVGPRsForWavesPerEU: 17
; AccumOffset: 20
; Occupancy: 8
; WaveLimiterHint : 1
; COMPUTE_PGM_RSRC2:SCRATCH_EN: 0
; COMPUTE_PGM_RSRC2:USER_SGPR: 2
; COMPUTE_PGM_RSRC2:TRAP_HANDLER: 0
; COMPUTE_PGM_RSRC2:TGID_X_EN: 1
; COMPUTE_PGM_RSRC2:TGID_Y_EN: 0
; COMPUTE_PGM_RSRC2:TGID_Z_EN: 0
; COMPUTE_PGM_RSRC2:TIDIG_COMP_CNT: 0
; COMPUTE_PGM_RSRC3_GFX90A:ACCUM_OFFSET: 4
; COMPUTE_PGM_RSRC3_GFX90A:TG_SPLIT: 0
	.section	.text._ZN4vllm38concat_and_cache_mla_rope_fused_kernelIffLb0EffLNS_18Fp8KVCacheDataTypeE0EEEvPKlPT_S5_PKS4_PKT0_illlliPT3_S3_iiiiPKf,"axG",@progbits,_ZN4vllm38concat_and_cache_mla_rope_fused_kernelIffLb0EffLNS_18Fp8KVCacheDataTypeE0EEEvPKlPT_S5_PKS4_PKT0_illlliPT3_S3_iiiiPKf,comdat
	.protected	_ZN4vllm38concat_and_cache_mla_rope_fused_kernelIffLb0EffLNS_18Fp8KVCacheDataTypeE0EEEvPKlPT_S5_PKS4_PKT0_illlliPT3_S3_iiiiPKf ; -- Begin function _ZN4vllm38concat_and_cache_mla_rope_fused_kernelIffLb0EffLNS_18Fp8KVCacheDataTypeE0EEEvPKlPT_S5_PKS4_PKT0_illlliPT3_S3_iiiiPKf
	.globl	_ZN4vllm38concat_and_cache_mla_rope_fused_kernelIffLb0EffLNS_18Fp8KVCacheDataTypeE0EEEvPKlPT_S5_PKS4_PKT0_illlliPT3_S3_iiiiPKf
	.p2align	8
	.type	_ZN4vllm38concat_and_cache_mla_rope_fused_kernelIffLb0EffLNS_18Fp8KVCacheDataTypeE0EEEvPKlPT_S5_PKS4_PKT0_illlliPT3_S3_iiiiPKf,@function
_ZN4vllm38concat_and_cache_mla_rope_fused_kernelIffLb0EffLNS_18Fp8KVCacheDataTypeE0EEEvPKlPT_S5_PKS4_PKT0_illlliPT3_S3_iiiiPKf: ; @_ZN4vllm38concat_and_cache_mla_rope_fused_kernelIffLb0EffLNS_18Fp8KVCacheDataTypeE0EEEvPKlPT_S5_PKS4_PKT0_illlliPT3_S3_iiiiPKf
; %bb.0:
	s_load_dwordx2 s[6:7], s[0:1], 0x60
	s_mov_b32 s3, 0
	s_lshl_b64 s[4:5], s[2:3], 3
	s_waitcnt lgkmcnt(0)
	s_add_u32 s6, s6, s4
	s_addc_u32 s7, s7, s5
	s_load_dwordx2 s[26:27], s[6:7], 0x0
	s_waitcnt lgkmcnt(0)
	v_cmp_lt_i64_e64 s[6:7], s[26:27], 0
	s_and_b64 vcc, exec, s[6:7]
	s_cbranch_vccnz .LBB1_13
; %bb.1:
	s_load_dword s3, s[0:1], 0x28
	s_load_dwordx2 s[6:7], s[0:1], 0x0
	s_load_dwordx4 s[12:15], s[0:1], 0x10
	s_waitcnt lgkmcnt(0)
	s_ashr_i32 s22, s3, 31
	s_add_u32 s16, s6, s4
	s_addc_u32 s17, s7, s5
	s_load_dwordx2 s[18:19], s[16:17], 0x0
	s_load_dwordx2 s[24:25], s[0:1], 0x20
	s_load_dwordx8 s[4:11], s[0:1], 0x30
	s_load_dwordx2 s[20:21], s[0:1], 0x58
	s_load_dword s23, s[0:1], 0x50
	s_waitcnt lgkmcnt(0)
	s_mul_i32 s16, s18, s22
	s_mul_hi_u32 s17, s18, s3
	s_mul_i32 s19, s19, s3
	s_add_i32 s16, s17, s16
	s_add_i32 s29, s16, s19
	s_lshr_b32 s16, s3, 31
	s_mul_i32 s28, s18, s3
	s_add_i32 s3, s3, s16
	s_ashr_i32 s22, s3, 1
	s_mul_i32 s3, s22, s23
	v_cmp_gt_i32_e32 vcc, s3, v0
	s_and_saveexec_b64 s[16:17], vcc
	s_cbranch_execz .LBB1_4
; %bb.2:
	s_load_dwordx2 s[30:31], s[0:1], 0x8
	s_load_dword s34, s[0:1], 0x8c
	s_lshl_b64 s[18:19], s[28:29], 2
	s_add_u32 s18, s24, s18
	s_mul_i32 s5, s2, s5
	s_mul_hi_u32 s33, s2, s4
	s_addc_u32 s19, s25, s19
	s_add_i32 s5, s33, s5
	s_mul_i32 s4, s2, s4
	s_ashr_i32 s23, s22, 31
	s_lshl_b64 s[4:5], s[4:5], 2
	s_waitcnt lgkmcnt(0)
	s_add_u32 s4, s30, s4
	s_addc_u32 s5, s31, s5
	s_abs_i32 s33, s22
	v_cvt_f32_u32_e32 v1, s33
	s_sub_i32 s30, 0, s33
	s_and_b32 s34, s34, 0xffff
	s_sub_i32 s35, 0, s22
	v_rcp_iflag_f32_e32 v1, v1
	s_lshl_b32 s37, s34, 1
	v_mov_b32_e32 v4, v0
	v_mul_f32_e32 v1, 0x4f7ffffe, v1
	v_cvt_u32_f32_e32 v1, v1
	v_mul_lo_u32 v2, s30, v1
	v_mul_hi_u32 v2, v1, v2
	s_lshl_b32 s30, s22, 1
	v_add_u32_e32 v1, v1, v2
	s_sub_i32 s36, 0, s30
	v_lshlrev_b32_e32 v2, 1, v0
	s_mov_b64 s[30:31], 0
.LBB1_3:                                ; =>This Inner Loop Header: Depth=1
	v_sub_u32_e32 v5, 0, v4
	v_max_i32_e32 v5, v4, v5
	v_mul_hi_u32 v6, v5, v1
	v_mul_lo_u32 v7, v6, s33
	v_sub_u32_e32 v5, v5, v7
	v_add_u32_e32 v8, 1, v6
	v_cmp_le_u32_e32 vcc, s33, v5
	v_subrev_u32_e32 v7, s33, v5
	v_ashrrev_i32_e32 v3, 31, v4
	v_cndmask_b32_e32 v6, v6, v8, vcc
	v_cndmask_b32_e32 v5, v5, v7, vcc
	v_add_u32_e32 v7, 1, v6
	v_cmp_le_u32_e32 vcc, s33, v5
	v_xor_b32_e32 v3, s23, v3
	s_nop 0
	v_cndmask_b32_e32 v5, v6, v7, vcc
	v_xor_b32_e32 v5, v5, v3
	v_sub_u32_e32 v3, v5, v3
	v_mad_u64_u32 v[6:7], s[38:39], s35, v3, v[4:5]
	v_ashrrev_i32_e32 v5, 31, v3
	v_mul_lo_u32 v12, v3, s7
	v_mad_u64_u32 v[8:9], s[38:39], v3, s6, 0
	v_mad_u64_u32 v[10:11], s[38:39], s36, v3, v[2:3]
	v_mul_lo_u32 v3, v5, s6
	v_ashrrev_i32_e32 v7, 31, v6
	v_add3_u32 v9, v9, v12, v3
	v_ashrrev_i32_e32 v11, 31, v10
	v_lshl_add_u64 v[6:7], v[6:7], 2, s[18:19]
	v_lshl_add_u64 v[8:9], v[8:9], 2, s[4:5]
	;; [unrolled: 1-line block ×3, first 2 shown]
	global_load_dword v3, v[6:7], off
	global_load_dword v5, v[12:13], off
	v_lshl_add_u64 v[6:7], v[10:11], 2, v[8:9]
	global_load_dwordx2 v[8:9], v[6:7], off
	v_add_u32_e32 v4, s34, v4
	v_cmp_le_i32_e32 vcc, s3, v4
	v_add_u32_e32 v2, s37, v2
	s_or_b64 s[30:31], vcc, s[30:31]
	s_waitcnt vmcnt(0)
	v_mul_f32_e32 v10, v5, v9
	v_mul_f32_e32 v11, v3, v9
	v_fma_f32 v10, v3, v8, -v10
	v_fmac_f32_e32 v11, v5, v8
	global_store_dwordx2 v[6:7], v[10:11], off
	s_andn2_b64 exec, exec, s[30:31]
	s_cbranch_execnz .LBB1_3
.LBB1_4:
	s_or_b64 exec, exec, s[16:17]
	s_load_dwordx4 s[16:19], s[0:1], 0x68
	s_waitcnt lgkmcnt(0)
	s_ashr_i32 s7, s19, 31
	s_mov_b32 s6, s19
	s_or_b64 s[4:5], s[26:27], s[6:7]
	s_mov_b32 s4, 0
	s_cmp_lg_u64 s[4:5], 0
	s_cbranch_scc0 .LBB1_14
; %bb.5:
	s_add_u32 s4, s6, s7
	s_mov_b32 s34, s7
	s_mov_b32 s35, s7
	s_addc_u32 s5, s7, s7
	s_xor_b64 s[36:37], s[4:5], s[34:35]
	v_cvt_f32_u32_e32 v1, s36
	v_cvt_f32_u32_e32 v2, s37
	s_sub_u32 s3, 0, s36
	s_subb_u32 s4, 0, s37
	v_fmamk_f32 v1, v2, 0x4f800000, v1
	v_rcp_f32_e32 v1, v1
	s_nop 0
	v_mul_f32_e32 v1, 0x5f7ffffc, v1
	v_mul_f32_e32 v2, 0x2f800000, v1
	v_trunc_f32_e32 v2, v2
	v_fmamk_f32 v1, v2, 0xcf800000, v1
	v_cvt_u32_f32_e32 v2, v2
	v_cvt_u32_f32_e32 v1, v1
	v_readfirstlane_b32 s5, v2
	v_readfirstlane_b32 s19, v1
	s_mul_i32 s23, s3, s5
	s_mul_hi_u32 s38, s3, s19
	s_mul_i32 s33, s4, s19
	s_add_i32 s23, s38, s23
	s_add_i32 s23, s23, s33
	s_mul_i32 s39, s3, s19
	s_mul_hi_u32 s33, s19, s23
	s_mul_i32 s38, s19, s23
	s_mul_hi_u32 s19, s19, s39
	s_add_u32 s19, s19, s38
	s_addc_u32 s33, 0, s33
	s_mul_hi_u32 s40, s5, s39
	s_mul_i32 s39, s5, s39
	s_add_u32 s19, s19, s39
	s_mul_hi_u32 s38, s5, s23
	s_addc_u32 s19, s33, s40
	s_addc_u32 s33, s38, 0
	s_mul_i32 s23, s5, s23
	s_add_u32 s19, s19, s23
	s_addc_u32 s23, 0, s33
	v_add_co_u32_e32 v1, vcc, s19, v1
	s_cmp_lg_u64 vcc, 0
	s_addc_u32 s5, s5, s23
	v_readfirstlane_b32 s23, v1
	s_mul_i32 s19, s3, s5
	s_mul_hi_u32 s33, s3, s23
	s_add_i32 s19, s33, s19
	s_mul_i32 s4, s4, s23
	s_add_i32 s19, s19, s4
	s_mul_i32 s3, s3, s23
	s_mul_hi_u32 s33, s5, s3
	s_mul_i32 s38, s5, s3
	s_mul_i32 s40, s23, s19
	s_mul_hi_u32 s3, s23, s3
	s_mul_hi_u32 s39, s23, s19
	s_add_u32 s3, s3, s40
	s_addc_u32 s23, 0, s39
	s_add_u32 s3, s3, s38
	s_mul_hi_u32 s4, s5, s19
	s_addc_u32 s3, s23, s33
	s_addc_u32 s4, s4, 0
	s_mul_i32 s19, s5, s19
	s_add_u32 s3, s3, s19
	s_addc_u32 s4, 0, s4
	v_add_co_u32_e32 v1, vcc, s3, v1
	s_cmp_lg_u64 vcc, 0
	s_addc_u32 s3, s5, s4
	s_ashr_i32 s38, s27, 31
	s_add_u32 s4, s26, s38
	s_mov_b32 s39, s38
	s_addc_u32 s5, s27, s38
	s_xor_b64 s[40:41], s[4:5], s[38:39]
	v_readfirstlane_b32 s19, v1
	s_mul_i32 s5, s40, s3
	s_mul_hi_u32 s23, s40, s19
	s_mul_hi_u32 s4, s40, s3
	s_add_u32 s5, s23, s5
	s_addc_u32 s4, 0, s4
	s_mul_hi_u32 s33, s41, s19
	s_mul_i32 s19, s41, s19
	s_add_u32 s5, s5, s19
	s_mul_hi_u32 s23, s41, s3
	s_addc_u32 s4, s4, s33
	s_addc_u32 s5, s23, 0
	s_mul_i32 s3, s41, s3
	s_add_u32 s3, s4, s3
	s_addc_u32 s19, 0, s5
	s_mul_i32 s4, s36, s19
	s_mul_hi_u32 s5, s36, s3
	s_add_i32 s4, s5, s4
	s_mul_i32 s5, s37, s3
	s_add_i32 s23, s4, s5
	s_mul_i32 s5, s36, s3
	v_mov_b32_e32 v1, s5
	s_sub_i32 s4, s41, s23
	v_sub_co_u32_e32 v1, vcc, s40, v1
	s_cmp_lg_u64 vcc, 0
	s_subb_u32 s33, s4, s37
	v_subrev_co_u32_e64 v2, s[4:5], s36, v1
	s_cmp_lg_u64 s[4:5], 0
	s_subb_u32 s4, s33, 0
	s_cmp_ge_u32 s4, s37
	v_readfirstlane_b32 s33, v2
	s_cselect_b32 s5, -1, 0
	s_cmp_ge_u32 s33, s36
	s_cselect_b32 s33, -1, 0
	s_cmp_eq_u32 s4, s37
	s_cselect_b32 s4, s33, s5
	s_add_u32 s5, s3, 1
	s_addc_u32 s33, s19, 0
	s_add_u32 s40, s3, 2
	s_addc_u32 s42, s19, 0
	s_cmp_lg_u32 s4, 0
	s_cselect_b32 s4, s40, s5
	s_cselect_b32 s5, s42, s33
	s_cmp_lg_u64 vcc, 0
	s_subb_u32 s23, s41, s23
	s_cmp_ge_u32 s23, s37
	v_readfirstlane_b32 s40, v1
	s_cselect_b32 s33, -1, 0
	s_cmp_ge_u32 s40, s36
	s_cselect_b32 s36, -1, 0
	s_cmp_eq_u32 s23, s37
	s_cselect_b32 s23, s36, s33
	s_cmp_lg_u32 s23, 0
	s_cselect_b32 s5, s5, s19
	s_cselect_b32 s4, s4, s3
	s_xor_b64 s[34:35], s[38:39], s[34:35]
	s_xor_b64 s[4:5], s[4:5], s[34:35]
	s_sub_u32 s4, s4, s34
	s_subb_u32 s5, s5, s35
	s_cbranch_execnz .LBB1_7
.LBB1_6:
	v_cvt_f32_u32_e32 v1, s6
	s_sub_i32 s3, 0, s6
	s_mov_b32 s5, 0
	v_rcp_iflag_f32_e32 v1, v1
	s_nop 0
	v_mul_f32_e32 v1, 0x4f7ffffe, v1
	v_cvt_u32_f32_e32 v1, v1
	s_nop 0
	v_readfirstlane_b32 s4, v1
	s_mul_i32 s3, s3, s4
	s_mul_hi_u32 s3, s4, s3
	s_add_i32 s4, s4, s3
	s_mul_hi_u32 s3, s26, s4
	s_mul_i32 s19, s3, s6
	s_sub_i32 s19, s26, s19
	s_add_i32 s4, s3, 1
	s_sub_i32 s23, s19, s6
	s_cmp_ge_u32 s19, s6
	s_cselect_b32 s3, s4, s3
	s_cselect_b32 s19, s23, s19
	s_add_i32 s4, s3, 1
	s_cmp_ge_u32 s19, s6
	s_cselect_b32 s4, s4, s3
.LBB1_7:
	s_mul_i32 s3, s4, s7
	s_mul_hi_u32 s7, s4, s6
	s_add_i32 s3, s7, s3
	s_mul_i32 s7, s5, s6
	s_add_i32 s3, s3, s7
	s_mul_i32 s6, s4, s6
	s_sub_u32 s33, s26, s6
	s_subb_u32 s3, s27, s3
	v_cmp_gt_i32_e32 vcc, s22, v0
	s_mul_hi_u32 s35, s4, s16
	s_mul_i32 s36, s5, s16
	s_mul_i32 s26, s4, s16
	s_mul_hi_u32 s34, s33, s17
	s_mul_i32 s5, s3, s17
	s_mul_i32 s6, s33, s17
	s_and_saveexec_b64 s[30:31], vcc
	s_cbranch_execz .LBB1_10
; %bb.8:
	s_load_dword s3, s[0:1], 0x8c
	s_ashr_i32 s23, s22, 31
	s_ashr_i32 s7, s16, 31
	;; [unrolled: 1-line block ×4, first 2 shown]
	s_waitcnt lgkmcnt(0)
	s_and_b32 s3, s3, 0xffff
	s_lshl_b64 s[38:39], s[28:29], 2
	s_add_u32 s24, s24, s38
	v_lshlrev_b32_e32 v6, 2, v0
	v_mov_b32_e32 v7, 0
	s_addc_u32 s25, s25, s39
	v_lshl_add_u64 v[2:3], s[24:25], 0, v[6:7]
	s_lshl_b64 s[24:25], s[22:23], 2
	s_mul_i32 s9, s9, s2
	s_mul_hi_u32 s23, s8, s2
	s_add_i32 s9, s23, s9
	s_mul_i32 s8, s8, s2
	s_lshl_b32 s28, s3, 2
	s_lshl_b64 s[8:9], s[8:9], 2
	s_add_u32 s8, s12, s8
	s_mul_i32 s7, s4, s7
	s_addc_u32 s9, s13, s9
	s_add_i32 s7, s35, s7
	s_add_i32 s27, s7, s36
	s_mul_i32 s7, s33, s37
	s_add_i32 s7, s34, s7
	v_lshlrev_b32_e32 v6, 3, v0
	s_add_i32 s7, s7, s5
	v_lshl_add_u64 v[4:5], s[8:9], 0, v[6:7]
	s_lshl_b32 s23, s3, 3
	s_lshl_b64 s[8:9], s[26:27], 2
	s_lshl_b64 s[12:13], s[6:7], 2
	s_add_u32 s7, s8, s12
	s_addc_u32 s12, s9, s13
	s_lshl_b64 s[8:9], s[18:19], 2
	s_add_u32 s8, s20, s8
	s_addc_u32 s9, s21, s9
	s_add_u32 s8, s8, s7
	s_addc_u32 s9, s9, s12
	s_mov_b32 s29, 0
	v_lshl_add_u64 v[6:7], s[8:9], 0, v[6:7]
	s_mov_b64 s[8:9], 0
	s_mov_b64 s[12:13], 0
	v_mov_b32_e32 v1, v0
.LBB1_9:                                ; =>This Inner Loop Header: Depth=1
	v_lshl_add_u64 v[8:9], v[2:3], 0, s[24:25]
	v_lshl_add_u64 v[10:11], v[4:5], 0, s[12:13]
	global_load_dword v12, v[8:9], off
	global_load_dwordx2 v[14:15], v[10:11], off
	global_load_dword v16, v[2:3], off
	v_lshl_add_u64 v[8:9], v[6:7], 0, s[12:13]
	v_add_u32_e32 v1, s3, v1
	s_add_u32 s12, s12, s23
	s_addc_u32 s13, s13, 0
	v_cmp_le_i32_e32 vcc, s22, v1
	v_lshl_add_u64 v[2:3], v[2:3], 0, s[28:29]
	s_or_b64 s[8:9], vcc, s[8:9]
	s_waitcnt vmcnt(1)
	v_pk_mul_f32 v[12:13], v[12:13], v[14:15] op_sel_hi:[0,1]
	s_waitcnt vmcnt(0)
	v_pk_fma_f32 v[18:19], v[16:17], v[14:15], v[12:13] op_sel:[0,0,1] op_sel_hi:[1,1,0] neg_lo:[0,0,1] neg_hi:[0,0,1]
	v_pk_fma_f32 v[12:13], v[16:17], v[14:15], v[12:13] op_sel:[0,0,1] op_sel_hi:[0,1,0]
	v_mov_b32_e32 v19, v13
	global_store_dwordx2 v[10:11], v[18:19], off
	global_store_dwordx2 v[8:9], v[18:19], off
	s_andn2_b64 exec, exec, s[8:9]
	s_cbranch_execnz .LBB1_9
.LBB1_10:
	s_or_b64 exec, exec, s[30:31]
	v_cmp_gt_i32_e32 vcc, s18, v0
	s_and_saveexec_b64 s[8:9], vcc
	s_cbranch_execz .LBB1_13
; %bb.11:
	s_mul_i32 s3, s2, s11
	s_mul_hi_u32 s7, s2, s10
	s_add_i32 s3, s7, s3
	s_mul_i32 s2, s2, s10
	s_lshl_b64 s[2:3], s[2:3], 2
	s_add_u32 s2, s14, s2
	s_addc_u32 s3, s15, s3
	s_ashr_i32 s7, s16, 31
	s_mul_i32 s4, s4, s7
	s_add_i32 s4, s35, s4
	s_add_i32 s27, s4, s36
	s_lshl_b64 s[8:9], s[26:27], 2
	s_add_u32 s4, s20, s8
	s_addc_u32 s8, s21, s9
	s_ashr_i32 s7, s17, 31
	s_mul_i32 s33, s33, s7
	s_load_dword s9, s[0:1], 0x8c
	s_add_i32 s7, s34, s33
	s_add_i32 s7, s7, s5
	s_lshl_b64 s[0:1], s[6:7], 2
	s_add_u32 s0, s4, s0
	s_addc_u32 s1, s8, s1
	s_waitcnt lgkmcnt(0)
	s_and_b32 s6, s9, 0xffff
	s_mov_b64 s[4:5], 0
.LBB1_12:                               ; =>This Inner Loop Header: Depth=1
	v_ashrrev_i32_e32 v1, 31, v0
	v_lshlrev_b64 v[2:3], 2, v[0:1]
	v_lshl_add_u64 v[4:5], s[2:3], 0, v[2:3]
	global_load_dword v1, v[4:5], off
	v_add_u32_e32 v0, s6, v0
	v_cmp_le_i32_e32 vcc, s18, v0
	v_lshl_add_u64 v[2:3], s[0:1], 0, v[2:3]
	s_or_b64 s[4:5], vcc, s[4:5]
	s_waitcnt vmcnt(0)
	global_store_dword v[2:3], v1, off
	s_andn2_b64 exec, exec, s[4:5]
	s_cbranch_execnz .LBB1_12
.LBB1_13:
	s_endpgm
.LBB1_14:
                                        ; implicit-def: $sgpr4_sgpr5
	s_branch .LBB1_6
	.section	.rodata,"a",@progbits
	.p2align	6, 0x0
	.amdhsa_kernel _ZN4vllm38concat_and_cache_mla_rope_fused_kernelIffLb0EffLNS_18Fp8KVCacheDataTypeE0EEEvPKlPT_S5_PKS4_PKT0_illlliPT3_S3_iiiiPKf
		.amdhsa_group_segment_fixed_size 0
		.amdhsa_private_segment_fixed_size 0
		.amdhsa_kernarg_size 384
		.amdhsa_user_sgpr_count 2
		.amdhsa_user_sgpr_dispatch_ptr 0
		.amdhsa_user_sgpr_queue_ptr 0
		.amdhsa_user_sgpr_kernarg_segment_ptr 1
		.amdhsa_user_sgpr_dispatch_id 0
		.amdhsa_user_sgpr_kernarg_preload_length 0
		.amdhsa_user_sgpr_kernarg_preload_offset 0
		.amdhsa_user_sgpr_private_segment_size 0
		.amdhsa_uses_dynamic_stack 0
		.amdhsa_enable_private_segment 0
		.amdhsa_system_sgpr_workgroup_id_x 1
		.amdhsa_system_sgpr_workgroup_id_y 0
		.amdhsa_system_sgpr_workgroup_id_z 0
		.amdhsa_system_sgpr_workgroup_info 0
		.amdhsa_system_vgpr_workitem_id 0
		.amdhsa_next_free_vgpr 20
		.amdhsa_next_free_sgpr 43
		.amdhsa_accum_offset 20
		.amdhsa_reserve_vcc 1
		.amdhsa_float_round_mode_32 0
		.amdhsa_float_round_mode_16_64 0
		.amdhsa_float_denorm_mode_32 3
		.amdhsa_float_denorm_mode_16_64 3
		.amdhsa_dx10_clamp 1
		.amdhsa_ieee_mode 1
		.amdhsa_fp16_overflow 0
		.amdhsa_tg_split 0
		.amdhsa_exception_fp_ieee_invalid_op 0
		.amdhsa_exception_fp_denorm_src 0
		.amdhsa_exception_fp_ieee_div_zero 0
		.amdhsa_exception_fp_ieee_overflow 0
		.amdhsa_exception_fp_ieee_underflow 0
		.amdhsa_exception_fp_ieee_inexact 0
		.amdhsa_exception_int_div_zero 0
	.end_amdhsa_kernel
	.section	.text._ZN4vllm38concat_and_cache_mla_rope_fused_kernelIffLb0EffLNS_18Fp8KVCacheDataTypeE0EEEvPKlPT_S5_PKS4_PKT0_illlliPT3_S3_iiiiPKf,"axG",@progbits,_ZN4vllm38concat_and_cache_mla_rope_fused_kernelIffLb0EffLNS_18Fp8KVCacheDataTypeE0EEEvPKlPT_S5_PKS4_PKT0_illlliPT3_S3_iiiiPKf,comdat
.Lfunc_end1:
	.size	_ZN4vllm38concat_and_cache_mla_rope_fused_kernelIffLb0EffLNS_18Fp8KVCacheDataTypeE0EEEvPKlPT_S5_PKS4_PKT0_illlliPT3_S3_iiiiPKf, .Lfunc_end1-_ZN4vllm38concat_and_cache_mla_rope_fused_kernelIffLb0EffLNS_18Fp8KVCacheDataTypeE0EEEvPKlPT_S5_PKS4_PKT0_illlliPT3_S3_iiiiPKf
                                        ; -- End function
	.section	.AMDGPU.csdata,"",@progbits
; Kernel info:
; codeLenInByte = 1880
; NumSgprs: 49
; NumVgprs: 20
; NumAgprs: 0
; TotalNumVgprs: 20
; ScratchSize: 0
; MemoryBound: 0
; FloatMode: 240
; IeeeMode: 1
; LDSByteSize: 0 bytes/workgroup (compile time only)
; SGPRBlocks: 6
; VGPRBlocks: 2
; NumSGPRsForWavesPerEU: 49
; NumVGPRsForWavesPerEU: 20
; AccumOffset: 20
; Occupancy: 8
; WaveLimiterHint : 1
; COMPUTE_PGM_RSRC2:SCRATCH_EN: 0
; COMPUTE_PGM_RSRC2:USER_SGPR: 2
; COMPUTE_PGM_RSRC2:TRAP_HANDLER: 0
; COMPUTE_PGM_RSRC2:TGID_X_EN: 1
; COMPUTE_PGM_RSRC2:TGID_Y_EN: 0
; COMPUTE_PGM_RSRC2:TGID_Z_EN: 0
; COMPUTE_PGM_RSRC2:TIDIG_COMP_CNT: 0
; COMPUTE_PGM_RSRC3_GFX90A:ACCUM_OFFSET: 4
; COMPUTE_PGM_RSRC3_GFX90A:TG_SPLIT: 0
	.section	.text._ZN4vllm38concat_and_cache_mla_rope_fused_kernelIfN3c104HalfELb1EffLNS_18Fp8KVCacheDataTypeE0EEEvPKlPT_S7_PKS6_PKT0_illlliPT3_S5_iiiiPKf,"axG",@progbits,_ZN4vllm38concat_and_cache_mla_rope_fused_kernelIfN3c104HalfELb1EffLNS_18Fp8KVCacheDataTypeE0EEEvPKlPT_S7_PKS6_PKT0_illlliPT3_S5_iiiiPKf,comdat
	.protected	_ZN4vllm38concat_and_cache_mla_rope_fused_kernelIfN3c104HalfELb1EffLNS_18Fp8KVCacheDataTypeE0EEEvPKlPT_S7_PKS6_PKT0_illlliPT3_S5_iiiiPKf ; -- Begin function _ZN4vllm38concat_and_cache_mla_rope_fused_kernelIfN3c104HalfELb1EffLNS_18Fp8KVCacheDataTypeE0EEEvPKlPT_S7_PKS6_PKT0_illlliPT3_S5_iiiiPKf
	.globl	_ZN4vllm38concat_and_cache_mla_rope_fused_kernelIfN3c104HalfELb1EffLNS_18Fp8KVCacheDataTypeE0EEEvPKlPT_S7_PKS6_PKT0_illlliPT3_S5_iiiiPKf
	.p2align	8
	.type	_ZN4vllm38concat_and_cache_mla_rope_fused_kernelIfN3c104HalfELb1EffLNS_18Fp8KVCacheDataTypeE0EEEvPKlPT_S7_PKS6_PKT0_illlliPT3_S5_iiiiPKf,@function
_ZN4vllm38concat_and_cache_mla_rope_fused_kernelIfN3c104HalfELb1EffLNS_18Fp8KVCacheDataTypeE0EEEvPKlPT_S7_PKS6_PKT0_illlliPT3_S5_iiiiPKf: ; @_ZN4vllm38concat_and_cache_mla_rope_fused_kernelIfN3c104HalfELb1EffLNS_18Fp8KVCacheDataTypeE0EEEvPKlPT_S7_PKS6_PKT0_illlliPT3_S5_iiiiPKf
; %bb.0:
	s_load_dwordx2 s[6:7], s[0:1], 0x60
	s_mov_b32 s3, 0
	s_lshl_b64 s[4:5], s[2:3], 3
	s_waitcnt lgkmcnt(0)
	s_add_u32 s6, s6, s4
	s_addc_u32 s7, s7, s5
	s_load_dwordx2 s[28:29], s[6:7], 0x0
	s_waitcnt lgkmcnt(0)
	v_cmp_lt_i64_e64 s[6:7], s[28:29], 0
	s_and_b64 vcc, exec, s[6:7]
	s_cbranch_vccnz .LBB2_13
; %bb.1:
	s_load_dword s3, s[0:1], 0x28
	s_load_dwordx2 s[6:7], s[0:1], 0x0
	s_load_dwordx4 s[12:15], s[0:1], 0x10
	s_waitcnt lgkmcnt(0)
	s_ashr_i32 s22, s3, 31
	s_add_u32 s16, s6, s4
	s_addc_u32 s17, s7, s5
	s_load_dwordx2 s[18:19], s[16:17], 0x0
	s_load_dwordx2 s[24:25], s[0:1], 0x20
	s_load_dwordx8 s[4:11], s[0:1], 0x30
	s_load_dwordx2 s[20:21], s[0:1], 0x58
	s_load_dword s23, s[0:1], 0x50
	s_waitcnt lgkmcnt(0)
	s_mul_i32 s16, s18, s22
	s_mul_hi_u32 s17, s18, s3
	s_mul_i32 s19, s19, s3
	s_add_i32 s16, s17, s16
	s_add_i32 s27, s16, s19
	s_lshr_b32 s16, s3, 31
	s_mul_i32 s26, s18, s3
	s_add_i32 s3, s3, s16
	s_ashr_i32 s22, s3, 1
	s_mul_i32 s3, s22, s23
	v_cmp_gt_i32_e32 vcc, s3, v0
	s_and_saveexec_b64 s[16:17], vcc
	s_cbranch_execz .LBB2_4
; %bb.2:
	s_load_dwordx2 s[30:31], s[0:1], 0x8
	s_load_dword s34, s[0:1], 0x8c
	s_lshl_b64 s[18:19], s[26:27], 1
	s_add_u32 s18, s24, s18
	s_mul_i32 s5, s2, s5
	s_mul_hi_u32 s33, s2, s4
	s_addc_u32 s19, s25, s19
	s_add_i32 s5, s33, s5
	s_mul_i32 s4, s2, s4
	s_ashr_i32 s23, s22, 31
	s_lshl_b64 s[4:5], s[4:5], 2
	s_waitcnt lgkmcnt(0)
	s_add_u32 s4, s30, s4
	s_addc_u32 s5, s31, s5
	s_abs_i32 s33, s22
	v_cvt_f32_u32_e32 v1, s33
	s_sub_i32 s30, 0, s33
	s_and_b32 s34, s34, 0xffff
	s_sub_i32 s35, 0, s22
	v_rcp_iflag_f32_e32 v1, v1
	s_nop 0
	v_mul_f32_e32 v1, 0x4f7ffffe, v1
	v_cvt_u32_f32_e32 v1, v1
	v_mul_lo_u32 v2, s30, v1
	v_mul_hi_u32 v2, v1, v2
	v_add_u32_e32 v1, v1, v2
	s_mov_b64 s[30:31], 0
	v_mov_b32_e32 v2, v0
.LBB2_3:                                ; =>This Inner Loop Header: Depth=1
	v_sub_u32_e32 v4, 0, v2
	v_max_i32_e32 v4, v2, v4
	v_mul_hi_u32 v5, v4, v1
	v_mul_lo_u32 v6, v5, s33
	v_sub_u32_e32 v4, v4, v6
	v_add_u32_e32 v7, 1, v5
	v_cmp_le_u32_e32 vcc, s33, v4
	v_subrev_u32_e32 v6, s33, v4
	v_ashrrev_i32_e32 v3, 31, v2
	v_cndmask_b32_e32 v5, v5, v7, vcc
	v_cndmask_b32_e32 v4, v4, v6, vcc
	v_add_u32_e32 v6, 1, v5
	v_cmp_le_u32_e32 vcc, s33, v4
	v_xor_b32_e32 v3, s23, v3
	s_nop 0
	v_cndmask_b32_e32 v4, v5, v6, vcc
	v_xor_b32_e32 v4, v4, v3
	v_sub_u32_e32 v3, v4, v3
	v_mad_u64_u32 v[4:5], s[36:37], s35, v3, v[2:3]
	v_ashrrev_i32_e32 v8, 31, v3
	v_ashrrev_i32_e32 v5, 31, v4
	v_mul_lo_u32 v10, v3, s7
	v_mad_u64_u32 v[6:7], s[36:37], v3, s6, 0
	v_mul_lo_u32 v3, v8, s6
	v_lshl_add_u64 v[8:9], v[4:5], 1, s[18:19]
	v_add3_u32 v7, v7, v10, v3
	v_lshl_add_u64 v[10:11], s[22:23], 1, v[8:9]
	global_load_ushort v3, v[8:9], off
	global_load_ushort v12, v[10:11], off
	v_lshl_add_u64 v[6:7], v[6:7], 2, s[4:5]
	v_lshl_add_u64 v[4:5], v[4:5], 2, v[6:7]
	;; [unrolled: 1-line block ×3, first 2 shown]
	global_load_dword v8, v[4:5], off
	global_load_dword v9, v[6:7], off
	v_add_u32_e32 v2, s34, v2
	v_cmp_le_i32_e32 vcc, s3, v2
	s_or_b64 s[30:31], vcc, s[30:31]
	s_waitcnt vmcnt(3)
	v_cvt_f32_f16_e32 v10, v3
	s_waitcnt vmcnt(2)
	v_cvt_f32_f16_e32 v11, v12
	s_waitcnt vmcnt(0)
	v_mul_f32_e32 v10, v9, v10
	v_mul_f32_e32 v9, v9, v11
	v_fma_mix_f32 v3, v8, v3, -v9 op_sel_hi:[0,1,0]
	v_fma_mix_f32 v10, v8, v12, v10 op_sel_hi:[0,1,0]
	global_store_dword v[4:5], v3, off
	global_store_dword v[6:7], v10, off
	s_andn2_b64 exec, exec, s[30:31]
	s_cbranch_execnz .LBB2_3
.LBB2_4:
	s_or_b64 exec, exec, s[16:17]
	s_load_dwordx4 s[16:19], s[0:1], 0x68
	s_waitcnt lgkmcnt(0)
	s_ashr_i32 s7, s19, 31
	s_mov_b32 s6, s19
	s_or_b64 s[4:5], s[28:29], s[6:7]
	s_mov_b32 s4, 0
	s_cmp_lg_u64 s[4:5], 0
	s_cbranch_scc0 .LBB2_14
; %bb.5:
	s_add_u32 s4, s6, s7
	s_mov_b32 s34, s7
	s_mov_b32 s35, s7
	s_addc_u32 s5, s7, s7
	s_xor_b64 s[36:37], s[4:5], s[34:35]
	v_cvt_f32_u32_e32 v1, s36
	v_cvt_f32_u32_e32 v2, s37
	s_sub_u32 s3, 0, s36
	s_subb_u32 s4, 0, s37
	v_fmamk_f32 v1, v2, 0x4f800000, v1
	v_rcp_f32_e32 v1, v1
	s_nop 0
	v_mul_f32_e32 v1, 0x5f7ffffc, v1
	v_mul_f32_e32 v2, 0x2f800000, v1
	v_trunc_f32_e32 v2, v2
	v_fmamk_f32 v1, v2, 0xcf800000, v1
	v_cvt_u32_f32_e32 v2, v2
	v_cvt_u32_f32_e32 v1, v1
	v_readfirstlane_b32 s5, v2
	v_readfirstlane_b32 s19, v1
	s_mul_i32 s23, s3, s5
	s_mul_hi_u32 s38, s3, s19
	s_mul_i32 s33, s4, s19
	s_add_i32 s23, s38, s23
	s_add_i32 s23, s23, s33
	s_mul_i32 s39, s3, s19
	s_mul_hi_u32 s33, s19, s23
	s_mul_i32 s38, s19, s23
	s_mul_hi_u32 s19, s19, s39
	s_add_u32 s19, s19, s38
	s_addc_u32 s33, 0, s33
	s_mul_hi_u32 s40, s5, s39
	s_mul_i32 s39, s5, s39
	s_add_u32 s19, s19, s39
	s_mul_hi_u32 s38, s5, s23
	s_addc_u32 s19, s33, s40
	s_addc_u32 s33, s38, 0
	s_mul_i32 s23, s5, s23
	s_add_u32 s19, s19, s23
	s_addc_u32 s23, 0, s33
	v_add_co_u32_e32 v1, vcc, s19, v1
	s_cmp_lg_u64 vcc, 0
	s_addc_u32 s5, s5, s23
	v_readfirstlane_b32 s23, v1
	s_mul_i32 s19, s3, s5
	s_mul_hi_u32 s33, s3, s23
	s_add_i32 s19, s33, s19
	s_mul_i32 s4, s4, s23
	s_add_i32 s19, s19, s4
	s_mul_i32 s3, s3, s23
	s_mul_hi_u32 s33, s5, s3
	s_mul_i32 s38, s5, s3
	s_mul_i32 s40, s23, s19
	s_mul_hi_u32 s3, s23, s3
	s_mul_hi_u32 s39, s23, s19
	s_add_u32 s3, s3, s40
	s_addc_u32 s23, 0, s39
	s_add_u32 s3, s3, s38
	s_mul_hi_u32 s4, s5, s19
	s_addc_u32 s3, s23, s33
	s_addc_u32 s4, s4, 0
	s_mul_i32 s19, s5, s19
	s_add_u32 s3, s3, s19
	s_addc_u32 s4, 0, s4
	v_add_co_u32_e32 v1, vcc, s3, v1
	s_cmp_lg_u64 vcc, 0
	s_addc_u32 s3, s5, s4
	s_ashr_i32 s38, s29, 31
	s_add_u32 s4, s28, s38
	s_mov_b32 s39, s38
	s_addc_u32 s5, s29, s38
	s_xor_b64 s[40:41], s[4:5], s[38:39]
	v_readfirstlane_b32 s19, v1
	s_mul_i32 s5, s40, s3
	s_mul_hi_u32 s23, s40, s19
	s_mul_hi_u32 s4, s40, s3
	s_add_u32 s5, s23, s5
	s_addc_u32 s4, 0, s4
	s_mul_hi_u32 s33, s41, s19
	s_mul_i32 s19, s41, s19
	s_add_u32 s5, s5, s19
	s_mul_hi_u32 s23, s41, s3
	s_addc_u32 s4, s4, s33
	s_addc_u32 s5, s23, 0
	s_mul_i32 s3, s41, s3
	s_add_u32 s3, s4, s3
	s_addc_u32 s19, 0, s5
	s_mul_i32 s4, s36, s19
	s_mul_hi_u32 s5, s36, s3
	s_add_i32 s4, s5, s4
	s_mul_i32 s5, s37, s3
	s_add_i32 s23, s4, s5
	s_mul_i32 s5, s36, s3
	v_mov_b32_e32 v1, s5
	s_sub_i32 s4, s41, s23
	v_sub_co_u32_e32 v1, vcc, s40, v1
	s_cmp_lg_u64 vcc, 0
	s_subb_u32 s33, s4, s37
	v_subrev_co_u32_e64 v2, s[4:5], s36, v1
	s_cmp_lg_u64 s[4:5], 0
	s_subb_u32 s4, s33, 0
	s_cmp_ge_u32 s4, s37
	v_readfirstlane_b32 s33, v2
	s_cselect_b32 s5, -1, 0
	s_cmp_ge_u32 s33, s36
	s_cselect_b32 s33, -1, 0
	s_cmp_eq_u32 s4, s37
	s_cselect_b32 s4, s33, s5
	s_add_u32 s5, s3, 1
	s_addc_u32 s33, s19, 0
	s_add_u32 s40, s3, 2
	s_addc_u32 s42, s19, 0
	s_cmp_lg_u32 s4, 0
	s_cselect_b32 s4, s40, s5
	s_cselect_b32 s5, s42, s33
	s_cmp_lg_u64 vcc, 0
	s_subb_u32 s23, s41, s23
	s_cmp_ge_u32 s23, s37
	v_readfirstlane_b32 s40, v1
	s_cselect_b32 s33, -1, 0
	s_cmp_ge_u32 s40, s36
	s_cselect_b32 s36, -1, 0
	s_cmp_eq_u32 s23, s37
	s_cselect_b32 s23, s36, s33
	s_cmp_lg_u32 s23, 0
	s_cselect_b32 s5, s5, s19
	s_cselect_b32 s4, s4, s3
	s_xor_b64 s[34:35], s[38:39], s[34:35]
	s_xor_b64 s[4:5], s[4:5], s[34:35]
	s_sub_u32 s4, s4, s34
	s_subb_u32 s5, s5, s35
	s_cbranch_execnz .LBB2_7
.LBB2_6:
	v_cvt_f32_u32_e32 v1, s6
	s_sub_i32 s3, 0, s6
	s_mov_b32 s5, 0
	v_rcp_iflag_f32_e32 v1, v1
	s_nop 0
	v_mul_f32_e32 v1, 0x4f7ffffe, v1
	v_cvt_u32_f32_e32 v1, v1
	s_nop 0
	v_readfirstlane_b32 s4, v1
	s_mul_i32 s3, s3, s4
	s_mul_hi_u32 s3, s4, s3
	s_add_i32 s4, s4, s3
	s_mul_hi_u32 s3, s28, s4
	s_mul_i32 s19, s3, s6
	s_sub_i32 s19, s28, s19
	s_add_i32 s4, s3, 1
	s_sub_i32 s23, s19, s6
	s_cmp_ge_u32 s19, s6
	s_cselect_b32 s3, s4, s3
	s_cselect_b32 s19, s23, s19
	s_add_i32 s4, s3, 1
	s_cmp_ge_u32 s19, s6
	s_cselect_b32 s4, s4, s3
.LBB2_7:
	s_mul_i32 s3, s4, s7
	s_mul_hi_u32 s7, s4, s6
	s_add_i32 s3, s7, s3
	s_mul_i32 s7, s5, s6
	s_add_i32 s3, s3, s7
	s_mul_i32 s6, s4, s6
	s_sub_u32 s33, s28, s6
	s_subb_u32 s3, s29, s3
	v_cmp_gt_i32_e32 vcc, s22, v0
	s_mul_hi_u32 s41, s4, s16
	s_mul_i32 s42, s5, s16
	s_mul_i32 s28, s4, s16
	s_mul_hi_u32 s40, s33, s17
	s_mul_i32 s5, s3, s17
	s_mul_i32 s6, s33, s17
	s_and_saveexec_b64 s[30:31], vcc
	s_cbranch_execz .LBB2_10
; %bb.8:
	s_mul_i32 s3, s2, s9
	s_mul_hi_u32 s7, s2, s8
	s_add_i32 s9, s7, s3
	s_mul_i32 s8, s2, s8
	s_ashr_i32 s23, s22, 31
	s_lshl_b64 s[36:37], s[8:9], 2
	s_add_u32 s8, s12, s36
	s_addc_u32 s9, s13, s37
	s_ashr_i32 s3, s16, 31
	s_mul_i32 s3, s4, s3
	s_add_i32 s3, s41, s3
	s_add_i32 s29, s3, s42
	s_ashr_i32 s3, s17, 31
	s_mul_i32 s3, s33, s3
	s_add_i32 s3, s40, s3
	s_add_i32 s7, s3, s5
	s_lshl_b64 s[34:35], s[28:29], 2
	s_lshl_b64 s[38:39], s[6:7], 2
	s_add_u32 s29, s34, s38
	s_addc_u32 s43, s35, s39
	s_load_dword s44, s[0:1], 0x8c
	s_add_u32 s3, s29, s20
	s_addc_u32 s7, s43, s21
	s_ashr_i32 s19, s18, 31
	s_lshl_b64 s[38:39], s[18:19], 2
	s_add_u32 s34, s3, s38
	s_addc_u32 s35, s7, s39
	s_waitcnt lgkmcnt(0)
	s_and_b32 s3, s44, 0xffff
	s_lshl_b64 s[44:45], s[26:27], 1
	s_add_u32 s24, s24, s44
	v_lshlrev_b32_e32 v2, 1, v0
	v_mov_b32_e32 v3, 0
	s_addc_u32 s25, s25, s45
	v_lshl_add_u64 v[4:5], s[24:25], 0, v[2:3]
	s_lshl_b32 s26, s3, 1
	s_lshl_b64 s[24:25], s[22:23], 1
	s_lshl_b64 s[44:45], s[22:23], 2
	s_add_u32 s7, s36, s44
	s_addc_u32 s19, s37, s45
	s_add_u32 s12, s12, s7
	s_addc_u32 s13, s13, s19
	s_lshl_b32 s7, s3, 2
	s_add_u32 s19, s29, s44
	s_addc_u32 s23, s43, s45
	s_add_u32 s19, s19, s38
	s_addc_u32 s23, s23, s39
	s_add_u32 s36, s20, s19
	s_mov_b32 s27, 0
	v_lshlrev_b32_e32 v2, 2, v0
	s_addc_u32 s37, s21, s23
	s_mov_b64 s[38:39], 0
	v_mov_b32_e32 v1, v0
.LBB2_9:                                ; =>This Inner Loop Header: Depth=1
	global_load_ushort v14, v[4:5], off
	v_lshl_add_u64 v[6:7], v[4:5], 0, s[24:25]
	v_lshl_add_u64 v[8:9], s[8:9], 0, v[2:3]
	v_lshl_add_u64 v[10:11], s[12:13], 0, v[2:3]
	global_load_ushort v15, v[6:7], off
	global_load_dword v16, v[10:11], off
	global_load_dword v17, v[8:9], off
	s_add_u32 s12, s12, s7
	s_addc_u32 s13, s13, 0
	s_add_u32 s8, s8, s7
	s_addc_u32 s9, s9, 0
	v_lshl_add_u64 v[12:13], s[36:37], 0, v[2:3]
	s_add_u32 s36, s36, s7
	s_addc_u32 s37, s37, 0
	v_lshl_add_u64 v[6:7], s[34:35], 0, v[2:3]
	v_add_u32_e32 v1, s3, v1
	s_add_u32 s34, s34, s7
	v_cmp_le_i32_e32 vcc, s22, v1
	s_addc_u32 s35, s35, 0
	v_lshl_add_u64 v[4:5], v[4:5], 0, s[26:27]
	s_or_b64 s[38:39], vcc, s[38:39]
	s_waitcnt vmcnt(3)
	v_cvt_f32_f16_e32 v18, v14
	s_waitcnt vmcnt(2)
	v_cvt_f32_f16_e32 v19, v15
	s_waitcnt vmcnt(1)
	v_mul_f32_e32 v18, v16, v18
	s_waitcnt vmcnt(0)
	v_fma_mix_f32 v15, v17, v15, v18 op_sel_hi:[0,1,0]
	v_mul_f32_e32 v16, v16, v19
	v_fma_mix_f32 v14, v17, v14, -v16 op_sel_hi:[0,1,0]
	global_store_dword v[8:9], v14, off
	global_store_dword v[10:11], v15, off
	;; [unrolled: 1-line block ×4, first 2 shown]
	s_andn2_b64 exec, exec, s[38:39]
	s_cbranch_execnz .LBB2_9
.LBB2_10:
	s_or_b64 exec, exec, s[30:31]
	v_cmp_gt_i32_e32 vcc, s18, v0
	s_and_saveexec_b64 s[8:9], vcc
	s_cbranch_execz .LBB2_13
; %bb.11:
	s_mul_i32 s3, s2, s11
	s_mul_hi_u32 s7, s2, s10
	s_add_i32 s3, s7, s3
	s_mul_i32 s2, s2, s10
	s_lshl_b64 s[2:3], s[2:3], 2
	s_add_u32 s2, s14, s2
	s_addc_u32 s3, s15, s3
	s_ashr_i32 s7, s16, 31
	s_mul_i32 s4, s4, s7
	s_add_i32 s4, s41, s4
	s_add_i32 s29, s4, s42
	s_lshl_b64 s[8:9], s[28:29], 2
	s_add_u32 s4, s20, s8
	s_addc_u32 s8, s21, s9
	s_ashr_i32 s7, s17, 31
	s_mul_i32 s33, s33, s7
	s_load_dword s9, s[0:1], 0x8c
	s_add_i32 s7, s40, s33
	s_add_i32 s7, s7, s5
	s_lshl_b64 s[0:1], s[6:7], 2
	s_add_u32 s0, s4, s0
	s_addc_u32 s1, s8, s1
	s_waitcnt lgkmcnt(0)
	s_and_b32 s6, s9, 0xffff
	s_mov_b64 s[4:5], 0
.LBB2_12:                               ; =>This Inner Loop Header: Depth=1
	v_ashrrev_i32_e32 v1, 31, v0
	v_lshlrev_b64 v[2:3], 2, v[0:1]
	v_lshl_add_u64 v[4:5], s[2:3], 0, v[2:3]
	global_load_dword v1, v[4:5], off
	v_add_u32_e32 v0, s6, v0
	v_cmp_le_i32_e32 vcc, s18, v0
	v_lshl_add_u64 v[2:3], s[0:1], 0, v[2:3]
	s_or_b64 s[4:5], vcc, s[4:5]
	s_waitcnt vmcnt(0)
	global_store_dword v[2:3], v1, off
	s_andn2_b64 exec, exec, s[4:5]
	s_cbranch_execnz .LBB2_12
.LBB2_13:
	s_endpgm
.LBB2_14:
                                        ; implicit-def: $sgpr4_sgpr5
	s_branch .LBB2_6
	.section	.rodata,"a",@progbits
	.p2align	6, 0x0
	.amdhsa_kernel _ZN4vllm38concat_and_cache_mla_rope_fused_kernelIfN3c104HalfELb1EffLNS_18Fp8KVCacheDataTypeE0EEEvPKlPT_S7_PKS6_PKT0_illlliPT3_S5_iiiiPKf
		.amdhsa_group_segment_fixed_size 0
		.amdhsa_private_segment_fixed_size 0
		.amdhsa_kernarg_size 384
		.amdhsa_user_sgpr_count 2
		.amdhsa_user_sgpr_dispatch_ptr 0
		.amdhsa_user_sgpr_queue_ptr 0
		.amdhsa_user_sgpr_kernarg_segment_ptr 1
		.amdhsa_user_sgpr_dispatch_id 0
		.amdhsa_user_sgpr_kernarg_preload_length 0
		.amdhsa_user_sgpr_kernarg_preload_offset 0
		.amdhsa_user_sgpr_private_segment_size 0
		.amdhsa_uses_dynamic_stack 0
		.amdhsa_enable_private_segment 0
		.amdhsa_system_sgpr_workgroup_id_x 1
		.amdhsa_system_sgpr_workgroup_id_y 0
		.amdhsa_system_sgpr_workgroup_id_z 0
		.amdhsa_system_sgpr_workgroup_info 0
		.amdhsa_system_vgpr_workitem_id 0
		.amdhsa_next_free_vgpr 20
		.amdhsa_next_free_sgpr 46
		.amdhsa_accum_offset 20
		.amdhsa_reserve_vcc 1
		.amdhsa_float_round_mode_32 0
		.amdhsa_float_round_mode_16_64 0
		.amdhsa_float_denorm_mode_32 3
		.amdhsa_float_denorm_mode_16_64 3
		.amdhsa_dx10_clamp 1
		.amdhsa_ieee_mode 1
		.amdhsa_fp16_overflow 0
		.amdhsa_tg_split 0
		.amdhsa_exception_fp_ieee_invalid_op 0
		.amdhsa_exception_fp_denorm_src 0
		.amdhsa_exception_fp_ieee_div_zero 0
		.amdhsa_exception_fp_ieee_overflow 0
		.amdhsa_exception_fp_ieee_underflow 0
		.amdhsa_exception_fp_ieee_inexact 0
		.amdhsa_exception_int_div_zero 0
	.end_amdhsa_kernel
	.section	.text._ZN4vllm38concat_and_cache_mla_rope_fused_kernelIfN3c104HalfELb1EffLNS_18Fp8KVCacheDataTypeE0EEEvPKlPT_S7_PKS6_PKT0_illlliPT3_S5_iiiiPKf,"axG",@progbits,_ZN4vllm38concat_and_cache_mla_rope_fused_kernelIfN3c104HalfELb1EffLNS_18Fp8KVCacheDataTypeE0EEEvPKlPT_S7_PKS6_PKT0_illlliPT3_S5_iiiiPKf,comdat
.Lfunc_end2:
	.size	_ZN4vllm38concat_and_cache_mla_rope_fused_kernelIfN3c104HalfELb1EffLNS_18Fp8KVCacheDataTypeE0EEEvPKlPT_S7_PKS6_PKT0_illlliPT3_S5_iiiiPKf, .Lfunc_end2-_ZN4vllm38concat_and_cache_mla_rope_fused_kernelIfN3c104HalfELb1EffLNS_18Fp8KVCacheDataTypeE0EEEvPKlPT_S7_PKS6_PKT0_illlliPT3_S5_iiiiPKf
                                        ; -- End function
	.section	.AMDGPU.csdata,"",@progbits
; Kernel info:
; codeLenInByte = 1996
; NumSgprs: 52
; NumVgprs: 20
; NumAgprs: 0
; TotalNumVgprs: 20
; ScratchSize: 0
; MemoryBound: 0
; FloatMode: 240
; IeeeMode: 1
; LDSByteSize: 0 bytes/workgroup (compile time only)
; SGPRBlocks: 6
; VGPRBlocks: 2
; NumSGPRsForWavesPerEU: 52
; NumVGPRsForWavesPerEU: 20
; AccumOffset: 20
; Occupancy: 8
; WaveLimiterHint : 1
; COMPUTE_PGM_RSRC2:SCRATCH_EN: 0
; COMPUTE_PGM_RSRC2:USER_SGPR: 2
; COMPUTE_PGM_RSRC2:TRAP_HANDLER: 0
; COMPUTE_PGM_RSRC2:TGID_X_EN: 1
; COMPUTE_PGM_RSRC2:TGID_Y_EN: 0
; COMPUTE_PGM_RSRC2:TGID_Z_EN: 0
; COMPUTE_PGM_RSRC2:TIDIG_COMP_CNT: 0
; COMPUTE_PGM_RSRC3_GFX90A:ACCUM_OFFSET: 4
; COMPUTE_PGM_RSRC3_GFX90A:TG_SPLIT: 0
	.section	.text._ZN4vllm38concat_and_cache_mla_rope_fused_kernelIfN3c104HalfELb0EffLNS_18Fp8KVCacheDataTypeE0EEEvPKlPT_S7_PKS6_PKT0_illlliPT3_S5_iiiiPKf,"axG",@progbits,_ZN4vllm38concat_and_cache_mla_rope_fused_kernelIfN3c104HalfELb0EffLNS_18Fp8KVCacheDataTypeE0EEEvPKlPT_S7_PKS6_PKT0_illlliPT3_S5_iiiiPKf,comdat
	.protected	_ZN4vllm38concat_and_cache_mla_rope_fused_kernelIfN3c104HalfELb0EffLNS_18Fp8KVCacheDataTypeE0EEEvPKlPT_S7_PKS6_PKT0_illlliPT3_S5_iiiiPKf ; -- Begin function _ZN4vllm38concat_and_cache_mla_rope_fused_kernelIfN3c104HalfELb0EffLNS_18Fp8KVCacheDataTypeE0EEEvPKlPT_S7_PKS6_PKT0_illlliPT3_S5_iiiiPKf
	.globl	_ZN4vllm38concat_and_cache_mla_rope_fused_kernelIfN3c104HalfELb0EffLNS_18Fp8KVCacheDataTypeE0EEEvPKlPT_S7_PKS6_PKT0_illlliPT3_S5_iiiiPKf
	.p2align	8
	.type	_ZN4vllm38concat_and_cache_mla_rope_fused_kernelIfN3c104HalfELb0EffLNS_18Fp8KVCacheDataTypeE0EEEvPKlPT_S7_PKS6_PKT0_illlliPT3_S5_iiiiPKf,@function
_ZN4vllm38concat_and_cache_mla_rope_fused_kernelIfN3c104HalfELb0EffLNS_18Fp8KVCacheDataTypeE0EEEvPKlPT_S7_PKS6_PKT0_illlliPT3_S5_iiiiPKf: ; @_ZN4vllm38concat_and_cache_mla_rope_fused_kernelIfN3c104HalfELb0EffLNS_18Fp8KVCacheDataTypeE0EEEvPKlPT_S7_PKS6_PKT0_illlliPT3_S5_iiiiPKf
; %bb.0:
	s_load_dwordx2 s[6:7], s[0:1], 0x60
	s_mov_b32 s3, 0
	s_lshl_b64 s[4:5], s[2:3], 3
	s_waitcnt lgkmcnt(0)
	s_add_u32 s6, s6, s4
	s_addc_u32 s7, s7, s5
	s_load_dwordx2 s[26:27], s[6:7], 0x0
	s_waitcnt lgkmcnt(0)
	v_cmp_lt_i64_e64 s[6:7], s[26:27], 0
	s_and_b64 vcc, exec, s[6:7]
	s_cbranch_vccnz .LBB3_13
; %bb.1:
	s_load_dword s3, s[0:1], 0x28
	s_load_dwordx2 s[6:7], s[0:1], 0x0
	s_load_dwordx4 s[12:15], s[0:1], 0x10
	v_lshlrev_b32_e32 v2, 1, v0
	s_waitcnt lgkmcnt(0)
	s_ashr_i32 s22, s3, 31
	s_add_u32 s16, s6, s4
	s_addc_u32 s17, s7, s5
	s_load_dwordx2 s[18:19], s[16:17], 0x0
	s_load_dwordx2 s[24:25], s[0:1], 0x20
	s_load_dwordx8 s[4:11], s[0:1], 0x30
	s_load_dwordx2 s[20:21], s[0:1], 0x58
	s_load_dword s23, s[0:1], 0x50
	s_waitcnt lgkmcnt(0)
	s_mul_i32 s16, s18, s22
	s_mul_hi_u32 s17, s18, s3
	s_mul_i32 s19, s19, s3
	s_add_i32 s16, s17, s16
	s_add_i32 s29, s16, s19
	s_lshr_b32 s16, s3, 31
	s_mul_i32 s28, s18, s3
	s_add_i32 s3, s3, s16
	s_ashr_i32 s22, s3, 1
	s_mul_i32 s3, s22, s23
	v_cmp_gt_i32_e32 vcc, s3, v0
	s_and_saveexec_b64 s[16:17], vcc
	s_cbranch_execz .LBB3_4
; %bb.2:
	s_load_dwordx2 s[30:31], s[0:1], 0x8
	s_load_dword s34, s[0:1], 0x8c
	s_lshl_b64 s[18:19], s[28:29], 1
	s_add_u32 s18, s24, s18
	s_mul_i32 s5, s2, s5
	s_mul_hi_u32 s33, s2, s4
	s_addc_u32 s19, s25, s19
	s_add_i32 s5, s33, s5
	s_mul_i32 s4, s2, s4
	s_ashr_i32 s23, s22, 31
	s_lshl_b64 s[4:5], s[4:5], 2
	s_waitcnt lgkmcnt(0)
	s_add_u32 s4, s30, s4
	s_addc_u32 s5, s31, s5
	s_abs_i32 s33, s22
	v_cvt_f32_u32_e32 v1, s33
	s_sub_i32 s30, 0, s33
	s_and_b32 s34, s34, 0xffff
	s_sub_i32 s35, 0, s22
	v_rcp_iflag_f32_e32 v1, v1
	s_lshl_b32 s37, s34, 1
	v_mov_b32_e32 v4, v2
	v_mov_b32_e32 v6, v0
	v_mul_f32_e32 v1, 0x4f7ffffe, v1
	v_cvt_u32_f32_e32 v1, v1
	v_mul_lo_u32 v3, s30, v1
	v_mul_hi_u32 v3, v1, v3
	s_lshl_b32 s30, s22, 1
	v_add_u32_e32 v1, v1, v3
	s_sub_i32 s36, 0, s30
	s_mov_b64 s[30:31], 0
.LBB3_3:                                ; =>This Inner Loop Header: Depth=1
	v_sub_u32_e32 v5, 0, v6
	v_max_i32_e32 v5, v6, v5
	v_mul_hi_u32 v7, v5, v1
	v_mul_lo_u32 v8, v7, s33
	v_sub_u32_e32 v5, v5, v8
	v_add_u32_e32 v9, 1, v7
	v_cmp_le_u32_e32 vcc, s33, v5
	v_subrev_u32_e32 v8, s33, v5
	v_ashrrev_i32_e32 v3, 31, v6
	v_cndmask_b32_e32 v7, v7, v9, vcc
	v_cndmask_b32_e32 v5, v5, v8, vcc
	v_add_u32_e32 v8, 1, v7
	v_cmp_le_u32_e32 vcc, s33, v5
	v_xor_b32_e32 v3, s23, v3
	s_nop 0
	v_cndmask_b32_e32 v5, v7, v8, vcc
	v_xor_b32_e32 v5, v5, v3
	v_sub_u32_e32 v3, v5, v3
	v_mad_u64_u32 v[8:9], s[38:39], s35, v3, v[6:7]
	v_ashrrev_i32_e32 v5, 31, v3
	v_ashrrev_i32_e32 v9, 31, v8
	v_mul_lo_u32 v7, v3, s7
	v_mad_u64_u32 v[10:11], s[38:39], v3, s6, 0
	v_mad_u64_u32 v[12:13], s[38:39], s36, v3, v[4:5]
	v_mul_lo_u32 v3, v5, s6
	v_lshl_add_u64 v[8:9], v[8:9], 1, s[18:19]
	v_add3_u32 v11, v11, v7, v3
	v_lshl_add_u64 v[14:15], s[22:23], 1, v[8:9]
	global_load_ushort v3, v[8:9], off
	global_load_ushort v5, v[14:15], off
	v_ashrrev_i32_e32 v13, 31, v12
	v_lshl_add_u64 v[10:11], v[10:11], 2, s[4:5]
	v_lshl_add_u64 v[8:9], v[12:13], 2, v[10:11]
	global_load_dwordx2 v[10:11], v[8:9], off
	v_add_u32_e32 v6, s34, v6
	v_cmp_le_i32_e32 vcc, s3, v6
	v_add_u32_e32 v4, s37, v4
	s_or_b64 s[30:31], vcc, s[30:31]
	s_waitcnt vmcnt(2)
	v_cvt_f32_f16_e32 v7, v3
	s_waitcnt vmcnt(1)
	v_cvt_f32_f16_e32 v12, v5
	s_waitcnt vmcnt(0)
	v_mul_f32_e32 v7, v11, v7
	v_mul_f32_e32 v12, v11, v12
	v_fma_mix_f32 v11, v10, v5, v7 op_sel_hi:[0,1,0]
	v_fma_mix_f32 v10, v10, v3, -v12 op_sel_hi:[0,1,0]
	global_store_dwordx2 v[8:9], v[10:11], off
	s_andn2_b64 exec, exec, s[30:31]
	s_cbranch_execnz .LBB3_3
.LBB3_4:
	s_or_b64 exec, exec, s[16:17]
	s_load_dwordx4 s[16:19], s[0:1], 0x68
	s_waitcnt lgkmcnt(0)
	s_ashr_i32 s7, s19, 31
	s_mov_b32 s6, s19
	s_or_b64 s[4:5], s[26:27], s[6:7]
	s_mov_b32 s4, 0
	s_cmp_lg_u64 s[4:5], 0
	s_cbranch_scc0 .LBB3_14
; %bb.5:
	s_add_u32 s4, s6, s7
	s_mov_b32 s34, s7
	s_mov_b32 s35, s7
	s_addc_u32 s5, s7, s7
	s_xor_b64 s[36:37], s[4:5], s[34:35]
	v_cvt_f32_u32_e32 v1, s36
	v_cvt_f32_u32_e32 v3, s37
	s_sub_u32 s3, 0, s36
	s_subb_u32 s4, 0, s37
	v_fmamk_f32 v1, v3, 0x4f800000, v1
	v_rcp_f32_e32 v1, v1
	s_nop 0
	v_mul_f32_e32 v1, 0x5f7ffffc, v1
	v_mul_f32_e32 v3, 0x2f800000, v1
	v_trunc_f32_e32 v3, v3
	v_fmamk_f32 v1, v3, 0xcf800000, v1
	v_cvt_u32_f32_e32 v3, v3
	v_cvt_u32_f32_e32 v1, v1
	v_readfirstlane_b32 s5, v3
	v_readfirstlane_b32 s19, v1
	s_mul_i32 s23, s3, s5
	s_mul_hi_u32 s38, s3, s19
	s_mul_i32 s33, s4, s19
	s_add_i32 s23, s38, s23
	s_add_i32 s23, s23, s33
	s_mul_i32 s39, s3, s19
	s_mul_hi_u32 s33, s19, s23
	s_mul_i32 s38, s19, s23
	s_mul_hi_u32 s19, s19, s39
	s_add_u32 s19, s19, s38
	s_addc_u32 s33, 0, s33
	s_mul_hi_u32 s40, s5, s39
	s_mul_i32 s39, s5, s39
	s_add_u32 s19, s19, s39
	s_mul_hi_u32 s38, s5, s23
	s_addc_u32 s19, s33, s40
	s_addc_u32 s33, s38, 0
	s_mul_i32 s23, s5, s23
	s_add_u32 s19, s19, s23
	s_addc_u32 s23, 0, s33
	v_add_co_u32_e32 v1, vcc, s19, v1
	s_cmp_lg_u64 vcc, 0
	s_addc_u32 s5, s5, s23
	v_readfirstlane_b32 s23, v1
	s_mul_i32 s19, s3, s5
	s_mul_hi_u32 s33, s3, s23
	s_add_i32 s19, s33, s19
	s_mul_i32 s4, s4, s23
	s_add_i32 s19, s19, s4
	s_mul_i32 s3, s3, s23
	s_mul_hi_u32 s33, s5, s3
	s_mul_i32 s38, s5, s3
	s_mul_i32 s40, s23, s19
	s_mul_hi_u32 s3, s23, s3
	s_mul_hi_u32 s39, s23, s19
	s_add_u32 s3, s3, s40
	s_addc_u32 s23, 0, s39
	s_add_u32 s3, s3, s38
	s_mul_hi_u32 s4, s5, s19
	s_addc_u32 s3, s23, s33
	s_addc_u32 s4, s4, 0
	s_mul_i32 s19, s5, s19
	s_add_u32 s3, s3, s19
	s_addc_u32 s4, 0, s4
	v_add_co_u32_e32 v1, vcc, s3, v1
	s_cmp_lg_u64 vcc, 0
	s_addc_u32 s3, s5, s4
	s_ashr_i32 s38, s27, 31
	s_add_u32 s4, s26, s38
	s_mov_b32 s39, s38
	s_addc_u32 s5, s27, s38
	s_xor_b64 s[40:41], s[4:5], s[38:39]
	v_readfirstlane_b32 s19, v1
	s_mul_i32 s5, s40, s3
	s_mul_hi_u32 s23, s40, s19
	s_mul_hi_u32 s4, s40, s3
	s_add_u32 s5, s23, s5
	s_addc_u32 s4, 0, s4
	s_mul_hi_u32 s33, s41, s19
	s_mul_i32 s19, s41, s19
	s_add_u32 s5, s5, s19
	s_mul_hi_u32 s23, s41, s3
	s_addc_u32 s4, s4, s33
	s_addc_u32 s5, s23, 0
	s_mul_i32 s3, s41, s3
	s_add_u32 s3, s4, s3
	s_addc_u32 s19, 0, s5
	s_mul_i32 s4, s36, s19
	s_mul_hi_u32 s5, s36, s3
	s_add_i32 s4, s5, s4
	s_mul_i32 s5, s37, s3
	s_add_i32 s23, s4, s5
	s_mul_i32 s5, s36, s3
	v_mov_b32_e32 v1, s5
	s_sub_i32 s4, s41, s23
	v_sub_co_u32_e32 v1, vcc, s40, v1
	s_cmp_lg_u64 vcc, 0
	s_subb_u32 s33, s4, s37
	v_subrev_co_u32_e64 v3, s[4:5], s36, v1
	s_cmp_lg_u64 s[4:5], 0
	s_subb_u32 s4, s33, 0
	s_cmp_ge_u32 s4, s37
	v_readfirstlane_b32 s33, v3
	s_cselect_b32 s5, -1, 0
	s_cmp_ge_u32 s33, s36
	s_cselect_b32 s33, -1, 0
	s_cmp_eq_u32 s4, s37
	s_cselect_b32 s4, s33, s5
	s_add_u32 s5, s3, 1
	s_addc_u32 s33, s19, 0
	s_add_u32 s40, s3, 2
	s_addc_u32 s42, s19, 0
	s_cmp_lg_u32 s4, 0
	s_cselect_b32 s4, s40, s5
	s_cselect_b32 s5, s42, s33
	s_cmp_lg_u64 vcc, 0
	s_subb_u32 s23, s41, s23
	s_cmp_ge_u32 s23, s37
	v_readfirstlane_b32 s40, v1
	s_cselect_b32 s33, -1, 0
	s_cmp_ge_u32 s40, s36
	s_cselect_b32 s36, -1, 0
	s_cmp_eq_u32 s23, s37
	s_cselect_b32 s23, s36, s33
	s_cmp_lg_u32 s23, 0
	s_cselect_b32 s5, s5, s19
	s_cselect_b32 s4, s4, s3
	s_xor_b64 s[34:35], s[38:39], s[34:35]
	s_xor_b64 s[4:5], s[4:5], s[34:35]
	s_sub_u32 s4, s4, s34
	s_subb_u32 s5, s5, s35
	s_cbranch_execnz .LBB3_7
.LBB3_6:
	v_cvt_f32_u32_e32 v1, s6
	s_sub_i32 s3, 0, s6
	s_mov_b32 s5, 0
	v_rcp_iflag_f32_e32 v1, v1
	s_nop 0
	v_mul_f32_e32 v1, 0x4f7ffffe, v1
	v_cvt_u32_f32_e32 v1, v1
	s_nop 0
	v_readfirstlane_b32 s4, v1
	s_mul_i32 s3, s3, s4
	s_mul_hi_u32 s3, s4, s3
	s_add_i32 s4, s4, s3
	s_mul_hi_u32 s3, s26, s4
	s_mul_i32 s19, s3, s6
	s_sub_i32 s19, s26, s19
	s_add_i32 s4, s3, 1
	s_sub_i32 s23, s19, s6
	s_cmp_ge_u32 s19, s6
	s_cselect_b32 s3, s4, s3
	s_cselect_b32 s19, s23, s19
	s_add_i32 s4, s3, 1
	s_cmp_ge_u32 s19, s6
	s_cselect_b32 s4, s4, s3
.LBB3_7:
	s_mul_i32 s3, s4, s7
	s_mul_hi_u32 s7, s4, s6
	s_add_i32 s3, s7, s3
	s_mul_i32 s7, s5, s6
	s_add_i32 s3, s3, s7
	s_mul_i32 s6, s4, s6
	s_sub_u32 s33, s26, s6
	s_subb_u32 s3, s27, s3
	v_cmp_gt_i32_e32 vcc, s22, v0
	s_mul_hi_u32 s35, s4, s16
	s_mul_i32 s36, s5, s16
	s_mul_i32 s26, s4, s16
	s_mul_hi_u32 s34, s33, s17
	s_mul_i32 s5, s3, s17
	s_mul_i32 s6, s33, s17
	s_and_saveexec_b64 s[30:31], vcc
	s_cbranch_execz .LBB3_10
; %bb.8:
	s_load_dword s3, s[0:1], 0x8c
	s_ashr_i32 s23, s22, 31
	s_ashr_i32 s7, s16, 31
	;; [unrolled: 1-line block ×4, first 2 shown]
	s_waitcnt lgkmcnt(0)
	s_and_b32 s3, s3, 0xffff
	s_lshl_b64 s[38:39], s[28:29], 1
	s_add_u32 s24, s24, s38
	v_mov_b32_e32 v3, 0
	s_addc_u32 s25, s25, s39
	v_lshl_add_u64 v[4:5], s[24:25], 0, v[2:3]
	s_lshl_b64 s[24:25], s[22:23], 1
	s_mul_i32 s9, s9, s2
	s_mul_hi_u32 s23, s8, s2
	s_add_i32 s9, s23, s9
	s_mul_i32 s8, s8, s2
	s_lshl_b32 s28, s3, 1
	s_lshl_b64 s[8:9], s[8:9], 2
	s_add_u32 s8, s12, s8
	s_mul_i32 s7, s4, s7
	s_addc_u32 s9, s13, s9
	s_add_i32 s7, s35, s7
	s_add_i32 s27, s7, s36
	s_mul_i32 s7, s33, s37
	s_add_i32 s7, s34, s7
	v_lshlrev_b32_e32 v2, 3, v0
	s_add_i32 s7, s7, s5
	v_lshl_add_u64 v[6:7], s[8:9], 0, v[2:3]
	s_lshl_b32 s23, s3, 3
	s_lshl_b64 s[8:9], s[26:27], 2
	s_lshl_b64 s[12:13], s[6:7], 2
	s_add_u32 s7, s8, s12
	s_addc_u32 s12, s9, s13
	s_lshl_b64 s[8:9], s[18:19], 2
	s_add_u32 s8, s20, s8
	s_addc_u32 s9, s21, s9
	s_add_u32 s8, s8, s7
	s_addc_u32 s9, s9, s12
	s_mov_b32 s29, 0
	v_lshl_add_u64 v[2:3], s[8:9], 0, v[2:3]
	s_mov_b64 s[8:9], 0
	s_mov_b64 s[12:13], 0
	v_mov_b32_e32 v1, v0
.LBB3_9:                                ; =>This Inner Loop Header: Depth=1
	v_lshl_add_u64 v[8:9], v[4:5], 0, s[24:25]
	global_load_ushort v15, v[4:5], off
	global_load_ushort v14, v[8:9], off
	v_lshl_add_u64 v[8:9], v[6:7], 0, s[12:13]
	global_load_dwordx2 v[10:11], v[8:9], off
	v_lshl_add_u64 v[12:13], v[2:3], 0, s[12:13]
	v_add_u32_e32 v1, s3, v1
	s_add_u32 s12, s12, s23
	s_addc_u32 s13, s13, 0
	v_cmp_le_i32_e32 vcc, s22, v1
	v_lshl_add_u64 v[4:5], v[4:5], 0, s[28:29]
	s_or_b64 s[8:9], vcc, s[8:9]
	s_waitcnt vmcnt(2)
	v_cvt_f32_f16_e32 v16, v15
	s_waitcnt vmcnt(1)
	v_cvt_f32_f16_e32 v14, v14
	s_waitcnt vmcnt(0)
	v_pk_mul_f32 v[14:15], v[10:11], v[14:15] op_sel_hi:[1,0]
	s_nop 0
	v_pk_fma_f32 v[18:19], v[10:11], v[16:17], v[14:15] op_sel:[0,0,1] op_sel_hi:[1,1,0] neg_lo:[0,0,1] neg_hi:[0,0,1]
	v_pk_fma_f32 v[10:11], v[10:11], v[16:17], v[14:15] op_sel:[0,0,1] op_sel_hi:[1,0,0]
	s_nop 0
	v_mov_b32_e32 v19, v11
	global_store_dwordx2 v[8:9], v[18:19], off
	global_store_dwordx2 v[12:13], v[18:19], off
	s_andn2_b64 exec, exec, s[8:9]
	s_cbranch_execnz .LBB3_9
.LBB3_10:
	s_or_b64 exec, exec, s[30:31]
	v_cmp_gt_i32_e32 vcc, s18, v0
	s_and_saveexec_b64 s[8:9], vcc
	s_cbranch_execz .LBB3_13
; %bb.11:
	s_mul_i32 s3, s2, s11
	s_mul_hi_u32 s7, s2, s10
	s_add_i32 s3, s7, s3
	s_mul_i32 s2, s2, s10
	s_lshl_b64 s[2:3], s[2:3], 2
	s_add_u32 s2, s14, s2
	s_addc_u32 s3, s15, s3
	s_ashr_i32 s7, s16, 31
	s_mul_i32 s4, s4, s7
	s_add_i32 s4, s35, s4
	s_add_i32 s27, s4, s36
	s_lshl_b64 s[8:9], s[26:27], 2
	s_add_u32 s4, s20, s8
	s_addc_u32 s8, s21, s9
	s_ashr_i32 s7, s17, 31
	s_mul_i32 s33, s33, s7
	s_load_dword s9, s[0:1], 0x8c
	s_add_i32 s7, s34, s33
	s_add_i32 s7, s7, s5
	s_lshl_b64 s[0:1], s[6:7], 2
	s_add_u32 s0, s4, s0
	s_addc_u32 s1, s8, s1
	s_waitcnt lgkmcnt(0)
	s_and_b32 s6, s9, 0xffff
	s_mov_b64 s[4:5], 0
.LBB3_12:                               ; =>This Inner Loop Header: Depth=1
	v_ashrrev_i32_e32 v1, 31, v0
	v_lshlrev_b64 v[2:3], 2, v[0:1]
	v_lshl_add_u64 v[4:5], s[2:3], 0, v[2:3]
	global_load_dword v1, v[4:5], off
	v_add_u32_e32 v0, s6, v0
	v_cmp_le_i32_e32 vcc, s18, v0
	v_lshl_add_u64 v[2:3], s[0:1], 0, v[2:3]
	s_or_b64 s[4:5], vcc, s[4:5]
	s_waitcnt vmcnt(0)
	global_store_dword v[2:3], v1, off
	s_andn2_b64 exec, exec, s[4:5]
	s_cbranch_execnz .LBB3_12
.LBB3_13:
	s_endpgm
.LBB3_14:
                                        ; implicit-def: $sgpr4_sgpr5
	s_branch .LBB3_6
	.section	.rodata,"a",@progbits
	.p2align	6, 0x0
	.amdhsa_kernel _ZN4vllm38concat_and_cache_mla_rope_fused_kernelIfN3c104HalfELb0EffLNS_18Fp8KVCacheDataTypeE0EEEvPKlPT_S7_PKS6_PKT0_illlliPT3_S5_iiiiPKf
		.amdhsa_group_segment_fixed_size 0
		.amdhsa_private_segment_fixed_size 0
		.amdhsa_kernarg_size 384
		.amdhsa_user_sgpr_count 2
		.amdhsa_user_sgpr_dispatch_ptr 0
		.amdhsa_user_sgpr_queue_ptr 0
		.amdhsa_user_sgpr_kernarg_segment_ptr 1
		.amdhsa_user_sgpr_dispatch_id 0
		.amdhsa_user_sgpr_kernarg_preload_length 0
		.amdhsa_user_sgpr_kernarg_preload_offset 0
		.amdhsa_user_sgpr_private_segment_size 0
		.amdhsa_uses_dynamic_stack 0
		.amdhsa_enable_private_segment 0
		.amdhsa_system_sgpr_workgroup_id_x 1
		.amdhsa_system_sgpr_workgroup_id_y 0
		.amdhsa_system_sgpr_workgroup_id_z 0
		.amdhsa_system_sgpr_workgroup_info 0
		.amdhsa_system_vgpr_workitem_id 0
		.amdhsa_next_free_vgpr 20
		.amdhsa_next_free_sgpr 43
		.amdhsa_accum_offset 20
		.amdhsa_reserve_vcc 1
		.amdhsa_float_round_mode_32 0
		.amdhsa_float_round_mode_16_64 0
		.amdhsa_float_denorm_mode_32 3
		.amdhsa_float_denorm_mode_16_64 3
		.amdhsa_dx10_clamp 1
		.amdhsa_ieee_mode 1
		.amdhsa_fp16_overflow 0
		.amdhsa_tg_split 0
		.amdhsa_exception_fp_ieee_invalid_op 0
		.amdhsa_exception_fp_denorm_src 0
		.amdhsa_exception_fp_ieee_div_zero 0
		.amdhsa_exception_fp_ieee_overflow 0
		.amdhsa_exception_fp_ieee_underflow 0
		.amdhsa_exception_fp_ieee_inexact 0
		.amdhsa_exception_int_div_zero 0
	.end_amdhsa_kernel
	.section	.text._ZN4vllm38concat_and_cache_mla_rope_fused_kernelIfN3c104HalfELb0EffLNS_18Fp8KVCacheDataTypeE0EEEvPKlPT_S7_PKS6_PKT0_illlliPT3_S5_iiiiPKf,"axG",@progbits,_ZN4vllm38concat_and_cache_mla_rope_fused_kernelIfN3c104HalfELb0EffLNS_18Fp8KVCacheDataTypeE0EEEvPKlPT_S7_PKS6_PKT0_illlliPT3_S5_iiiiPKf,comdat
.Lfunc_end3:
	.size	_ZN4vllm38concat_and_cache_mla_rope_fused_kernelIfN3c104HalfELb0EffLNS_18Fp8KVCacheDataTypeE0EEEvPKlPT_S7_PKS6_PKT0_illlliPT3_S5_iiiiPKf, .Lfunc_end3-_ZN4vllm38concat_and_cache_mla_rope_fused_kernelIfN3c104HalfELb0EffLNS_18Fp8KVCacheDataTypeE0EEEvPKlPT_S7_PKS6_PKT0_illlliPT3_S5_iiiiPKf
                                        ; -- End function
	.section	.AMDGPU.csdata,"",@progbits
; Kernel info:
; codeLenInByte = 1920
; NumSgprs: 49
; NumVgprs: 20
; NumAgprs: 0
; TotalNumVgprs: 20
; ScratchSize: 0
; MemoryBound: 0
; FloatMode: 240
; IeeeMode: 1
; LDSByteSize: 0 bytes/workgroup (compile time only)
; SGPRBlocks: 6
; VGPRBlocks: 2
; NumSGPRsForWavesPerEU: 49
; NumVGPRsForWavesPerEU: 20
; AccumOffset: 20
; Occupancy: 8
; WaveLimiterHint : 1
; COMPUTE_PGM_RSRC2:SCRATCH_EN: 0
; COMPUTE_PGM_RSRC2:USER_SGPR: 2
; COMPUTE_PGM_RSRC2:TRAP_HANDLER: 0
; COMPUTE_PGM_RSRC2:TGID_X_EN: 1
; COMPUTE_PGM_RSRC2:TGID_Y_EN: 0
; COMPUTE_PGM_RSRC2:TGID_Z_EN: 0
; COMPUTE_PGM_RSRC2:TIDIG_COMP_CNT: 0
; COMPUTE_PGM_RSRC3_GFX90A:ACCUM_OFFSET: 4
; COMPUTE_PGM_RSRC3_GFX90A:TG_SPLIT: 0
	.section	.text._ZN4vllm38concat_and_cache_mla_rope_fused_kernelIfN3c108BFloat16ELb1EffLNS_18Fp8KVCacheDataTypeE0EEEvPKlPT_S7_PKS6_PKT0_illlliPT3_S5_iiiiPKf,"axG",@progbits,_ZN4vllm38concat_and_cache_mla_rope_fused_kernelIfN3c108BFloat16ELb1EffLNS_18Fp8KVCacheDataTypeE0EEEvPKlPT_S7_PKS6_PKT0_illlliPT3_S5_iiiiPKf,comdat
	.protected	_ZN4vllm38concat_and_cache_mla_rope_fused_kernelIfN3c108BFloat16ELb1EffLNS_18Fp8KVCacheDataTypeE0EEEvPKlPT_S7_PKS6_PKT0_illlliPT3_S5_iiiiPKf ; -- Begin function _ZN4vllm38concat_and_cache_mla_rope_fused_kernelIfN3c108BFloat16ELb1EffLNS_18Fp8KVCacheDataTypeE0EEEvPKlPT_S7_PKS6_PKT0_illlliPT3_S5_iiiiPKf
	.globl	_ZN4vllm38concat_and_cache_mla_rope_fused_kernelIfN3c108BFloat16ELb1EffLNS_18Fp8KVCacheDataTypeE0EEEvPKlPT_S7_PKS6_PKT0_illlliPT3_S5_iiiiPKf
	.p2align	8
	.type	_ZN4vllm38concat_and_cache_mla_rope_fused_kernelIfN3c108BFloat16ELb1EffLNS_18Fp8KVCacheDataTypeE0EEEvPKlPT_S7_PKS6_PKT0_illlliPT3_S5_iiiiPKf,@function
_ZN4vllm38concat_and_cache_mla_rope_fused_kernelIfN3c108BFloat16ELb1EffLNS_18Fp8KVCacheDataTypeE0EEEvPKlPT_S7_PKS6_PKT0_illlliPT3_S5_iiiiPKf: ; @_ZN4vllm38concat_and_cache_mla_rope_fused_kernelIfN3c108BFloat16ELb1EffLNS_18Fp8KVCacheDataTypeE0EEEvPKlPT_S7_PKS6_PKT0_illlliPT3_S5_iiiiPKf
; %bb.0:
	s_load_dwordx2 s[6:7], s[0:1], 0x60
	s_mov_b32 s3, 0
	s_lshl_b64 s[4:5], s[2:3], 3
	s_waitcnt lgkmcnt(0)
	s_add_u32 s6, s6, s4
	s_addc_u32 s7, s7, s5
	s_load_dwordx2 s[28:29], s[6:7], 0x0
	s_waitcnt lgkmcnt(0)
	v_cmp_lt_i64_e64 s[6:7], s[28:29], 0
	s_and_b64 vcc, exec, s[6:7]
	s_cbranch_vccnz .LBB4_13
; %bb.1:
	s_load_dword s3, s[0:1], 0x28
	s_load_dwordx2 s[6:7], s[0:1], 0x0
	s_load_dwordx4 s[12:15], s[0:1], 0x10
	s_waitcnt lgkmcnt(0)
	s_ashr_i32 s22, s3, 31
	s_add_u32 s16, s6, s4
	s_addc_u32 s17, s7, s5
	s_load_dwordx2 s[18:19], s[16:17], 0x0
	s_load_dwordx2 s[24:25], s[0:1], 0x20
	s_load_dwordx8 s[4:11], s[0:1], 0x30
	s_load_dwordx2 s[20:21], s[0:1], 0x58
	s_load_dword s23, s[0:1], 0x50
	s_waitcnt lgkmcnt(0)
	s_mul_i32 s16, s18, s22
	s_mul_hi_u32 s17, s18, s3
	s_mul_i32 s19, s19, s3
	s_add_i32 s16, s17, s16
	s_add_i32 s27, s16, s19
	s_lshr_b32 s16, s3, 31
	s_mul_i32 s26, s18, s3
	s_add_i32 s3, s3, s16
	s_ashr_i32 s22, s3, 1
	s_mul_i32 s3, s22, s23
	v_cmp_gt_i32_e32 vcc, s3, v0
	s_and_saveexec_b64 s[16:17], vcc
	s_cbranch_execz .LBB4_4
; %bb.2:
	s_load_dwordx2 s[30:31], s[0:1], 0x8
	s_load_dword s34, s[0:1], 0x8c
	s_lshl_b64 s[18:19], s[26:27], 1
	s_add_u32 s18, s24, s18
	s_mul_i32 s5, s2, s5
	s_mul_hi_u32 s33, s2, s4
	s_addc_u32 s19, s25, s19
	s_add_i32 s5, s33, s5
	s_mul_i32 s4, s2, s4
	s_ashr_i32 s23, s22, 31
	s_lshl_b64 s[4:5], s[4:5], 2
	s_waitcnt lgkmcnt(0)
	s_add_u32 s4, s30, s4
	s_addc_u32 s5, s31, s5
	s_abs_i32 s33, s22
	v_cvt_f32_u32_e32 v1, s33
	s_sub_i32 s30, 0, s33
	s_and_b32 s34, s34, 0xffff
	s_sub_i32 s35, 0, s22
	v_rcp_iflag_f32_e32 v1, v1
	s_nop 0
	v_mul_f32_e32 v1, 0x4f7ffffe, v1
	v_cvt_u32_f32_e32 v1, v1
	v_mul_lo_u32 v2, s30, v1
	v_mul_hi_u32 v2, v1, v2
	v_add_u32_e32 v1, v1, v2
	s_mov_b64 s[30:31], 0
	v_mov_b32_e32 v2, v0
.LBB4_3:                                ; =>This Inner Loop Header: Depth=1
	v_sub_u32_e32 v4, 0, v2
	v_max_i32_e32 v4, v2, v4
	v_mul_hi_u32 v5, v4, v1
	v_mul_lo_u32 v6, v5, s33
	v_sub_u32_e32 v4, v4, v6
	v_add_u32_e32 v7, 1, v5
	v_cmp_le_u32_e32 vcc, s33, v4
	v_subrev_u32_e32 v6, s33, v4
	v_ashrrev_i32_e32 v3, 31, v2
	v_cndmask_b32_e32 v5, v5, v7, vcc
	v_cndmask_b32_e32 v4, v4, v6, vcc
	v_add_u32_e32 v6, 1, v5
	v_cmp_le_u32_e32 vcc, s33, v4
	v_xor_b32_e32 v3, s23, v3
	s_nop 0
	v_cndmask_b32_e32 v4, v5, v6, vcc
	v_xor_b32_e32 v4, v4, v3
	v_sub_u32_e32 v3, v4, v3
	v_ashrrev_i32_e32 v8, 31, v3
	v_mad_u64_u32 v[4:5], s[36:37], s35, v3, v[2:3]
	v_mul_lo_u32 v10, v3, s7
	v_mad_u64_u32 v[6:7], s[36:37], v3, s6, 0
	v_mul_lo_u32 v3, v8, s6
	v_ashrrev_i32_e32 v5, 31, v4
	v_add3_u32 v7, v7, v10, v3
	v_lshl_add_u64 v[8:9], v[4:5], 1, s[18:19]
	v_lshl_add_u64 v[6:7], v[6:7], 2, s[4:5]
	v_lshl_add_u64 v[10:11], s[22:23], 1, v[8:9]
	global_load_ushort v3, v[8:9], off
	global_load_ushort v12, v[10:11], off
	v_lshl_add_u64 v[4:5], v[4:5], 2, v[6:7]
	v_lshl_add_u64 v[6:7], s[22:23], 2, v[4:5]
	global_load_dword v8, v[4:5], off
	global_load_dword v9, v[6:7], off
	v_add_u32_e32 v2, s34, v2
	v_cmp_le_i32_e32 vcc, s3, v2
	s_or_b64 s[30:31], vcc, s[30:31]
	s_waitcnt vmcnt(3)
	v_lshlrev_b32_e32 v3, 16, v3
	s_waitcnt vmcnt(2)
	v_lshlrev_b32_e32 v10, 16, v12
	s_waitcnt vmcnt(1)
	v_mul_f32_e32 v11, v8, v10
	s_waitcnt vmcnt(0)
	v_mul_f32_e32 v10, v9, v10
	v_fmac_f32_e32 v11, v9, v3
	v_fma_f32 v3, v8, v3, -v10
	global_store_dword v[4:5], v3, off
	global_store_dword v[6:7], v11, off
	s_andn2_b64 exec, exec, s[30:31]
	s_cbranch_execnz .LBB4_3
.LBB4_4:
	s_or_b64 exec, exec, s[16:17]
	s_load_dwordx4 s[16:19], s[0:1], 0x68
	s_waitcnt lgkmcnt(0)
	s_ashr_i32 s7, s19, 31
	s_mov_b32 s6, s19
	s_or_b64 s[4:5], s[28:29], s[6:7]
	s_mov_b32 s4, 0
	s_cmp_lg_u64 s[4:5], 0
	s_cbranch_scc0 .LBB4_14
; %bb.5:
	s_add_u32 s4, s6, s7
	s_mov_b32 s34, s7
	s_mov_b32 s35, s7
	s_addc_u32 s5, s7, s7
	s_xor_b64 s[36:37], s[4:5], s[34:35]
	v_cvt_f32_u32_e32 v1, s36
	v_cvt_f32_u32_e32 v2, s37
	s_sub_u32 s3, 0, s36
	s_subb_u32 s4, 0, s37
	v_fmamk_f32 v1, v2, 0x4f800000, v1
	v_rcp_f32_e32 v1, v1
	s_nop 0
	v_mul_f32_e32 v1, 0x5f7ffffc, v1
	v_mul_f32_e32 v2, 0x2f800000, v1
	v_trunc_f32_e32 v2, v2
	v_fmamk_f32 v1, v2, 0xcf800000, v1
	v_cvt_u32_f32_e32 v2, v2
	v_cvt_u32_f32_e32 v1, v1
	v_readfirstlane_b32 s5, v2
	v_readfirstlane_b32 s19, v1
	s_mul_i32 s23, s3, s5
	s_mul_hi_u32 s38, s3, s19
	s_mul_i32 s33, s4, s19
	s_add_i32 s23, s38, s23
	s_add_i32 s23, s23, s33
	s_mul_i32 s39, s3, s19
	s_mul_hi_u32 s33, s19, s23
	s_mul_i32 s38, s19, s23
	s_mul_hi_u32 s19, s19, s39
	s_add_u32 s19, s19, s38
	s_addc_u32 s33, 0, s33
	s_mul_hi_u32 s40, s5, s39
	s_mul_i32 s39, s5, s39
	s_add_u32 s19, s19, s39
	s_mul_hi_u32 s38, s5, s23
	s_addc_u32 s19, s33, s40
	s_addc_u32 s33, s38, 0
	s_mul_i32 s23, s5, s23
	s_add_u32 s19, s19, s23
	s_addc_u32 s23, 0, s33
	v_add_co_u32_e32 v1, vcc, s19, v1
	s_cmp_lg_u64 vcc, 0
	s_addc_u32 s5, s5, s23
	v_readfirstlane_b32 s23, v1
	s_mul_i32 s19, s3, s5
	s_mul_hi_u32 s33, s3, s23
	s_add_i32 s19, s33, s19
	s_mul_i32 s4, s4, s23
	s_add_i32 s19, s19, s4
	s_mul_i32 s3, s3, s23
	s_mul_hi_u32 s33, s5, s3
	s_mul_i32 s38, s5, s3
	s_mul_i32 s40, s23, s19
	s_mul_hi_u32 s3, s23, s3
	s_mul_hi_u32 s39, s23, s19
	s_add_u32 s3, s3, s40
	s_addc_u32 s23, 0, s39
	s_add_u32 s3, s3, s38
	s_mul_hi_u32 s4, s5, s19
	s_addc_u32 s3, s23, s33
	s_addc_u32 s4, s4, 0
	s_mul_i32 s19, s5, s19
	s_add_u32 s3, s3, s19
	s_addc_u32 s4, 0, s4
	v_add_co_u32_e32 v1, vcc, s3, v1
	s_cmp_lg_u64 vcc, 0
	s_addc_u32 s3, s5, s4
	s_ashr_i32 s38, s29, 31
	s_add_u32 s4, s28, s38
	s_mov_b32 s39, s38
	s_addc_u32 s5, s29, s38
	s_xor_b64 s[40:41], s[4:5], s[38:39]
	v_readfirstlane_b32 s19, v1
	s_mul_i32 s5, s40, s3
	s_mul_hi_u32 s23, s40, s19
	s_mul_hi_u32 s4, s40, s3
	s_add_u32 s5, s23, s5
	s_addc_u32 s4, 0, s4
	s_mul_hi_u32 s33, s41, s19
	s_mul_i32 s19, s41, s19
	s_add_u32 s5, s5, s19
	s_mul_hi_u32 s23, s41, s3
	s_addc_u32 s4, s4, s33
	s_addc_u32 s5, s23, 0
	s_mul_i32 s3, s41, s3
	s_add_u32 s3, s4, s3
	s_addc_u32 s19, 0, s5
	s_mul_i32 s4, s36, s19
	s_mul_hi_u32 s5, s36, s3
	s_add_i32 s4, s5, s4
	s_mul_i32 s5, s37, s3
	s_add_i32 s23, s4, s5
	s_mul_i32 s5, s36, s3
	v_mov_b32_e32 v1, s5
	s_sub_i32 s4, s41, s23
	v_sub_co_u32_e32 v1, vcc, s40, v1
	s_cmp_lg_u64 vcc, 0
	s_subb_u32 s33, s4, s37
	v_subrev_co_u32_e64 v2, s[4:5], s36, v1
	s_cmp_lg_u64 s[4:5], 0
	s_subb_u32 s4, s33, 0
	s_cmp_ge_u32 s4, s37
	v_readfirstlane_b32 s33, v2
	s_cselect_b32 s5, -1, 0
	s_cmp_ge_u32 s33, s36
	s_cselect_b32 s33, -1, 0
	s_cmp_eq_u32 s4, s37
	s_cselect_b32 s4, s33, s5
	s_add_u32 s5, s3, 1
	s_addc_u32 s33, s19, 0
	s_add_u32 s40, s3, 2
	s_addc_u32 s42, s19, 0
	s_cmp_lg_u32 s4, 0
	s_cselect_b32 s4, s40, s5
	s_cselect_b32 s5, s42, s33
	s_cmp_lg_u64 vcc, 0
	s_subb_u32 s23, s41, s23
	s_cmp_ge_u32 s23, s37
	v_readfirstlane_b32 s40, v1
	s_cselect_b32 s33, -1, 0
	s_cmp_ge_u32 s40, s36
	s_cselect_b32 s36, -1, 0
	s_cmp_eq_u32 s23, s37
	s_cselect_b32 s23, s36, s33
	s_cmp_lg_u32 s23, 0
	s_cselect_b32 s5, s5, s19
	s_cselect_b32 s4, s4, s3
	s_xor_b64 s[34:35], s[38:39], s[34:35]
	s_xor_b64 s[4:5], s[4:5], s[34:35]
	s_sub_u32 s4, s4, s34
	s_subb_u32 s5, s5, s35
	s_cbranch_execnz .LBB4_7
.LBB4_6:
	v_cvt_f32_u32_e32 v1, s6
	s_sub_i32 s3, 0, s6
	s_mov_b32 s5, 0
	v_rcp_iflag_f32_e32 v1, v1
	s_nop 0
	v_mul_f32_e32 v1, 0x4f7ffffe, v1
	v_cvt_u32_f32_e32 v1, v1
	s_nop 0
	v_readfirstlane_b32 s4, v1
	s_mul_i32 s3, s3, s4
	s_mul_hi_u32 s3, s4, s3
	s_add_i32 s4, s4, s3
	s_mul_hi_u32 s3, s28, s4
	s_mul_i32 s19, s3, s6
	s_sub_i32 s19, s28, s19
	s_add_i32 s4, s3, 1
	s_sub_i32 s23, s19, s6
	s_cmp_ge_u32 s19, s6
	s_cselect_b32 s3, s4, s3
	s_cselect_b32 s19, s23, s19
	s_add_i32 s4, s3, 1
	s_cmp_ge_u32 s19, s6
	s_cselect_b32 s4, s4, s3
.LBB4_7:
	s_mul_i32 s3, s4, s7
	s_mul_hi_u32 s7, s4, s6
	s_add_i32 s3, s7, s3
	s_mul_i32 s7, s5, s6
	s_add_i32 s3, s3, s7
	s_mul_i32 s6, s4, s6
	s_sub_u32 s33, s28, s6
	s_subb_u32 s3, s29, s3
	v_cmp_gt_i32_e32 vcc, s22, v0
	s_mul_hi_u32 s41, s4, s16
	s_mul_i32 s42, s5, s16
	s_mul_i32 s28, s4, s16
	s_mul_hi_u32 s40, s33, s17
	s_mul_i32 s5, s3, s17
	s_mul_i32 s6, s33, s17
	s_and_saveexec_b64 s[30:31], vcc
	s_cbranch_execz .LBB4_10
; %bb.8:
	s_mul_i32 s3, s2, s9
	s_mul_hi_u32 s7, s2, s8
	s_add_i32 s9, s7, s3
	s_mul_i32 s8, s2, s8
	s_ashr_i32 s23, s22, 31
	s_lshl_b64 s[36:37], s[8:9], 2
	s_add_u32 s8, s12, s36
	s_addc_u32 s9, s13, s37
	s_ashr_i32 s3, s16, 31
	s_mul_i32 s3, s4, s3
	s_add_i32 s3, s41, s3
	s_add_i32 s29, s3, s42
	s_ashr_i32 s3, s17, 31
	s_mul_i32 s3, s33, s3
	s_add_i32 s3, s40, s3
	s_add_i32 s7, s3, s5
	s_lshl_b64 s[34:35], s[28:29], 2
	s_lshl_b64 s[38:39], s[6:7], 2
	s_add_u32 s29, s34, s38
	s_addc_u32 s43, s35, s39
	s_load_dword s44, s[0:1], 0x8c
	s_add_u32 s3, s29, s20
	s_addc_u32 s7, s43, s21
	s_ashr_i32 s19, s18, 31
	s_lshl_b64 s[38:39], s[18:19], 2
	s_add_u32 s34, s3, s38
	s_addc_u32 s35, s7, s39
	s_waitcnt lgkmcnt(0)
	s_and_b32 s3, s44, 0xffff
	s_lshl_b64 s[44:45], s[26:27], 1
	s_add_u32 s24, s24, s44
	v_lshlrev_b32_e32 v2, 1, v0
	v_mov_b32_e32 v3, 0
	s_addc_u32 s25, s25, s45
	v_lshl_add_u64 v[4:5], s[24:25], 0, v[2:3]
	s_lshl_b32 s26, s3, 1
	s_lshl_b64 s[24:25], s[22:23], 1
	s_lshl_b64 s[44:45], s[22:23], 2
	s_add_u32 s7, s36, s44
	s_addc_u32 s19, s37, s45
	s_add_u32 s12, s12, s7
	s_addc_u32 s13, s13, s19
	s_lshl_b32 s7, s3, 2
	s_add_u32 s19, s29, s44
	s_addc_u32 s23, s43, s45
	s_add_u32 s19, s19, s38
	s_addc_u32 s23, s23, s39
	s_add_u32 s36, s20, s19
	s_mov_b32 s27, 0
	v_lshlrev_b32_e32 v2, 2, v0
	s_addc_u32 s37, s21, s23
	s_mov_b64 s[38:39], 0
	v_mov_b32_e32 v1, v0
.LBB4_9:                                ; =>This Inner Loop Header: Depth=1
	global_load_ushort v14, v[4:5], off
	v_lshl_add_u64 v[6:7], v[4:5], 0, s[24:25]
	v_lshl_add_u64 v[8:9], s[8:9], 0, v[2:3]
	;; [unrolled: 1-line block ×3, first 2 shown]
	global_load_ushort v15, v[6:7], off
	global_load_dword v16, v[10:11], off
	global_load_dword v17, v[8:9], off
	s_add_u32 s12, s12, s7
	s_addc_u32 s13, s13, 0
	s_add_u32 s8, s8, s7
	s_addc_u32 s9, s9, 0
	v_lshl_add_u64 v[12:13], s[36:37], 0, v[2:3]
	s_add_u32 s36, s36, s7
	s_addc_u32 s37, s37, 0
	v_lshl_add_u64 v[6:7], s[34:35], 0, v[2:3]
	v_add_u32_e32 v1, s3, v1
	s_add_u32 s34, s34, s7
	v_cmp_le_i32_e32 vcc, s22, v1
	s_addc_u32 s35, s35, 0
	v_lshl_add_u64 v[4:5], v[4:5], 0, s[26:27]
	s_or_b64 s[38:39], vcc, s[38:39]
	s_waitcnt vmcnt(3)
	v_lshlrev_b32_e32 v14, 16, v14
	s_waitcnt vmcnt(2)
	v_lshlrev_b32_e32 v15, 16, v15
	s_waitcnt vmcnt(1)
	v_mul_f32_e32 v18, v16, v15
	s_waitcnt vmcnt(0)
	v_mul_f32_e32 v15, v17, v15
	v_fma_f32 v17, v17, v14, -v18
	v_fmac_f32_e32 v15, v16, v14
	global_store_dword v[8:9], v17, off
	global_store_dword v[10:11], v15, off
	;; [unrolled: 1-line block ×4, first 2 shown]
	s_andn2_b64 exec, exec, s[38:39]
	s_cbranch_execnz .LBB4_9
.LBB4_10:
	s_or_b64 exec, exec, s[30:31]
	v_cmp_gt_i32_e32 vcc, s18, v0
	s_and_saveexec_b64 s[8:9], vcc
	s_cbranch_execz .LBB4_13
; %bb.11:
	s_mul_i32 s3, s2, s11
	s_mul_hi_u32 s7, s2, s10
	s_add_i32 s3, s7, s3
	s_mul_i32 s2, s2, s10
	s_lshl_b64 s[2:3], s[2:3], 2
	s_add_u32 s2, s14, s2
	s_addc_u32 s3, s15, s3
	s_ashr_i32 s7, s16, 31
	s_mul_i32 s4, s4, s7
	s_add_i32 s4, s41, s4
	s_add_i32 s29, s4, s42
	s_lshl_b64 s[8:9], s[28:29], 2
	s_add_u32 s4, s20, s8
	s_addc_u32 s8, s21, s9
	s_ashr_i32 s7, s17, 31
	s_mul_i32 s33, s33, s7
	s_load_dword s9, s[0:1], 0x8c
	s_add_i32 s7, s40, s33
	s_add_i32 s7, s7, s5
	s_lshl_b64 s[0:1], s[6:7], 2
	s_add_u32 s0, s4, s0
	s_addc_u32 s1, s8, s1
	s_waitcnt lgkmcnt(0)
	s_and_b32 s6, s9, 0xffff
	s_mov_b64 s[4:5], 0
.LBB4_12:                               ; =>This Inner Loop Header: Depth=1
	v_ashrrev_i32_e32 v1, 31, v0
	v_lshlrev_b64 v[2:3], 2, v[0:1]
	v_lshl_add_u64 v[4:5], s[2:3], 0, v[2:3]
	global_load_dword v1, v[4:5], off
	v_add_u32_e32 v0, s6, v0
	v_cmp_le_i32_e32 vcc, s18, v0
	v_lshl_add_u64 v[2:3], s[0:1], 0, v[2:3]
	s_or_b64 s[4:5], vcc, s[4:5]
	s_waitcnt vmcnt(0)
	global_store_dword v[2:3], v1, off
	s_andn2_b64 exec, exec, s[4:5]
	s_cbranch_execnz .LBB4_12
.LBB4_13:
	s_endpgm
.LBB4_14:
                                        ; implicit-def: $sgpr4_sgpr5
	s_branch .LBB4_6
	.section	.rodata,"a",@progbits
	.p2align	6, 0x0
	.amdhsa_kernel _ZN4vllm38concat_and_cache_mla_rope_fused_kernelIfN3c108BFloat16ELb1EffLNS_18Fp8KVCacheDataTypeE0EEEvPKlPT_S7_PKS6_PKT0_illlliPT3_S5_iiiiPKf
		.amdhsa_group_segment_fixed_size 0
		.amdhsa_private_segment_fixed_size 0
		.amdhsa_kernarg_size 384
		.amdhsa_user_sgpr_count 2
		.amdhsa_user_sgpr_dispatch_ptr 0
		.amdhsa_user_sgpr_queue_ptr 0
		.amdhsa_user_sgpr_kernarg_segment_ptr 1
		.amdhsa_user_sgpr_dispatch_id 0
		.amdhsa_user_sgpr_kernarg_preload_length 0
		.amdhsa_user_sgpr_kernarg_preload_offset 0
		.amdhsa_user_sgpr_private_segment_size 0
		.amdhsa_uses_dynamic_stack 0
		.amdhsa_enable_private_segment 0
		.amdhsa_system_sgpr_workgroup_id_x 1
		.amdhsa_system_sgpr_workgroup_id_y 0
		.amdhsa_system_sgpr_workgroup_id_z 0
		.amdhsa_system_sgpr_workgroup_info 0
		.amdhsa_system_vgpr_workitem_id 0
		.amdhsa_next_free_vgpr 19
		.amdhsa_next_free_sgpr 46
		.amdhsa_accum_offset 20
		.amdhsa_reserve_vcc 1
		.amdhsa_float_round_mode_32 0
		.amdhsa_float_round_mode_16_64 0
		.amdhsa_float_denorm_mode_32 3
		.amdhsa_float_denorm_mode_16_64 3
		.amdhsa_dx10_clamp 1
		.amdhsa_ieee_mode 1
		.amdhsa_fp16_overflow 0
		.amdhsa_tg_split 0
		.amdhsa_exception_fp_ieee_invalid_op 0
		.amdhsa_exception_fp_denorm_src 0
		.amdhsa_exception_fp_ieee_div_zero 0
		.amdhsa_exception_fp_ieee_overflow 0
		.amdhsa_exception_fp_ieee_underflow 0
		.amdhsa_exception_fp_ieee_inexact 0
		.amdhsa_exception_int_div_zero 0
	.end_amdhsa_kernel
	.section	.text._ZN4vllm38concat_and_cache_mla_rope_fused_kernelIfN3c108BFloat16ELb1EffLNS_18Fp8KVCacheDataTypeE0EEEvPKlPT_S7_PKS6_PKT0_illlliPT3_S5_iiiiPKf,"axG",@progbits,_ZN4vllm38concat_and_cache_mla_rope_fused_kernelIfN3c108BFloat16ELb1EffLNS_18Fp8KVCacheDataTypeE0EEEvPKlPT_S7_PKS6_PKT0_illlliPT3_S5_iiiiPKf,comdat
.Lfunc_end4:
	.size	_ZN4vllm38concat_and_cache_mla_rope_fused_kernelIfN3c108BFloat16ELb1EffLNS_18Fp8KVCacheDataTypeE0EEEvPKlPT_S7_PKS6_PKT0_illlliPT3_S5_iiiiPKf, .Lfunc_end4-_ZN4vllm38concat_and_cache_mla_rope_fused_kernelIfN3c108BFloat16ELb1EffLNS_18Fp8KVCacheDataTypeE0EEEvPKlPT_S7_PKS6_PKT0_illlliPT3_S5_iiiiPKf
                                        ; -- End function
	.section	.AMDGPU.csdata,"",@progbits
; Kernel info:
; codeLenInByte = 1992
; NumSgprs: 52
; NumVgprs: 19
; NumAgprs: 0
; TotalNumVgprs: 19
; ScratchSize: 0
; MemoryBound: 0
; FloatMode: 240
; IeeeMode: 1
; LDSByteSize: 0 bytes/workgroup (compile time only)
; SGPRBlocks: 6
; VGPRBlocks: 2
; NumSGPRsForWavesPerEU: 52
; NumVGPRsForWavesPerEU: 19
; AccumOffset: 20
; Occupancy: 8
; WaveLimiterHint : 1
; COMPUTE_PGM_RSRC2:SCRATCH_EN: 0
; COMPUTE_PGM_RSRC2:USER_SGPR: 2
; COMPUTE_PGM_RSRC2:TRAP_HANDLER: 0
; COMPUTE_PGM_RSRC2:TGID_X_EN: 1
; COMPUTE_PGM_RSRC2:TGID_Y_EN: 0
; COMPUTE_PGM_RSRC2:TGID_Z_EN: 0
; COMPUTE_PGM_RSRC2:TIDIG_COMP_CNT: 0
; COMPUTE_PGM_RSRC3_GFX90A:ACCUM_OFFSET: 4
; COMPUTE_PGM_RSRC3_GFX90A:TG_SPLIT: 0
	.section	.text._ZN4vllm38concat_and_cache_mla_rope_fused_kernelIfN3c108BFloat16ELb0EffLNS_18Fp8KVCacheDataTypeE0EEEvPKlPT_S7_PKS6_PKT0_illlliPT3_S5_iiiiPKf,"axG",@progbits,_ZN4vllm38concat_and_cache_mla_rope_fused_kernelIfN3c108BFloat16ELb0EffLNS_18Fp8KVCacheDataTypeE0EEEvPKlPT_S7_PKS6_PKT0_illlliPT3_S5_iiiiPKf,comdat
	.protected	_ZN4vllm38concat_and_cache_mla_rope_fused_kernelIfN3c108BFloat16ELb0EffLNS_18Fp8KVCacheDataTypeE0EEEvPKlPT_S7_PKS6_PKT0_illlliPT3_S5_iiiiPKf ; -- Begin function _ZN4vllm38concat_and_cache_mla_rope_fused_kernelIfN3c108BFloat16ELb0EffLNS_18Fp8KVCacheDataTypeE0EEEvPKlPT_S7_PKS6_PKT0_illlliPT3_S5_iiiiPKf
	.globl	_ZN4vllm38concat_and_cache_mla_rope_fused_kernelIfN3c108BFloat16ELb0EffLNS_18Fp8KVCacheDataTypeE0EEEvPKlPT_S7_PKS6_PKT0_illlliPT3_S5_iiiiPKf
	.p2align	8
	.type	_ZN4vllm38concat_and_cache_mla_rope_fused_kernelIfN3c108BFloat16ELb0EffLNS_18Fp8KVCacheDataTypeE0EEEvPKlPT_S7_PKS6_PKT0_illlliPT3_S5_iiiiPKf,@function
_ZN4vllm38concat_and_cache_mla_rope_fused_kernelIfN3c108BFloat16ELb0EffLNS_18Fp8KVCacheDataTypeE0EEEvPKlPT_S7_PKS6_PKT0_illlliPT3_S5_iiiiPKf: ; @_ZN4vllm38concat_and_cache_mla_rope_fused_kernelIfN3c108BFloat16ELb0EffLNS_18Fp8KVCacheDataTypeE0EEEvPKlPT_S7_PKS6_PKT0_illlliPT3_S5_iiiiPKf
; %bb.0:
	s_load_dwordx2 s[6:7], s[0:1], 0x60
	s_mov_b32 s3, 0
	s_lshl_b64 s[4:5], s[2:3], 3
	s_waitcnt lgkmcnt(0)
	s_add_u32 s6, s6, s4
	s_addc_u32 s7, s7, s5
	s_load_dwordx2 s[26:27], s[6:7], 0x0
	s_waitcnt lgkmcnt(0)
	v_cmp_lt_i64_e64 s[6:7], s[26:27], 0
	s_and_b64 vcc, exec, s[6:7]
	s_cbranch_vccnz .LBB5_13
; %bb.1:
	s_load_dword s3, s[0:1], 0x28
	s_load_dwordx2 s[6:7], s[0:1], 0x0
	s_load_dwordx4 s[12:15], s[0:1], 0x10
	v_lshlrev_b32_e32 v2, 1, v0
	s_waitcnt lgkmcnt(0)
	s_ashr_i32 s22, s3, 31
	s_add_u32 s16, s6, s4
	s_addc_u32 s17, s7, s5
	s_load_dwordx2 s[18:19], s[16:17], 0x0
	s_load_dwordx2 s[24:25], s[0:1], 0x20
	s_load_dwordx8 s[4:11], s[0:1], 0x30
	s_load_dwordx2 s[20:21], s[0:1], 0x58
	s_load_dword s23, s[0:1], 0x50
	s_waitcnt lgkmcnt(0)
	s_mul_i32 s16, s18, s22
	s_mul_hi_u32 s17, s18, s3
	s_mul_i32 s19, s19, s3
	s_add_i32 s16, s17, s16
	s_add_i32 s29, s16, s19
	s_lshr_b32 s16, s3, 31
	s_mul_i32 s28, s18, s3
	s_add_i32 s3, s3, s16
	s_ashr_i32 s22, s3, 1
	s_mul_i32 s3, s22, s23
	v_cmp_gt_i32_e32 vcc, s3, v0
	s_and_saveexec_b64 s[16:17], vcc
	s_cbranch_execz .LBB5_4
; %bb.2:
	s_load_dwordx2 s[30:31], s[0:1], 0x8
	s_load_dword s34, s[0:1], 0x8c
	s_lshl_b64 s[18:19], s[28:29], 1
	s_add_u32 s18, s24, s18
	s_mul_i32 s5, s2, s5
	s_mul_hi_u32 s33, s2, s4
	s_addc_u32 s19, s25, s19
	s_add_i32 s5, s33, s5
	s_mul_i32 s4, s2, s4
	s_ashr_i32 s23, s22, 31
	s_lshl_b64 s[4:5], s[4:5], 2
	s_waitcnt lgkmcnt(0)
	s_add_u32 s4, s30, s4
	s_addc_u32 s5, s31, s5
	s_abs_i32 s33, s22
	v_cvt_f32_u32_e32 v1, s33
	s_sub_i32 s30, 0, s33
	s_and_b32 s34, s34, 0xffff
	s_sub_i32 s35, 0, s22
	v_rcp_iflag_f32_e32 v1, v1
	s_lshl_b32 s37, s34, 1
	v_mov_b32_e32 v4, v2
	v_mov_b32_e32 v6, v0
	v_mul_f32_e32 v1, 0x4f7ffffe, v1
	v_cvt_u32_f32_e32 v1, v1
	v_mul_lo_u32 v3, s30, v1
	v_mul_hi_u32 v3, v1, v3
	s_lshl_b32 s30, s22, 1
	v_add_u32_e32 v1, v1, v3
	s_sub_i32 s36, 0, s30
	s_mov_b64 s[30:31], 0
.LBB5_3:                                ; =>This Inner Loop Header: Depth=1
	v_sub_u32_e32 v5, 0, v6
	v_max_i32_e32 v5, v6, v5
	v_mul_hi_u32 v7, v5, v1
	v_mul_lo_u32 v8, v7, s33
	v_sub_u32_e32 v5, v5, v8
	v_add_u32_e32 v9, 1, v7
	v_cmp_le_u32_e32 vcc, s33, v5
	v_subrev_u32_e32 v8, s33, v5
	v_ashrrev_i32_e32 v3, 31, v6
	v_cndmask_b32_e32 v7, v7, v9, vcc
	v_cndmask_b32_e32 v5, v5, v8, vcc
	v_add_u32_e32 v8, 1, v7
	v_cmp_le_u32_e32 vcc, s33, v5
	v_xor_b32_e32 v3, s23, v3
	s_nop 0
	v_cndmask_b32_e32 v5, v7, v8, vcc
	v_xor_b32_e32 v5, v5, v3
	v_sub_u32_e32 v3, v5, v3
	v_ashrrev_i32_e32 v5, 31, v3
	v_mad_u64_u32 v[8:9], s[38:39], s35, v3, v[6:7]
	v_mul_lo_u32 v7, v3, s7
	v_mad_u64_u32 v[10:11], s[38:39], v3, s6, 0
	v_mad_u64_u32 v[12:13], s[38:39], s36, v3, v[4:5]
	v_mul_lo_u32 v3, v5, s6
	v_ashrrev_i32_e32 v9, 31, v8
	v_add3_u32 v11, v11, v7, v3
	v_ashrrev_i32_e32 v13, 31, v12
	v_lshl_add_u64 v[8:9], v[8:9], 1, s[18:19]
	v_lshl_add_u64 v[10:11], v[10:11], 2, s[4:5]
	;; [unrolled: 1-line block ×3, first 2 shown]
	global_load_ushort v3, v[8:9], off
	global_load_ushort v5, v[14:15], off
	v_lshl_add_u64 v[8:9], v[12:13], 2, v[10:11]
	global_load_dwordx2 v[10:11], v[8:9], off
	v_add_u32_e32 v6, s34, v6
	v_cmp_le_i32_e32 vcc, s3, v6
	v_add_u32_e32 v4, s37, v4
	s_or_b64 s[30:31], vcc, s[30:31]
	s_waitcnt vmcnt(2)
	v_lshlrev_b32_e32 v3, 16, v3
	s_waitcnt vmcnt(1)
	v_lshlrev_b32_e32 v5, 16, v5
	s_waitcnt vmcnt(0)
	v_mul_f32_e32 v7, v11, v5
	v_mul_f32_e32 v13, v10, v5
	v_fma_f32 v12, v10, v3, -v7
	v_fmac_f32_e32 v13, v11, v3
	global_store_dwordx2 v[8:9], v[12:13], off
	s_andn2_b64 exec, exec, s[30:31]
	s_cbranch_execnz .LBB5_3
.LBB5_4:
	s_or_b64 exec, exec, s[16:17]
	s_load_dwordx4 s[16:19], s[0:1], 0x68
	s_waitcnt lgkmcnt(0)
	s_ashr_i32 s7, s19, 31
	s_mov_b32 s6, s19
	s_or_b64 s[4:5], s[26:27], s[6:7]
	s_mov_b32 s4, 0
	s_cmp_lg_u64 s[4:5], 0
	s_cbranch_scc0 .LBB5_14
; %bb.5:
	s_add_u32 s4, s6, s7
	s_mov_b32 s34, s7
	s_mov_b32 s35, s7
	s_addc_u32 s5, s7, s7
	s_xor_b64 s[36:37], s[4:5], s[34:35]
	v_cvt_f32_u32_e32 v1, s36
	v_cvt_f32_u32_e32 v3, s37
	s_sub_u32 s3, 0, s36
	s_subb_u32 s4, 0, s37
	v_fmamk_f32 v1, v3, 0x4f800000, v1
	v_rcp_f32_e32 v1, v1
	s_nop 0
	v_mul_f32_e32 v1, 0x5f7ffffc, v1
	v_mul_f32_e32 v3, 0x2f800000, v1
	v_trunc_f32_e32 v3, v3
	v_fmamk_f32 v1, v3, 0xcf800000, v1
	v_cvt_u32_f32_e32 v3, v3
	v_cvt_u32_f32_e32 v1, v1
	v_readfirstlane_b32 s5, v3
	v_readfirstlane_b32 s19, v1
	s_mul_i32 s23, s3, s5
	s_mul_hi_u32 s38, s3, s19
	s_mul_i32 s33, s4, s19
	s_add_i32 s23, s38, s23
	s_add_i32 s23, s23, s33
	s_mul_i32 s39, s3, s19
	s_mul_hi_u32 s33, s19, s23
	s_mul_i32 s38, s19, s23
	s_mul_hi_u32 s19, s19, s39
	s_add_u32 s19, s19, s38
	s_addc_u32 s33, 0, s33
	s_mul_hi_u32 s40, s5, s39
	s_mul_i32 s39, s5, s39
	s_add_u32 s19, s19, s39
	s_mul_hi_u32 s38, s5, s23
	s_addc_u32 s19, s33, s40
	s_addc_u32 s33, s38, 0
	s_mul_i32 s23, s5, s23
	s_add_u32 s19, s19, s23
	s_addc_u32 s23, 0, s33
	v_add_co_u32_e32 v1, vcc, s19, v1
	s_cmp_lg_u64 vcc, 0
	s_addc_u32 s5, s5, s23
	v_readfirstlane_b32 s23, v1
	s_mul_i32 s19, s3, s5
	s_mul_hi_u32 s33, s3, s23
	s_add_i32 s19, s33, s19
	s_mul_i32 s4, s4, s23
	s_add_i32 s19, s19, s4
	s_mul_i32 s3, s3, s23
	s_mul_hi_u32 s33, s5, s3
	s_mul_i32 s38, s5, s3
	s_mul_i32 s40, s23, s19
	s_mul_hi_u32 s3, s23, s3
	s_mul_hi_u32 s39, s23, s19
	s_add_u32 s3, s3, s40
	s_addc_u32 s23, 0, s39
	s_add_u32 s3, s3, s38
	s_mul_hi_u32 s4, s5, s19
	s_addc_u32 s3, s23, s33
	s_addc_u32 s4, s4, 0
	s_mul_i32 s19, s5, s19
	s_add_u32 s3, s3, s19
	s_addc_u32 s4, 0, s4
	v_add_co_u32_e32 v1, vcc, s3, v1
	s_cmp_lg_u64 vcc, 0
	s_addc_u32 s3, s5, s4
	s_ashr_i32 s38, s27, 31
	s_add_u32 s4, s26, s38
	s_mov_b32 s39, s38
	s_addc_u32 s5, s27, s38
	s_xor_b64 s[40:41], s[4:5], s[38:39]
	v_readfirstlane_b32 s19, v1
	s_mul_i32 s5, s40, s3
	s_mul_hi_u32 s23, s40, s19
	s_mul_hi_u32 s4, s40, s3
	s_add_u32 s5, s23, s5
	s_addc_u32 s4, 0, s4
	s_mul_hi_u32 s33, s41, s19
	s_mul_i32 s19, s41, s19
	s_add_u32 s5, s5, s19
	s_mul_hi_u32 s23, s41, s3
	s_addc_u32 s4, s4, s33
	s_addc_u32 s5, s23, 0
	s_mul_i32 s3, s41, s3
	s_add_u32 s3, s4, s3
	s_addc_u32 s19, 0, s5
	s_mul_i32 s4, s36, s19
	s_mul_hi_u32 s5, s36, s3
	s_add_i32 s4, s5, s4
	s_mul_i32 s5, s37, s3
	s_add_i32 s23, s4, s5
	s_mul_i32 s5, s36, s3
	v_mov_b32_e32 v1, s5
	s_sub_i32 s4, s41, s23
	v_sub_co_u32_e32 v1, vcc, s40, v1
	s_cmp_lg_u64 vcc, 0
	s_subb_u32 s33, s4, s37
	v_subrev_co_u32_e64 v3, s[4:5], s36, v1
	s_cmp_lg_u64 s[4:5], 0
	s_subb_u32 s4, s33, 0
	s_cmp_ge_u32 s4, s37
	v_readfirstlane_b32 s33, v3
	s_cselect_b32 s5, -1, 0
	s_cmp_ge_u32 s33, s36
	s_cselect_b32 s33, -1, 0
	s_cmp_eq_u32 s4, s37
	s_cselect_b32 s4, s33, s5
	s_add_u32 s5, s3, 1
	s_addc_u32 s33, s19, 0
	s_add_u32 s40, s3, 2
	s_addc_u32 s42, s19, 0
	s_cmp_lg_u32 s4, 0
	s_cselect_b32 s4, s40, s5
	s_cselect_b32 s5, s42, s33
	s_cmp_lg_u64 vcc, 0
	s_subb_u32 s23, s41, s23
	s_cmp_ge_u32 s23, s37
	v_readfirstlane_b32 s40, v1
	s_cselect_b32 s33, -1, 0
	s_cmp_ge_u32 s40, s36
	s_cselect_b32 s36, -1, 0
	s_cmp_eq_u32 s23, s37
	s_cselect_b32 s23, s36, s33
	s_cmp_lg_u32 s23, 0
	s_cselect_b32 s5, s5, s19
	s_cselect_b32 s4, s4, s3
	s_xor_b64 s[34:35], s[38:39], s[34:35]
	s_xor_b64 s[4:5], s[4:5], s[34:35]
	s_sub_u32 s4, s4, s34
	s_subb_u32 s5, s5, s35
	s_cbranch_execnz .LBB5_7
.LBB5_6:
	v_cvt_f32_u32_e32 v1, s6
	s_sub_i32 s3, 0, s6
	s_mov_b32 s5, 0
	v_rcp_iflag_f32_e32 v1, v1
	s_nop 0
	v_mul_f32_e32 v1, 0x4f7ffffe, v1
	v_cvt_u32_f32_e32 v1, v1
	s_nop 0
	v_readfirstlane_b32 s4, v1
	s_mul_i32 s3, s3, s4
	s_mul_hi_u32 s3, s4, s3
	s_add_i32 s4, s4, s3
	s_mul_hi_u32 s3, s26, s4
	s_mul_i32 s19, s3, s6
	s_sub_i32 s19, s26, s19
	s_add_i32 s4, s3, 1
	s_sub_i32 s23, s19, s6
	s_cmp_ge_u32 s19, s6
	s_cselect_b32 s3, s4, s3
	s_cselect_b32 s19, s23, s19
	s_add_i32 s4, s3, 1
	s_cmp_ge_u32 s19, s6
	s_cselect_b32 s4, s4, s3
.LBB5_7:
	s_mul_i32 s3, s4, s7
	s_mul_hi_u32 s7, s4, s6
	s_add_i32 s3, s7, s3
	s_mul_i32 s7, s5, s6
	s_add_i32 s3, s3, s7
	s_mul_i32 s6, s4, s6
	s_sub_u32 s33, s26, s6
	s_subb_u32 s3, s27, s3
	v_cmp_gt_i32_e32 vcc, s22, v0
	s_mul_hi_u32 s35, s4, s16
	s_mul_i32 s36, s5, s16
	s_mul_i32 s26, s4, s16
	s_mul_hi_u32 s34, s33, s17
	s_mul_i32 s5, s3, s17
	s_mul_i32 s6, s33, s17
	s_and_saveexec_b64 s[30:31], vcc
	s_cbranch_execz .LBB5_10
; %bb.8:
	s_load_dword s3, s[0:1], 0x8c
	s_ashr_i32 s23, s22, 31
	s_ashr_i32 s7, s16, 31
	;; [unrolled: 1-line block ×4, first 2 shown]
	s_waitcnt lgkmcnt(0)
	s_and_b32 s3, s3, 0xffff
	s_lshl_b64 s[38:39], s[28:29], 1
	s_add_u32 s24, s24, s38
	v_mov_b32_e32 v3, 0
	s_addc_u32 s25, s25, s39
	v_lshl_add_u64 v[4:5], s[24:25], 0, v[2:3]
	s_lshl_b64 s[24:25], s[22:23], 1
	s_mul_i32 s9, s9, s2
	s_mul_hi_u32 s23, s8, s2
	s_add_i32 s9, s23, s9
	s_mul_i32 s8, s8, s2
	s_lshl_b32 s28, s3, 1
	s_lshl_b64 s[8:9], s[8:9], 2
	s_add_u32 s8, s12, s8
	s_mul_i32 s7, s4, s7
	s_addc_u32 s9, s13, s9
	s_add_i32 s7, s35, s7
	s_add_i32 s27, s7, s36
	s_mul_i32 s7, s33, s37
	s_add_i32 s7, s34, s7
	v_lshlrev_b32_e32 v2, 3, v0
	s_add_i32 s7, s7, s5
	v_lshl_add_u64 v[6:7], s[8:9], 0, v[2:3]
	s_lshl_b32 s23, s3, 3
	s_lshl_b64 s[8:9], s[26:27], 2
	s_lshl_b64 s[12:13], s[6:7], 2
	s_add_u32 s7, s8, s12
	s_addc_u32 s12, s9, s13
	s_lshl_b64 s[8:9], s[18:19], 2
	s_add_u32 s8, s20, s8
	s_addc_u32 s9, s21, s9
	s_add_u32 s8, s8, s7
	s_addc_u32 s9, s9, s12
	s_mov_b32 s29, 0
	v_lshl_add_u64 v[2:3], s[8:9], 0, v[2:3]
	s_mov_b64 s[8:9], 0
	s_mov_b64 s[12:13], 0
	v_mov_b32_e32 v1, v0
.LBB5_9:                                ; =>This Inner Loop Header: Depth=1
	v_lshl_add_u64 v[8:9], v[4:5], 0, s[24:25]
	global_load_ushort v14, v[4:5], off
	v_lshl_add_u64 v[10:11], v[6:7], 0, s[12:13]
	global_load_ushort v15, v[8:9], off
	global_load_dwordx2 v[12:13], v[10:11], off
	v_lshl_add_u64 v[8:9], v[2:3], 0, s[12:13]
	v_add_u32_e32 v1, s3, v1
	s_add_u32 s12, s12, s23
	s_addc_u32 s13, s13, 0
	v_cmp_le_i32_e32 vcc, s22, v1
	v_lshl_add_u64 v[4:5], v[4:5], 0, s[28:29]
	s_or_b64 s[8:9], vcc, s[8:9]
	s_waitcnt vmcnt(2)
	v_lshlrev_b32_e32 v14, 16, v14
	s_waitcnt vmcnt(1)
	v_lshlrev_b32_e32 v16, 16, v15
	s_waitcnt vmcnt(0)
	v_pk_mul_f32 v[16:17], v[12:13], v[16:17] op_sel_hi:[1,0]
	s_nop 0
	v_pk_fma_f32 v[18:19], v[12:13], v[14:15], v[16:17] op_sel:[0,0,1] op_sel_hi:[1,1,0] neg_lo:[0,0,1] neg_hi:[0,0,1]
	v_pk_fma_f32 v[12:13], v[12:13], v[14:15], v[16:17] op_sel:[0,0,1] op_sel_hi:[1,0,0]
	s_nop 0
	v_mov_b32_e32 v19, v13
	global_store_dwordx2 v[10:11], v[18:19], off
	global_store_dwordx2 v[8:9], v[18:19], off
	s_andn2_b64 exec, exec, s[8:9]
	s_cbranch_execnz .LBB5_9
.LBB5_10:
	s_or_b64 exec, exec, s[30:31]
	v_cmp_gt_i32_e32 vcc, s18, v0
	s_and_saveexec_b64 s[8:9], vcc
	s_cbranch_execz .LBB5_13
; %bb.11:
	s_mul_i32 s3, s2, s11
	s_mul_hi_u32 s7, s2, s10
	s_add_i32 s3, s7, s3
	s_mul_i32 s2, s2, s10
	s_lshl_b64 s[2:3], s[2:3], 2
	s_add_u32 s2, s14, s2
	s_addc_u32 s3, s15, s3
	s_ashr_i32 s7, s16, 31
	s_mul_i32 s4, s4, s7
	s_add_i32 s4, s35, s4
	s_add_i32 s27, s4, s36
	s_lshl_b64 s[8:9], s[26:27], 2
	s_add_u32 s4, s20, s8
	s_addc_u32 s8, s21, s9
	s_ashr_i32 s7, s17, 31
	s_mul_i32 s33, s33, s7
	s_load_dword s9, s[0:1], 0x8c
	s_add_i32 s7, s34, s33
	s_add_i32 s7, s7, s5
	s_lshl_b64 s[0:1], s[6:7], 2
	s_add_u32 s0, s4, s0
	s_addc_u32 s1, s8, s1
	s_waitcnt lgkmcnt(0)
	s_and_b32 s6, s9, 0xffff
	s_mov_b64 s[4:5], 0
.LBB5_12:                               ; =>This Inner Loop Header: Depth=1
	v_ashrrev_i32_e32 v1, 31, v0
	v_lshlrev_b64 v[2:3], 2, v[0:1]
	v_lshl_add_u64 v[4:5], s[2:3], 0, v[2:3]
	global_load_dword v1, v[4:5], off
	v_add_u32_e32 v0, s6, v0
	v_cmp_le_i32_e32 vcc, s18, v0
	v_lshl_add_u64 v[2:3], s[0:1], 0, v[2:3]
	s_or_b64 s[4:5], vcc, s[4:5]
	s_waitcnt vmcnt(0)
	global_store_dword v[2:3], v1, off
	s_andn2_b64 exec, exec, s[4:5]
	s_cbranch_execnz .LBB5_12
.LBB5_13:
	s_endpgm
.LBB5_14:
                                        ; implicit-def: $sgpr4_sgpr5
	s_branch .LBB5_6
	.section	.rodata,"a",@progbits
	.p2align	6, 0x0
	.amdhsa_kernel _ZN4vllm38concat_and_cache_mla_rope_fused_kernelIfN3c108BFloat16ELb0EffLNS_18Fp8KVCacheDataTypeE0EEEvPKlPT_S7_PKS6_PKT0_illlliPT3_S5_iiiiPKf
		.amdhsa_group_segment_fixed_size 0
		.amdhsa_private_segment_fixed_size 0
		.amdhsa_kernarg_size 384
		.amdhsa_user_sgpr_count 2
		.amdhsa_user_sgpr_dispatch_ptr 0
		.amdhsa_user_sgpr_queue_ptr 0
		.amdhsa_user_sgpr_kernarg_segment_ptr 1
		.amdhsa_user_sgpr_dispatch_id 0
		.amdhsa_user_sgpr_kernarg_preload_length 0
		.amdhsa_user_sgpr_kernarg_preload_offset 0
		.amdhsa_user_sgpr_private_segment_size 0
		.amdhsa_uses_dynamic_stack 0
		.amdhsa_enable_private_segment 0
		.amdhsa_system_sgpr_workgroup_id_x 1
		.amdhsa_system_sgpr_workgroup_id_y 0
		.amdhsa_system_sgpr_workgroup_id_z 0
		.amdhsa_system_sgpr_workgroup_info 0
		.amdhsa_system_vgpr_workitem_id 0
		.amdhsa_next_free_vgpr 20
		.amdhsa_next_free_sgpr 43
		.amdhsa_accum_offset 20
		.amdhsa_reserve_vcc 1
		.amdhsa_float_round_mode_32 0
		.amdhsa_float_round_mode_16_64 0
		.amdhsa_float_denorm_mode_32 3
		.amdhsa_float_denorm_mode_16_64 3
		.amdhsa_dx10_clamp 1
		.amdhsa_ieee_mode 1
		.amdhsa_fp16_overflow 0
		.amdhsa_tg_split 0
		.amdhsa_exception_fp_ieee_invalid_op 0
		.amdhsa_exception_fp_denorm_src 0
		.amdhsa_exception_fp_ieee_div_zero 0
		.amdhsa_exception_fp_ieee_overflow 0
		.amdhsa_exception_fp_ieee_underflow 0
		.amdhsa_exception_fp_ieee_inexact 0
		.amdhsa_exception_int_div_zero 0
	.end_amdhsa_kernel
	.section	.text._ZN4vllm38concat_and_cache_mla_rope_fused_kernelIfN3c108BFloat16ELb0EffLNS_18Fp8KVCacheDataTypeE0EEEvPKlPT_S7_PKS6_PKT0_illlliPT3_S5_iiiiPKf,"axG",@progbits,_ZN4vllm38concat_and_cache_mla_rope_fused_kernelIfN3c108BFloat16ELb0EffLNS_18Fp8KVCacheDataTypeE0EEEvPKlPT_S7_PKS6_PKT0_illlliPT3_S5_iiiiPKf,comdat
.Lfunc_end5:
	.size	_ZN4vllm38concat_and_cache_mla_rope_fused_kernelIfN3c108BFloat16ELb0EffLNS_18Fp8KVCacheDataTypeE0EEEvPKlPT_S7_PKS6_PKT0_illlliPT3_S5_iiiiPKf, .Lfunc_end5-_ZN4vllm38concat_and_cache_mla_rope_fused_kernelIfN3c108BFloat16ELb0EffLNS_18Fp8KVCacheDataTypeE0EEEvPKlPT_S7_PKS6_PKT0_illlliPT3_S5_iiiiPKf
                                        ; -- End function
	.section	.AMDGPU.csdata,"",@progbits
; Kernel info:
; codeLenInByte = 1916
; NumSgprs: 49
; NumVgprs: 20
; NumAgprs: 0
; TotalNumVgprs: 20
; ScratchSize: 0
; MemoryBound: 0
; FloatMode: 240
; IeeeMode: 1
; LDSByteSize: 0 bytes/workgroup (compile time only)
; SGPRBlocks: 6
; VGPRBlocks: 2
; NumSGPRsForWavesPerEU: 49
; NumVGPRsForWavesPerEU: 20
; AccumOffset: 20
; Occupancy: 8
; WaveLimiterHint : 1
; COMPUTE_PGM_RSRC2:SCRATCH_EN: 0
; COMPUTE_PGM_RSRC2:USER_SGPR: 2
; COMPUTE_PGM_RSRC2:TRAP_HANDLER: 0
; COMPUTE_PGM_RSRC2:TGID_X_EN: 1
; COMPUTE_PGM_RSRC2:TGID_Y_EN: 0
; COMPUTE_PGM_RSRC2:TGID_Z_EN: 0
; COMPUTE_PGM_RSRC2:TIDIG_COMP_CNT: 0
; COMPUTE_PGM_RSRC3_GFX90A:ACCUM_OFFSET: 4
; COMPUTE_PGM_RSRC3_GFX90A:TG_SPLIT: 0
	.section	.text._ZN4vllm38concat_and_cache_mla_rope_fused_kernelIN3c104HalfEfLb1EffLNS_18Fp8KVCacheDataTypeE0EEEvPKlPT_S7_PKS6_PKT0_illlliPT3_S5_iiiiPKf,"axG",@progbits,_ZN4vllm38concat_and_cache_mla_rope_fused_kernelIN3c104HalfEfLb1EffLNS_18Fp8KVCacheDataTypeE0EEEvPKlPT_S7_PKS6_PKT0_illlliPT3_S5_iiiiPKf,comdat
	.protected	_ZN4vllm38concat_and_cache_mla_rope_fused_kernelIN3c104HalfEfLb1EffLNS_18Fp8KVCacheDataTypeE0EEEvPKlPT_S7_PKS6_PKT0_illlliPT3_S5_iiiiPKf ; -- Begin function _ZN4vllm38concat_and_cache_mla_rope_fused_kernelIN3c104HalfEfLb1EffLNS_18Fp8KVCacheDataTypeE0EEEvPKlPT_S7_PKS6_PKT0_illlliPT3_S5_iiiiPKf
	.globl	_ZN4vllm38concat_and_cache_mla_rope_fused_kernelIN3c104HalfEfLb1EffLNS_18Fp8KVCacheDataTypeE0EEEvPKlPT_S7_PKS6_PKT0_illlliPT3_S5_iiiiPKf
	.p2align	8
	.type	_ZN4vllm38concat_and_cache_mla_rope_fused_kernelIN3c104HalfEfLb1EffLNS_18Fp8KVCacheDataTypeE0EEEvPKlPT_S7_PKS6_PKT0_illlliPT3_S5_iiiiPKf,@function
_ZN4vllm38concat_and_cache_mla_rope_fused_kernelIN3c104HalfEfLb1EffLNS_18Fp8KVCacheDataTypeE0EEEvPKlPT_S7_PKS6_PKT0_illlliPT3_S5_iiiiPKf: ; @_ZN4vllm38concat_and_cache_mla_rope_fused_kernelIN3c104HalfEfLb1EffLNS_18Fp8KVCacheDataTypeE0EEEvPKlPT_S7_PKS6_PKT0_illlliPT3_S5_iiiiPKf
; %bb.0:
	s_load_dwordx2 s[8:9], s[2:3], 0x60
	s_mov_b32 s5, 0
	s_lshl_b64 s[6:7], s[4:5], 3
	s_waitcnt lgkmcnt(0)
	s_add_u32 s8, s8, s6
	s_addc_u32 s9, s9, s7
	s_load_dwordx2 s[30:31], s[8:9], 0x0
	s_waitcnt lgkmcnt(0)
	v_cmp_lt_i64_e64 s[8:9], s[30:31], 0
	s_and_b64 vcc, exec, s[8:9]
	s_cbranch_vccnz .LBB6_13
; %bb.1:
	s_load_dword s5, s[2:3], 0x28
	s_load_dwordx2 s[8:9], s[2:3], 0x0
	s_load_dwordx2 s[26:27], s[2:3], 0x20
	s_load_dwordx4 s[16:19], s[2:3], 0x10
	v_and_b32_e32 v2, 0x3ff, v0
	s_waitcnt lgkmcnt(0)
	s_ashr_i32 s24, s5, 31
	s_add_u32 s6, s8, s6
	s_addc_u32 s7, s9, s7
	s_load_dwordx2 s[22:23], s[6:7], 0x0
	s_load_dwordx8 s[8:15], s[2:3], 0x30
	s_load_dwordx2 s[20:21], s[2:3], 0x58
	s_load_dword s25, s[2:3], 0x50
	s_waitcnt lgkmcnt(0)
	s_mul_i32 s6, s22, s24
	s_mul_hi_u32 s7, s22, s5
	s_add_i32 s6, s7, s6
	s_mul_i32 s7, s23, s5
	s_add_i32 s7, s6, s7
	s_mul_i32 s6, s22, s5
	s_lshl_b64 s[28:29], s[6:7], 2
	s_add_u32 s22, s26, s28
	s_addc_u32 s23, s27, s29
	s_lshr_b32 s6, s5, 31
	s_add_i32 s5, s5, s6
	s_ashr_i32 s24, s5, 1
	s_mul_i32 s5, s24, s25
	v_cmp_gt_i32_e32 vcc, s5, v2
	s_and_saveexec_b64 s[6:7], vcc
	s_cbranch_execz .LBB6_4
; %bb.2:
	s_load_dwordx2 s[34:35], s[2:3], 0x8
	s_load_dword s36, s[2:3], 0x8c
	s_mul_i32 s9, s4, s9
	s_mul_hi_u32 s33, s4, s8
	s_add_i32 s9, s33, s9
	s_mul_i32 s8, s4, s8
	s_ashr_i32 s25, s24, 31
	s_lshl_b64 s[8:9], s[8:9], 1
	s_waitcnt lgkmcnt(0)
	s_add_u32 s8, s34, s8
	s_addc_u32 s9, s35, s9
	s_abs_i32 s33, s24
	v_cvt_f32_u32_e32 v1, s33
	s_sub_i32 s38, 0, s33
	s_mov_b64 s[34:35], 0
	s_and_b32 s36, s36, 0xffff
	v_rcp_iflag_f32_e32 v1, v1
	s_sub_i32 s37, 0, s24
	v_mov_b32_e32 v4, v2
	v_mul_f32_e32 v1, 0x4f7ffffe, v1
	v_cvt_u32_f32_e32 v1, v1
	v_mul_lo_u32 v3, s38, v1
	v_mul_hi_u32 v3, v1, v3
	v_add_u32_e32 v1, v1, v3
.LBB6_3:                                ; =>This Inner Loop Header: Depth=1
	v_sub_u32_e32 v5, 0, v4
	v_max_i32_e32 v5, v4, v5
	v_mul_hi_u32 v6, v5, v1
	v_mul_lo_u32 v7, v6, s33
	v_sub_u32_e32 v5, v5, v7
	v_add_u32_e32 v8, 1, v6
	v_cmp_le_u32_e32 vcc, s33, v5
	v_subrev_u32_e32 v7, s33, v5
	v_ashrrev_i32_e32 v3, 31, v4
	v_cndmask_b32_e32 v6, v6, v8, vcc
	v_cndmask_b32_e32 v5, v5, v7, vcc
	v_add_u32_e32 v7, 1, v6
	v_cmp_le_u32_e32 vcc, s33, v5
	v_xor_b32_e32 v3, s25, v3
	s_nop 0
	v_cndmask_b32_e32 v5, v6, v7, vcc
	v_xor_b32_e32 v5, v5, v3
	v_sub_u32_e32 v3, v5, v3
	v_mad_u64_u32 v[6:7], s[38:39], s37, v3, v[4:5]
	v_ashrrev_i32_e32 v5, 31, v3
	v_ashrrev_i32_e32 v7, 31, v6
	v_mul_lo_u32 v12, v3, s11
	v_mad_u64_u32 v[8:9], s[38:39], v3, s10, 0
	v_mul_lo_u32 v3, v5, s10
	v_lshl_add_u64 v[10:11], v[6:7], 2, s[22:23]
	v_add3_u32 v9, v9, v12, v3
	v_lshl_add_u64 v[12:13], s[24:25], 2, v[10:11]
	global_load_dword v3, v[10:11], off
	global_load_dword v5, v[12:13], off
	v_lshl_add_u64 v[8:9], v[8:9], 1, s[8:9]
	v_lshl_add_u64 v[6:7], v[6:7], 1, v[8:9]
	;; [unrolled: 1-line block ×3, first 2 shown]
	global_load_ushort v10, v[6:7], off
	global_load_ushort v11, v[8:9], off
	v_add_u32_e32 v4, s36, v4
	v_cmp_le_i32_e32 vcc, s5, v4
	s_or_b64 s[34:35], vcc, s[34:35]
	s_waitcnt vmcnt(3)
	v_cvt_f16_f32_e32 v3, v3
	s_waitcnt vmcnt(2)
	v_cvt_f16_f32_e32 v5, v5
	s_waitcnt vmcnt(0)
	v_mul_f16_e32 v12, v11, v3
	v_mul_f16_e32 v11, v11, v5
	v_fma_f16 v3, v10, v3, -v11
	v_fma_f16 v5, v10, v5, v12
	global_store_short v[6:7], v3, off
	global_store_short v[8:9], v5, off
	s_andn2_b64 exec, exec, s[34:35]
	s_cbranch_execnz .LBB6_3
.LBB6_4:
	s_or_b64 exec, exec, s[6:7]
	s_load_dwordx4 s[8:11], s[2:3], 0x68
	s_waitcnt lgkmcnt(0)
	s_ashr_i32 s35, s11, 31
	s_mov_b32 s34, s11
	s_or_b64 s[6:7], s[30:31], s[34:35]
	s_mov_b32 s6, 0
	s_cmp_lg_u64 s[6:7], 0
	s_cbranch_scc0 .LBB6_14
; %bb.5:
	s_add_u32 s6, s34, s35
	s_mov_b32 s38, s35
	s_mov_b32 s39, s35
	s_addc_u32 s7, s35, s35
	s_xor_b64 s[40:41], s[6:7], s[38:39]
	v_cvt_f32_u32_e32 v1, s40
	v_cvt_f32_u32_e32 v3, s41
	s_sub_u32 s5, 0, s40
	s_subb_u32 s6, 0, s41
	v_fmamk_f32 v1, v3, 0x4f800000, v1
	v_rcp_f32_e32 v1, v1
	s_nop 0
	v_mul_f32_e32 v1, 0x5f7ffffc, v1
	v_mul_f32_e32 v3, 0x2f800000, v1
	v_trunc_f32_e32 v3, v3
	v_fmamk_f32 v1, v3, 0xcf800000, v1
	v_cvt_u32_f32_e32 v3, v3
	v_cvt_u32_f32_e32 v1, v1
	v_readfirstlane_b32 s7, v3
	v_readfirstlane_b32 s11, v1
	s_mul_i32 s25, s5, s7
	s_mul_hi_u32 s42, s5, s11
	s_mul_i32 s33, s6, s11
	s_add_i32 s25, s42, s25
	s_add_i32 s25, s25, s33
	s_mul_i32 s43, s5, s11
	s_mul_hi_u32 s33, s11, s25
	s_mul_i32 s42, s11, s25
	s_mul_hi_u32 s11, s11, s43
	s_add_u32 s11, s11, s42
	s_addc_u32 s33, 0, s33
	s_mul_hi_u32 s44, s7, s43
	s_mul_i32 s43, s7, s43
	s_add_u32 s11, s11, s43
	s_mul_hi_u32 s42, s7, s25
	s_addc_u32 s11, s33, s44
	s_addc_u32 s33, s42, 0
	s_mul_i32 s25, s7, s25
	s_add_u32 s11, s11, s25
	s_addc_u32 s25, 0, s33
	v_add_co_u32_e32 v1, vcc, s11, v1
	s_cmp_lg_u64 vcc, 0
	s_addc_u32 s7, s7, s25
	v_readfirstlane_b32 s25, v1
	s_mul_i32 s11, s5, s7
	s_mul_hi_u32 s33, s5, s25
	s_add_i32 s11, s33, s11
	s_mul_i32 s6, s6, s25
	s_add_i32 s11, s11, s6
	s_mul_i32 s5, s5, s25
	s_mul_hi_u32 s33, s7, s5
	s_mul_i32 s42, s7, s5
	s_mul_i32 s44, s25, s11
	s_mul_hi_u32 s5, s25, s5
	s_mul_hi_u32 s43, s25, s11
	s_add_u32 s5, s5, s44
	s_addc_u32 s25, 0, s43
	s_add_u32 s5, s5, s42
	s_mul_hi_u32 s6, s7, s11
	s_addc_u32 s5, s25, s33
	s_addc_u32 s6, s6, 0
	s_mul_i32 s11, s7, s11
	s_add_u32 s5, s5, s11
	s_addc_u32 s6, 0, s6
	v_add_co_u32_e32 v1, vcc, s5, v1
	s_cmp_lg_u64 vcc, 0
	s_addc_u32 s5, s7, s6
	s_ashr_i32 s42, s31, 31
	s_add_u32 s6, s30, s42
	s_mov_b32 s43, s42
	s_addc_u32 s7, s31, s42
	s_xor_b64 s[44:45], s[6:7], s[42:43]
	v_readfirstlane_b32 s11, v1
	s_mul_i32 s7, s44, s5
	s_mul_hi_u32 s25, s44, s11
	s_mul_hi_u32 s6, s44, s5
	s_add_u32 s7, s25, s7
	s_addc_u32 s6, 0, s6
	s_mul_hi_u32 s33, s45, s11
	s_mul_i32 s11, s45, s11
	s_add_u32 s7, s7, s11
	s_mul_hi_u32 s25, s45, s5
	s_addc_u32 s6, s6, s33
	s_addc_u32 s7, s25, 0
	s_mul_i32 s5, s45, s5
	s_add_u32 s5, s6, s5
	s_addc_u32 s11, 0, s7
	s_mul_i32 s6, s40, s11
	s_mul_hi_u32 s7, s40, s5
	s_add_i32 s6, s7, s6
	s_mul_i32 s7, s41, s5
	s_add_i32 s25, s6, s7
	s_mul_i32 s7, s40, s5
	v_mov_b32_e32 v1, s7
	s_sub_i32 s6, s45, s25
	v_sub_co_u32_e32 v1, vcc, s44, v1
	s_cmp_lg_u64 vcc, 0
	s_subb_u32 s33, s6, s41
	v_subrev_co_u32_e64 v3, s[6:7], s40, v1
	s_cmp_lg_u64 s[6:7], 0
	s_subb_u32 s6, s33, 0
	s_cmp_ge_u32 s6, s41
	v_readfirstlane_b32 s33, v3
	s_cselect_b32 s7, -1, 0
	s_cmp_ge_u32 s33, s40
	s_cselect_b32 s33, -1, 0
	s_cmp_eq_u32 s6, s41
	s_cselect_b32 s6, s33, s7
	s_add_u32 s7, s5, 1
	s_addc_u32 s33, s11, 0
	s_add_u32 s44, s5, 2
	s_addc_u32 s46, s11, 0
	s_cmp_lg_u32 s6, 0
	s_cselect_b32 s6, s44, s7
	s_cselect_b32 s7, s46, s33
	s_cmp_lg_u64 vcc, 0
	s_subb_u32 s25, s45, s25
	s_cmp_ge_u32 s25, s41
	v_readfirstlane_b32 s44, v1
	s_cselect_b32 s33, -1, 0
	s_cmp_ge_u32 s44, s40
	s_cselect_b32 s40, -1, 0
	s_cmp_eq_u32 s25, s41
	s_cselect_b32 s25, s40, s33
	s_cmp_lg_u32 s25, 0
	s_cselect_b32 s7, s7, s11
	s_cselect_b32 s6, s6, s5
	s_xor_b64 s[38:39], s[42:43], s[38:39]
	s_xor_b64 s[6:7], s[6:7], s[38:39]
	s_sub_u32 s6, s6, s38
	s_subb_u32 s7, s7, s39
	s_cbranch_execnz .LBB6_7
.LBB6_6:
	v_cvt_f32_u32_e32 v1, s34
	s_sub_i32 s5, 0, s34
	s_mov_b32 s7, 0
	v_rcp_iflag_f32_e32 v1, v1
	s_nop 0
	v_mul_f32_e32 v1, 0x4f7ffffe, v1
	v_cvt_u32_f32_e32 v1, v1
	s_nop 0
	v_readfirstlane_b32 s6, v1
	s_mul_i32 s5, s5, s6
	s_mul_hi_u32 s5, s6, s5
	s_add_i32 s6, s6, s5
	s_mul_hi_u32 s5, s30, s6
	s_mul_i32 s11, s5, s34
	s_sub_i32 s11, s30, s11
	s_add_i32 s6, s5, 1
	s_sub_i32 s25, s11, s34
	s_cmp_ge_u32 s11, s34
	s_cselect_b32 s5, s6, s5
	s_cselect_b32 s11, s25, s11
	s_add_i32 s6, s5, 1
	s_cmp_ge_u32 s11, s34
	s_cselect_b32 s6, s6, s5
.LBB6_7:
	s_mul_i32 s5, s6, s35
	s_mul_hi_u32 s11, s6, s34
	s_add_i32 s5, s11, s5
	s_mul_i32 s11, s7, s34
	s_add_i32 s5, s5, s11
	s_mul_i32 s11, s6, s34
	s_sub_u32 s33, s30, s11
	s_subb_u32 s5, s31, s5
	v_cmp_gt_i32_e32 vcc, s24, v2
	s_mul_hi_u32 s40, s6, s8
	s_mul_i32 s41, s7, s8
	s_mul_i32 s34, s6, s8
	s_mul_hi_u32 s7, s33, s9
	s_mul_i32 s5, s5, s9
	s_mul_i32 s30, s33, s9
	s_and_saveexec_b64 s[36:37], vcc
	s_cbranch_execz .LBB6_10
; %bb.8:
	s_load_dwordx2 s[0:1], s[0:1], 0x4
	s_ashr_i32 s11, s8, 31
	v_bfe_u32 v1, v0, 10, 10
	s_ashr_i32 s25, s24, 31
	s_mul_i32 s13, s13, s4
	s_waitcnt lgkmcnt(0)
	s_lshr_b32 s0, s0, 16
	s_mul_i32 s0, s0, s1
	v_mul_lo_u32 v3, s0, v2
	s_mul_i32 s0, s6, s11
	s_add_i32 s0, s40, s0
	s_add_i32 s35, s0, s41
	s_ashr_i32 s0, s9, 31
	s_mul_i32 s0, s33, s0
	s_add_i32 s0, s7, s0
	s_add_i32 s31, s0, s5
	v_mad_u32_u24 v1, v1, s1, v3
	s_lshl_b64 s[0:1], s[34:35], 2
	s_lshl_b64 s[38:39], s[30:31], 2
	s_add_u32 s35, s0, s38
	s_addc_u32 s46, s1, s39
	s_load_dword s31, s[2:3], 0x8c
	s_add_u32 s0, s35, s20
	s_addc_u32 s1, s46, s21
	s_ashr_i32 s11, s10, 31
	s_lshl_b64 s[42:43], s[10:11], 2
	s_add_u32 s0, s0, s42
	s_addc_u32 s1, s1, s43
	s_waitcnt lgkmcnt(0)
	s_and_b32 s11, s31, 0xffff
	s_lshl_b32 s31, s11, 2
	s_lshl_b64 s[44:45], s[24:25], 2
	s_add_u32 s28, s28, s44
	s_addc_u32 s29, s29, s45
	s_add_u32 s26, s26, s28
	s_addc_u32 s27, s27, s29
	s_lshl_b64 s[28:29], s[24:25], 1
	s_mul_hi_u32 s25, s12, s4
	s_add_i32 s13, s25, s13
	s_mul_i32 s12, s12, s4
	v_bfe_u32 v0, v0, 20, 10
	s_lshl_b64 s[12:13], s[12:13], 1
	v_add_lshl_u32 v3, v1, v0, 1
	v_mov_b32_e32 v1, 0
	s_add_u32 s12, s16, s12
	v_lshlrev_b32_e32 v4, 1, v2
	v_mov_b32_e32 v5, v1
	s_addc_u32 s13, s17, s13
	s_lshl_b32 s38, s11, 1
	v_lshl_add_u64 v[4:5], s[12:13], 0, v[4:5]
	s_add_u32 s12, s35, s44
	s_addc_u32 s13, s46, s45
	s_add_u32 s12, s12, s42
	s_addc_u32 s13, s13, s43
	s_add_u32 s12, s20, s12
	v_add_u32_e32 v6, 0x800, v3
	v_lshlrev_b32_e32 v0, 2, v2
	s_mov_b32 s39, 0
	s_addc_u32 s13, s21, s13
	s_mov_b64 s[16:17], 0
	v_mov_b32_e32 v7, v2
.LBB6_9:                                ; =>This Inner Loop Header: Depth=1
	v_lshl_add_u64 v[8:9], s[22:23], 0, v[0:1]
	v_lshl_add_u64 v[10:11], s[26:27], 0, v[0:1]
	;; [unrolled: 1-line block ×3, first 2 shown]
	global_load_ushort v14, v[4:5], off
	global_load_dword v15, v[10:11], off
	global_load_dword v16, v[8:9], off
	global_load_ushort v17, v[12:13], off
	s_add_u32 s22, s22, s31
	s_addc_u32 s23, s23, 0
	s_add_u32 s26, s26, s31
	s_addc_u32 s27, s27, 0
	v_lshl_add_u64 v[10:11], s[12:13], 0, v[0:1]
	s_add_u32 s12, s12, s31
	s_addc_u32 s13, s13, 0
	v_lshl_add_u64 v[8:9], s[0:1], 0, v[0:1]
	v_add_u32_e32 v7, s11, v7
	s_add_u32 s0, s0, s31
	v_cmp_le_i32_e32 vcc, s24, v7
	s_addc_u32 s1, s1, 0
	s_or_b64 s[16:17], vcc, s[16:17]
	s_waitcnt vmcnt(2)
	v_cvt_f16_f32_e32 v15, v15
	s_waitcnt vmcnt(1)
	v_cvt_f16_f32_e32 v16, v16
	s_waitcnt vmcnt(0)
	v_mul_f16_e32 v18, v17, v15
	v_mul_f16_e32 v17, v17, v16
	v_fma_f16 v16, v14, v16, -v18
	v_fma_f16 v14, v14, v15, v17
	ds_write_b16 v6, v16
	ds_write_b16 v3, v14
	ds_read_b32 v15, v6
	ds_read_b32 v17, v3
	global_store_short v[4:5], v16, off
	global_store_short v[12:13], v14, off
	v_lshl_add_u64 v[4:5], v[4:5], 0, s[38:39]
	s_waitcnt lgkmcnt(1)
	global_store_dword v[8:9], v15, off
	s_waitcnt lgkmcnt(0)
	global_store_dword v[10:11], v17, off
	s_andn2_b64 exec, exec, s[16:17]
	s_cbranch_execnz .LBB6_9
.LBB6_10:
	s_or_b64 exec, exec, s[36:37]
	v_cmp_gt_i32_e32 vcc, s10, v2
	s_and_saveexec_b64 s[0:1], vcc
	s_cbranch_execz .LBB6_13
; %bb.11:
	s_mul_i32 s0, s4, s15
	s_mul_hi_u32 s1, s4, s14
	s_add_i32 s1, s1, s0
	s_mul_i32 s0, s4, s14
	s_lshl_b64 s[0:1], s[0:1], 1
	s_add_u32 s0, s18, s0
	s_addc_u32 s1, s19, s1
	s_ashr_i32 s4, s8, 31
	s_mul_i32 s4, s6, s4
	s_add_i32 s4, s40, s4
	s_add_i32 s35, s4, s41
	s_lshl_b64 s[12:13], s[34:35], 2
	s_add_u32 s4, s20, s12
	s_addc_u32 s6, s21, s13
	s_ashr_i32 s8, s9, 31
	s_mul_i32 s33, s33, s8
	s_load_dword s8, s[2:3], 0x8c
	s_add_i32 s7, s7, s33
	s_add_i32 s31, s7, s5
	s_lshl_b64 s[2:3], s[30:31], 2
	s_add_u32 s2, s4, s2
	s_addc_u32 s3, s6, s3
	s_waitcnt lgkmcnt(0)
	s_and_b32 s6, s8, 0xffff
	s_mov_b64 s[4:5], 0
.LBB6_12:                               ; =>This Inner Loop Header: Depth=1
	v_ashrrev_i32_e32 v3, 31, v2
	v_lshl_add_u64 v[0:1], v[2:3], 1, s[0:1]
	global_load_dword v4, v[0:1], off
	v_lshl_add_u64 v[0:1], v[2:3], 2, s[2:3]
	v_add_u32_e32 v2, s6, v2
	v_cmp_le_i32_e32 vcc, s10, v2
	s_or_b64 s[4:5], vcc, s[4:5]
	s_waitcnt vmcnt(0)
	global_store_dword v[0:1], v4, off
	s_andn2_b64 exec, exec, s[4:5]
	s_cbranch_execnz .LBB6_12
.LBB6_13:
	s_endpgm
.LBB6_14:
                                        ; implicit-def: $sgpr6_sgpr7
	s_branch .LBB6_6
	.section	.rodata,"a",@progbits
	.p2align	6, 0x0
	.amdhsa_kernel _ZN4vllm38concat_and_cache_mla_rope_fused_kernelIN3c104HalfEfLb1EffLNS_18Fp8KVCacheDataTypeE0EEEvPKlPT_S7_PKS6_PKT0_illlliPT3_S5_iiiiPKf
		.amdhsa_group_segment_fixed_size 4096
		.amdhsa_private_segment_fixed_size 0
		.amdhsa_kernarg_size 384
		.amdhsa_user_sgpr_count 4
		.amdhsa_user_sgpr_dispatch_ptr 1
		.amdhsa_user_sgpr_queue_ptr 0
		.amdhsa_user_sgpr_kernarg_segment_ptr 1
		.amdhsa_user_sgpr_dispatch_id 0
		.amdhsa_user_sgpr_kernarg_preload_length 0
		.amdhsa_user_sgpr_kernarg_preload_offset 0
		.amdhsa_user_sgpr_private_segment_size 0
		.amdhsa_uses_dynamic_stack 0
		.amdhsa_enable_private_segment 0
		.amdhsa_system_sgpr_workgroup_id_x 1
		.amdhsa_system_sgpr_workgroup_id_y 0
		.amdhsa_system_sgpr_workgroup_id_z 0
		.amdhsa_system_sgpr_workgroup_info 0
		.amdhsa_system_vgpr_workitem_id 2
		.amdhsa_next_free_vgpr 19
		.amdhsa_next_free_sgpr 47
		.amdhsa_accum_offset 20
		.amdhsa_reserve_vcc 1
		.amdhsa_float_round_mode_32 0
		.amdhsa_float_round_mode_16_64 0
		.amdhsa_float_denorm_mode_32 3
		.amdhsa_float_denorm_mode_16_64 3
		.amdhsa_dx10_clamp 1
		.amdhsa_ieee_mode 1
		.amdhsa_fp16_overflow 0
		.amdhsa_tg_split 0
		.amdhsa_exception_fp_ieee_invalid_op 0
		.amdhsa_exception_fp_denorm_src 0
		.amdhsa_exception_fp_ieee_div_zero 0
		.amdhsa_exception_fp_ieee_overflow 0
		.amdhsa_exception_fp_ieee_underflow 0
		.amdhsa_exception_fp_ieee_inexact 0
		.amdhsa_exception_int_div_zero 0
	.end_amdhsa_kernel
	.section	.text._ZN4vllm38concat_and_cache_mla_rope_fused_kernelIN3c104HalfEfLb1EffLNS_18Fp8KVCacheDataTypeE0EEEvPKlPT_S7_PKS6_PKT0_illlliPT3_S5_iiiiPKf,"axG",@progbits,_ZN4vllm38concat_and_cache_mla_rope_fused_kernelIN3c104HalfEfLb1EffLNS_18Fp8KVCacheDataTypeE0EEEvPKlPT_S7_PKS6_PKT0_illlliPT3_S5_iiiiPKf,comdat
.Lfunc_end6:
	.size	_ZN4vllm38concat_and_cache_mla_rope_fused_kernelIN3c104HalfEfLb1EffLNS_18Fp8KVCacheDataTypeE0EEEvPKlPT_S7_PKS6_PKT0_illlliPT3_S5_iiiiPKf, .Lfunc_end6-_ZN4vllm38concat_and_cache_mla_rope_fused_kernelIN3c104HalfEfLb1EffLNS_18Fp8KVCacheDataTypeE0EEEvPKlPT_S7_PKS6_PKT0_illlliPT3_S5_iiiiPKf
                                        ; -- End function
	.section	.AMDGPU.csdata,"",@progbits
; Kernel info:
; codeLenInByte = 2088
; NumSgprs: 53
; NumVgprs: 19
; NumAgprs: 0
; TotalNumVgprs: 19
; ScratchSize: 0
; MemoryBound: 0
; FloatMode: 240
; IeeeMode: 1
; LDSByteSize: 4096 bytes/workgroup (compile time only)
; SGPRBlocks: 6
; VGPRBlocks: 2
; NumSGPRsForWavesPerEU: 53
; NumVGPRsForWavesPerEU: 19
; AccumOffset: 20
; Occupancy: 8
; WaveLimiterHint : 1
; COMPUTE_PGM_RSRC2:SCRATCH_EN: 0
; COMPUTE_PGM_RSRC2:USER_SGPR: 4
; COMPUTE_PGM_RSRC2:TRAP_HANDLER: 0
; COMPUTE_PGM_RSRC2:TGID_X_EN: 1
; COMPUTE_PGM_RSRC2:TGID_Y_EN: 0
; COMPUTE_PGM_RSRC2:TGID_Z_EN: 0
; COMPUTE_PGM_RSRC2:TIDIG_COMP_CNT: 2
; COMPUTE_PGM_RSRC3_GFX90A:ACCUM_OFFSET: 4
; COMPUTE_PGM_RSRC3_GFX90A:TG_SPLIT: 0
	.section	.text._ZN4vllm38concat_and_cache_mla_rope_fused_kernelIN3c104HalfEfLb0EffLNS_18Fp8KVCacheDataTypeE0EEEvPKlPT_S7_PKS6_PKT0_illlliPT3_S5_iiiiPKf,"axG",@progbits,_ZN4vllm38concat_and_cache_mla_rope_fused_kernelIN3c104HalfEfLb0EffLNS_18Fp8KVCacheDataTypeE0EEEvPKlPT_S7_PKS6_PKT0_illlliPT3_S5_iiiiPKf,comdat
	.protected	_ZN4vllm38concat_and_cache_mla_rope_fused_kernelIN3c104HalfEfLb0EffLNS_18Fp8KVCacheDataTypeE0EEEvPKlPT_S7_PKS6_PKT0_illlliPT3_S5_iiiiPKf ; -- Begin function _ZN4vllm38concat_and_cache_mla_rope_fused_kernelIN3c104HalfEfLb0EffLNS_18Fp8KVCacheDataTypeE0EEEvPKlPT_S7_PKS6_PKT0_illlliPT3_S5_iiiiPKf
	.globl	_ZN4vllm38concat_and_cache_mla_rope_fused_kernelIN3c104HalfEfLb0EffLNS_18Fp8KVCacheDataTypeE0EEEvPKlPT_S7_PKS6_PKT0_illlliPT3_S5_iiiiPKf
	.p2align	8
	.type	_ZN4vllm38concat_and_cache_mla_rope_fused_kernelIN3c104HalfEfLb0EffLNS_18Fp8KVCacheDataTypeE0EEEvPKlPT_S7_PKS6_PKT0_illlliPT3_S5_iiiiPKf,@function
_ZN4vllm38concat_and_cache_mla_rope_fused_kernelIN3c104HalfEfLb0EffLNS_18Fp8KVCacheDataTypeE0EEEvPKlPT_S7_PKS6_PKT0_illlliPT3_S5_iiiiPKf: ; @_ZN4vllm38concat_and_cache_mla_rope_fused_kernelIN3c104HalfEfLb0EffLNS_18Fp8KVCacheDataTypeE0EEEvPKlPT_S7_PKS6_PKT0_illlliPT3_S5_iiiiPKf
; %bb.0:
	s_load_dwordx2 s[8:9], s[2:3], 0x60
	s_mov_b32 s5, 0
	s_lshl_b64 s[6:7], s[4:5], 3
	s_waitcnt lgkmcnt(0)
	s_add_u32 s8, s8, s6
	s_addc_u32 s9, s9, s7
	s_load_dwordx2 s[28:29], s[8:9], 0x0
	s_waitcnt lgkmcnt(0)
	v_cmp_lt_i64_e64 s[8:9], s[28:29], 0
	s_and_b64 vcc, exec, s[8:9]
	s_cbranch_vccnz .LBB7_13
; %bb.1:
	s_load_dword s5, s[2:3], 0x28
	s_load_dwordx2 s[8:9], s[2:3], 0x0
	s_load_dwordx2 s[24:25], s[2:3], 0x20
	s_load_dwordx4 s[16:19], s[2:3], 0x10
	v_and_b32_e32 v2, 0x3ff, v0
	s_waitcnt lgkmcnt(0)
	s_ashr_i32 s26, s5, 31
	s_add_u32 s6, s8, s6
	s_addc_u32 s7, s9, s7
	s_load_dwordx2 s[22:23], s[6:7], 0x0
	s_load_dwordx8 s[8:15], s[2:3], 0x30
	s_load_dwordx2 s[20:21], s[2:3], 0x58
	s_load_dword s30, s[2:3], 0x50
	s_waitcnt lgkmcnt(0)
	s_mul_i32 s6, s22, s26
	s_mul_hi_u32 s7, s22, s5
	s_add_i32 s6, s7, s6
	s_mul_i32 s7, s23, s5
	s_add_i32 s27, s6, s7
	s_lshr_b32 s6, s5, 31
	s_mul_i32 s26, s22, s5
	s_add_i32 s5, s5, s6
	s_ashr_i32 s22, s5, 1
	s_mul_i32 s5, s22, s30
	v_cmp_gt_i32_e32 vcc, s5, v2
	s_and_saveexec_b64 s[6:7], vcc
	s_cbranch_execz .LBB7_4
; %bb.2:
	s_load_dwordx2 s[34:35], s[2:3], 0x8
	s_load_dword s36, s[2:3], 0x8c
	s_lshl_b64 s[30:31], s[26:27], 2
	s_add_u32 s30, s24, s30
	s_mul_i32 s9, s4, s9
	s_mul_hi_u32 s33, s4, s8
	s_addc_u32 s31, s25, s31
	s_add_i32 s9, s33, s9
	s_mul_i32 s8, s4, s8
	s_ashr_i32 s23, s22, 31
	s_lshl_b64 s[8:9], s[8:9], 1
	s_waitcnt lgkmcnt(0)
	s_add_u32 s8, s34, s8
	s_addc_u32 s9, s35, s9
	s_abs_i32 s33, s22
	v_cvt_f32_u32_e32 v1, s33
	s_sub_i32 s34, 0, s33
	s_and_b32 s36, s36, 0xffff
	s_sub_i32 s37, 0, s22
	v_rcp_iflag_f32_e32 v1, v1
	v_lshlrev_b32_e32 v4, 1, v2
	s_lshl_b32 s39, s36, 1
	v_mov_b32_e32 v6, v2
	v_mul_f32_e32 v1, 0x4f7ffffe, v1
	v_cvt_u32_f32_e32 v1, v1
	v_mul_lo_u32 v3, s34, v1
	v_mul_hi_u32 v3, v1, v3
	s_lshl_b32 s34, s22, 1
	v_add_u32_e32 v1, v1, v3
	s_sub_i32 s38, 0, s34
	s_mov_b64 s[34:35], 0
.LBB7_3:                                ; =>This Inner Loop Header: Depth=1
	v_sub_u32_e32 v5, 0, v6
	v_max_i32_e32 v5, v6, v5
	v_mul_hi_u32 v7, v5, v1
	v_mul_lo_u32 v8, v7, s33
	v_sub_u32_e32 v5, v5, v8
	v_add_u32_e32 v9, 1, v7
	v_cmp_le_u32_e32 vcc, s33, v5
	v_subrev_u32_e32 v8, s33, v5
	v_ashrrev_i32_e32 v3, 31, v6
	v_cndmask_b32_e32 v7, v7, v9, vcc
	v_cndmask_b32_e32 v5, v5, v8, vcc
	v_add_u32_e32 v8, 1, v7
	v_cmp_le_u32_e32 vcc, s33, v5
	v_xor_b32_e32 v3, s23, v3
	s_nop 0
	v_cndmask_b32_e32 v5, v7, v8, vcc
	v_xor_b32_e32 v5, v5, v3
	v_sub_u32_e32 v3, v5, v3
	v_mad_u64_u32 v[8:9], s[40:41], s37, v3, v[6:7]
	v_ashrrev_i32_e32 v5, 31, v3
	v_ashrrev_i32_e32 v9, 31, v8
	v_mul_lo_u32 v7, v3, s11
	v_mad_u64_u32 v[10:11], s[40:41], v3, s10, 0
	v_mad_u64_u32 v[12:13], s[40:41], s38, v3, v[4:5]
	v_mul_lo_u32 v3, v5, s10
	v_lshl_add_u64 v[8:9], v[8:9], 2, s[30:31]
	v_add3_u32 v11, v11, v7, v3
	v_lshl_add_u64 v[14:15], s[22:23], 2, v[8:9]
	global_load_dword v3, v[8:9], off
	global_load_dword v5, v[14:15], off
	v_ashrrev_i32_e32 v13, 31, v12
	v_lshl_add_u64 v[10:11], v[10:11], 1, s[8:9]
	v_lshl_add_u64 v[8:9], v[12:13], 1, v[10:11]
	global_load_dword v7, v[8:9], off
	v_add_u32_e32 v6, s36, v6
	v_cmp_le_i32_e32 vcc, s5, v6
	v_add_u32_e32 v4, s39, v4
	s_or_b64 s[34:35], vcc, s[34:35]
	s_waitcnt vmcnt(2)
	v_cvt_f16_f32_e32 v3, v3
	s_waitcnt vmcnt(1)
	v_cvt_f16_f32_e32 v5, v5
	s_waitcnt vmcnt(0)
	v_mul_f16_sdwa v10, v7, v3 dst_sel:DWORD dst_unused:UNUSED_PAD src0_sel:WORD_1 src1_sel:DWORD
	v_mul_f16_sdwa v11, v7, v5 dst_sel:DWORD dst_unused:UNUSED_PAD src0_sel:WORD_1 src1_sel:DWORD
	v_fma_f16 v5, v7, v5, v10
	v_fma_f16 v3, v7, v3, -v11
	v_pack_b32_f16 v3, v3, v5
	global_store_dword v[8:9], v3, off
	s_andn2_b64 exec, exec, s[34:35]
	s_cbranch_execnz .LBB7_3
.LBB7_4:
	s_or_b64 exec, exec, s[6:7]
	s_load_dwordx4 s[8:11], s[2:3], 0x68
	s_waitcnt lgkmcnt(0)
	s_ashr_i32 s31, s11, 31
	s_mov_b32 s30, s11
	s_or_b64 s[6:7], s[28:29], s[30:31]
	s_mov_b32 s6, 0
	s_cmp_lg_u64 s[6:7], 0
	s_cbranch_scc0 .LBB7_14
; %bb.5:
	s_add_u32 s6, s30, s31
	s_mov_b32 s36, s31
	s_mov_b32 s37, s31
	s_addc_u32 s7, s31, s31
	s_xor_b64 s[38:39], s[6:7], s[36:37]
	v_cvt_f32_u32_e32 v1, s38
	v_cvt_f32_u32_e32 v3, s39
	s_sub_u32 s5, 0, s38
	s_subb_u32 s6, 0, s39
	v_fmamk_f32 v1, v3, 0x4f800000, v1
	v_rcp_f32_e32 v1, v1
	s_nop 0
	v_mul_f32_e32 v1, 0x5f7ffffc, v1
	v_mul_f32_e32 v3, 0x2f800000, v1
	v_trunc_f32_e32 v3, v3
	v_fmamk_f32 v1, v3, 0xcf800000, v1
	v_cvt_u32_f32_e32 v3, v3
	v_cvt_u32_f32_e32 v1, v1
	v_readfirstlane_b32 s7, v3
	v_readfirstlane_b32 s11, v1
	s_mul_i32 s23, s5, s7
	s_mul_hi_u32 s40, s5, s11
	s_mul_i32 s33, s6, s11
	s_add_i32 s23, s40, s23
	s_add_i32 s23, s23, s33
	s_mul_i32 s41, s5, s11
	s_mul_hi_u32 s33, s11, s23
	s_mul_i32 s40, s11, s23
	s_mul_hi_u32 s11, s11, s41
	s_add_u32 s11, s11, s40
	s_addc_u32 s33, 0, s33
	s_mul_hi_u32 s42, s7, s41
	s_mul_i32 s41, s7, s41
	s_add_u32 s11, s11, s41
	s_mul_hi_u32 s40, s7, s23
	s_addc_u32 s11, s33, s42
	s_addc_u32 s33, s40, 0
	s_mul_i32 s23, s7, s23
	s_add_u32 s11, s11, s23
	s_addc_u32 s23, 0, s33
	v_add_co_u32_e32 v1, vcc, s11, v1
	s_cmp_lg_u64 vcc, 0
	s_addc_u32 s7, s7, s23
	v_readfirstlane_b32 s23, v1
	s_mul_i32 s11, s5, s7
	s_mul_hi_u32 s33, s5, s23
	s_add_i32 s11, s33, s11
	s_mul_i32 s6, s6, s23
	s_add_i32 s11, s11, s6
	s_mul_i32 s5, s5, s23
	s_mul_hi_u32 s33, s7, s5
	s_mul_i32 s40, s7, s5
	s_mul_i32 s42, s23, s11
	s_mul_hi_u32 s5, s23, s5
	s_mul_hi_u32 s41, s23, s11
	s_add_u32 s5, s5, s42
	s_addc_u32 s23, 0, s41
	s_add_u32 s5, s5, s40
	s_mul_hi_u32 s6, s7, s11
	s_addc_u32 s5, s23, s33
	s_addc_u32 s6, s6, 0
	s_mul_i32 s11, s7, s11
	s_add_u32 s5, s5, s11
	s_addc_u32 s6, 0, s6
	v_add_co_u32_e32 v1, vcc, s5, v1
	s_cmp_lg_u64 vcc, 0
	s_addc_u32 s5, s7, s6
	s_ashr_i32 s40, s29, 31
	s_add_u32 s6, s28, s40
	s_mov_b32 s41, s40
	s_addc_u32 s7, s29, s40
	s_xor_b64 s[42:43], s[6:7], s[40:41]
	v_readfirstlane_b32 s11, v1
	s_mul_i32 s7, s42, s5
	s_mul_hi_u32 s23, s42, s11
	s_mul_hi_u32 s6, s42, s5
	s_add_u32 s7, s23, s7
	s_addc_u32 s6, 0, s6
	s_mul_hi_u32 s33, s43, s11
	s_mul_i32 s11, s43, s11
	s_add_u32 s7, s7, s11
	s_mul_hi_u32 s23, s43, s5
	s_addc_u32 s6, s6, s33
	s_addc_u32 s7, s23, 0
	s_mul_i32 s5, s43, s5
	s_add_u32 s5, s6, s5
	s_addc_u32 s11, 0, s7
	s_mul_i32 s6, s38, s11
	s_mul_hi_u32 s7, s38, s5
	s_add_i32 s6, s7, s6
	s_mul_i32 s7, s39, s5
	s_add_i32 s23, s6, s7
	s_mul_i32 s7, s38, s5
	v_mov_b32_e32 v1, s7
	s_sub_i32 s6, s43, s23
	v_sub_co_u32_e32 v1, vcc, s42, v1
	s_cmp_lg_u64 vcc, 0
	s_subb_u32 s33, s6, s39
	v_subrev_co_u32_e64 v3, s[6:7], s38, v1
	s_cmp_lg_u64 s[6:7], 0
	s_subb_u32 s6, s33, 0
	s_cmp_ge_u32 s6, s39
	v_readfirstlane_b32 s33, v3
	s_cselect_b32 s7, -1, 0
	s_cmp_ge_u32 s33, s38
	s_cselect_b32 s33, -1, 0
	s_cmp_eq_u32 s6, s39
	s_cselect_b32 s6, s33, s7
	s_add_u32 s7, s5, 1
	s_addc_u32 s33, s11, 0
	s_add_u32 s42, s5, 2
	s_addc_u32 s44, s11, 0
	s_cmp_lg_u32 s6, 0
	s_cselect_b32 s6, s42, s7
	s_cselect_b32 s7, s44, s33
	s_cmp_lg_u64 vcc, 0
	s_subb_u32 s23, s43, s23
	s_cmp_ge_u32 s23, s39
	v_readfirstlane_b32 s42, v1
	s_cselect_b32 s33, -1, 0
	s_cmp_ge_u32 s42, s38
	s_cselect_b32 s38, -1, 0
	s_cmp_eq_u32 s23, s39
	s_cselect_b32 s23, s38, s33
	s_cmp_lg_u32 s23, 0
	s_cselect_b32 s7, s7, s11
	s_cselect_b32 s6, s6, s5
	s_xor_b64 s[36:37], s[40:41], s[36:37]
	s_xor_b64 s[6:7], s[6:7], s[36:37]
	s_sub_u32 s6, s6, s36
	s_subb_u32 s7, s7, s37
	s_cbranch_execnz .LBB7_7
.LBB7_6:
	v_cvt_f32_u32_e32 v1, s30
	s_sub_i32 s5, 0, s30
	s_mov_b32 s7, 0
	v_rcp_iflag_f32_e32 v1, v1
	s_nop 0
	v_mul_f32_e32 v1, 0x4f7ffffe, v1
	v_cvt_u32_f32_e32 v1, v1
	s_nop 0
	v_readfirstlane_b32 s6, v1
	s_mul_i32 s5, s5, s6
	s_mul_hi_u32 s5, s6, s5
	s_add_i32 s6, s6, s5
	s_mul_hi_u32 s5, s28, s6
	s_mul_i32 s11, s5, s30
	s_sub_i32 s11, s28, s11
	s_add_i32 s6, s5, 1
	s_sub_i32 s23, s11, s30
	s_cmp_ge_u32 s11, s30
	s_cselect_b32 s5, s6, s5
	s_cselect_b32 s11, s23, s11
	s_add_i32 s6, s5, 1
	s_cmp_ge_u32 s11, s30
	s_cselect_b32 s6, s6, s5
.LBB7_7:
	s_mul_i32 s5, s6, s31
	s_mul_hi_u32 s11, s6, s30
	s_add_i32 s5, s11, s5
	s_mul_i32 s11, s7, s30
	s_add_i32 s5, s5, s11
	s_mul_i32 s11, s6, s30
	s_sub_u32 s33, s28, s11
	s_subb_u32 s5, s29, s5
	v_cmp_gt_i32_e32 vcc, s22, v2
	s_mul_hi_u32 s36, s6, s8
	s_mul_i32 s37, s7, s8
	s_mul_i32 s30, s6, s8
	s_mul_hi_u32 s7, s33, s9
	s_mul_i32 s5, s5, s9
	s_mul_i32 s28, s33, s9
	s_and_saveexec_b64 s[34:35], vcc
	s_cbranch_execz .LBB7_10
; %bb.8:
	s_load_dwordx2 s[0:1], s[0:1], 0x4
	s_ashr_i32 s23, s22, 31
	s_load_dword s29, s[2:3], 0x8c
	s_ashr_i32 s39, s9, 31
	s_ashr_i32 s11, s10, 31
	s_waitcnt lgkmcnt(0)
	s_lshr_b32 s0, s0, 16
	s_mul_i32 s0, s0, s1
	v_mul_lo_u32 v3, s0, v2
	s_ashr_i32 s0, s8, 31
	s_and_b32 s38, s29, 0xffff
	s_lshl_b64 s[26:27], s[26:27], 2
	s_add_u32 s24, s24, s26
	s_mul_i32 s0, s6, s0
	s_addc_u32 s25, s25, s27
	s_add_i32 s0, s36, s0
	s_add_i32 s31, s0, s37
	s_mul_i32 s0, s33, s39
	v_bfe_u32 v1, v0, 10, 10
	s_add_i32 s0, s7, s0
	v_bfe_u32 v0, v0, 20, 10
	v_mad_u32_u24 v1, v1, s1, v3
	v_lshlrev_b32_e32 v8, 2, v2
	v_mov_b32_e32 v9, 0
	s_add_i32 s29, s0, s5
	v_add_lshl_u32 v3, v1, v0, 1
	v_lshl_add_u64 v[0:1], s[24:25], 0, v[8:9]
	s_lshl_b32 s24, s38, 2
	s_lshl_b64 s[26:27], s[30:31], 2
	s_lshl_b64 s[40:41], s[28:29], 2
	s_add_u32 s0, s26, s40
	v_lshl_add_u64 v[4:5], s[22:23], 2, v[0:1]
	s_addc_u32 s23, s27, s41
	s_lshl_b64 s[26:27], s[10:11], 2
	s_add_u32 s11, s20, s26
	s_addc_u32 s25, s21, s27
	s_add_u32 s26, s11, s0
	s_mul_i32 s11, s13, s4
	s_mul_hi_u32 s13, s12, s4
	s_addc_u32 s27, s25, s23
	s_add_i32 s13, s13, s11
	s_mul_i32 s12, s12, s4
	s_lshl_b32 s0, s38, 3
	s_lshl_b64 s[12:13], s[12:13], 1
	s_add_u32 s12, s16, s12
	v_lshlrev_b32_e32 v6, 3, v2
	v_mov_b32_e32 v7, v9
	s_addc_u32 s13, s17, s13
	v_add_u32_e32 v10, 0x800, v3
	s_mov_b32 s1, 0
	v_lshl_add_u64 v[6:7], s[26:27], 0, v[6:7]
	v_lshl_add_u64 v[8:9], s[12:13], 0, v[8:9]
	s_mov_b64 s[12:13], 0
	s_mov_b64 s[16:17], 0
	v_mov_b32_e32 v11, v2
.LBB7_9:                                ; =>This Inner Loop Header: Depth=1
	v_lshl_add_u64 v[14:15], v[4:5], 0, s[16:17]
	v_lshl_add_u64 v[12:13], v[0:1], 0, s[16:17]
	;; [unrolled: 1-line block ×3, first 2 shown]
	global_load_dword v18, v[14:15], off
	global_load_dword v19, v[12:13], off
	;; [unrolled: 1-line block ×3, first 2 shown]
	v_add_u32_e32 v11, s38, v11
	s_add_u32 s16, s16, s24
	s_addc_u32 s17, s17, 0
	v_cmp_le_i32_e32 vcc, s22, v11
	s_or_b64 s[12:13], vcc, s[12:13]
	s_waitcnt vmcnt(2)
	v_cvt_f16_f32_e32 v12, v18
	s_waitcnt vmcnt(1)
	v_cvt_f16_f32_e32 v13, v19
	s_waitcnt vmcnt(0)
	v_mul_f16_sdwa v14, v20, v12 dst_sel:DWORD dst_unused:UNUSED_PAD src0_sel:WORD_1 src1_sel:DWORD
	v_mul_f16_sdwa v15, v20, v13 dst_sel:DWORD dst_unused:UNUSED_PAD src0_sel:WORD_1 src1_sel:DWORD
	v_fma_f16 v14, v20, v13, -v14
	v_fma_f16 v15, v20, v12, v15
	ds_write_b16 v10, v14
	ds_write_b16 v3, v15
	ds_read_b32 v12, v10
	ds_read_b32 v13, v3
	v_pack_b32_f16 v14, v14, v15
	global_store_dword v[16:17], v14, off
	s_waitcnt lgkmcnt(0)
	global_store_dwordx2 v[6:7], v[12:13], off
	v_lshl_add_u64 v[6:7], v[6:7], 0, s[0:1]
	s_andn2_b64 exec, exec, s[12:13]
	s_cbranch_execnz .LBB7_9
.LBB7_10:
	s_or_b64 exec, exec, s[34:35]
	v_cmp_gt_i32_e32 vcc, s10, v2
	s_and_saveexec_b64 s[0:1], vcc
	s_cbranch_execz .LBB7_13
; %bb.11:
	s_mul_i32 s0, s4, s15
	s_mul_hi_u32 s1, s4, s14
	s_add_i32 s1, s1, s0
	s_mul_i32 s0, s4, s14
	s_lshl_b64 s[0:1], s[0:1], 1
	s_add_u32 s0, s18, s0
	s_addc_u32 s1, s19, s1
	s_ashr_i32 s4, s8, 31
	s_mul_i32 s4, s6, s4
	s_add_i32 s4, s36, s4
	s_add_i32 s31, s4, s37
	s_lshl_b64 s[12:13], s[30:31], 2
	s_add_u32 s4, s20, s12
	s_addc_u32 s6, s21, s13
	s_ashr_i32 s8, s9, 31
	s_mul_i32 s33, s33, s8
	s_load_dword s8, s[2:3], 0x8c
	s_add_i32 s7, s7, s33
	s_add_i32 s29, s7, s5
	s_lshl_b64 s[2:3], s[28:29], 2
	s_add_u32 s2, s4, s2
	s_addc_u32 s3, s6, s3
	s_waitcnt lgkmcnt(0)
	s_and_b32 s6, s8, 0xffff
	s_mov_b64 s[4:5], 0
.LBB7_12:                               ; =>This Inner Loop Header: Depth=1
	v_ashrrev_i32_e32 v3, 31, v2
	v_lshl_add_u64 v[0:1], v[2:3], 1, s[0:1]
	global_load_dword v4, v[0:1], off
	v_lshl_add_u64 v[0:1], v[2:3], 2, s[2:3]
	v_add_u32_e32 v2, s6, v2
	v_cmp_le_i32_e32 vcc, s10, v2
	s_or_b64 s[4:5], vcc, s[4:5]
	s_waitcnt vmcnt(0)
	global_store_dword v[0:1], v4, off
	s_andn2_b64 exec, exec, s[4:5]
	s_cbranch_execnz .LBB7_12
.LBB7_13:
	s_endpgm
.LBB7_14:
                                        ; implicit-def: $sgpr6_sgpr7
	s_branch .LBB7_6
	.section	.rodata,"a",@progbits
	.p2align	6, 0x0
	.amdhsa_kernel _ZN4vllm38concat_and_cache_mla_rope_fused_kernelIN3c104HalfEfLb0EffLNS_18Fp8KVCacheDataTypeE0EEEvPKlPT_S7_PKS6_PKT0_illlliPT3_S5_iiiiPKf
		.amdhsa_group_segment_fixed_size 4096
		.amdhsa_private_segment_fixed_size 0
		.amdhsa_kernarg_size 384
		.amdhsa_user_sgpr_count 4
		.amdhsa_user_sgpr_dispatch_ptr 1
		.amdhsa_user_sgpr_queue_ptr 0
		.amdhsa_user_sgpr_kernarg_segment_ptr 1
		.amdhsa_user_sgpr_dispatch_id 0
		.amdhsa_user_sgpr_kernarg_preload_length 0
		.amdhsa_user_sgpr_kernarg_preload_offset 0
		.amdhsa_user_sgpr_private_segment_size 0
		.amdhsa_uses_dynamic_stack 0
		.amdhsa_enable_private_segment 0
		.amdhsa_system_sgpr_workgroup_id_x 1
		.amdhsa_system_sgpr_workgroup_id_y 0
		.amdhsa_system_sgpr_workgroup_id_z 0
		.amdhsa_system_sgpr_workgroup_info 0
		.amdhsa_system_vgpr_workitem_id 2
		.amdhsa_next_free_vgpr 21
		.amdhsa_next_free_sgpr 45
		.amdhsa_accum_offset 24
		.amdhsa_reserve_vcc 1
		.amdhsa_float_round_mode_32 0
		.amdhsa_float_round_mode_16_64 0
		.amdhsa_float_denorm_mode_32 3
		.amdhsa_float_denorm_mode_16_64 3
		.amdhsa_dx10_clamp 1
		.amdhsa_ieee_mode 1
		.amdhsa_fp16_overflow 0
		.amdhsa_tg_split 0
		.amdhsa_exception_fp_ieee_invalid_op 0
		.amdhsa_exception_fp_denorm_src 0
		.amdhsa_exception_fp_ieee_div_zero 0
		.amdhsa_exception_fp_ieee_overflow 0
		.amdhsa_exception_fp_ieee_underflow 0
		.amdhsa_exception_fp_ieee_inexact 0
		.amdhsa_exception_int_div_zero 0
	.end_amdhsa_kernel
	.section	.text._ZN4vllm38concat_and_cache_mla_rope_fused_kernelIN3c104HalfEfLb0EffLNS_18Fp8KVCacheDataTypeE0EEEvPKlPT_S7_PKS6_PKT0_illlliPT3_S5_iiiiPKf,"axG",@progbits,_ZN4vllm38concat_and_cache_mla_rope_fused_kernelIN3c104HalfEfLb0EffLNS_18Fp8KVCacheDataTypeE0EEEvPKlPT_S7_PKS6_PKT0_illlliPT3_S5_iiiiPKf,comdat
.Lfunc_end7:
	.size	_ZN4vllm38concat_and_cache_mla_rope_fused_kernelIN3c104HalfEfLb0EffLNS_18Fp8KVCacheDataTypeE0EEEvPKlPT_S7_PKS6_PKT0_illlliPT3_S5_iiiiPKf, .Lfunc_end7-_ZN4vllm38concat_and_cache_mla_rope_fused_kernelIN3c104HalfEfLb0EffLNS_18Fp8KVCacheDataTypeE0EEEvPKlPT_S7_PKS6_PKT0_illlliPT3_S5_iiiiPKf
                                        ; -- End function
	.section	.AMDGPU.csdata,"",@progbits
; Kernel info:
; codeLenInByte = 2048
; NumSgprs: 51
; NumVgprs: 21
; NumAgprs: 0
; TotalNumVgprs: 21
; ScratchSize: 0
; MemoryBound: 0
; FloatMode: 240
; IeeeMode: 1
; LDSByteSize: 4096 bytes/workgroup (compile time only)
; SGPRBlocks: 6
; VGPRBlocks: 2
; NumSGPRsForWavesPerEU: 51
; NumVGPRsForWavesPerEU: 21
; AccumOffset: 24
; Occupancy: 8
; WaveLimiterHint : 1
; COMPUTE_PGM_RSRC2:SCRATCH_EN: 0
; COMPUTE_PGM_RSRC2:USER_SGPR: 4
; COMPUTE_PGM_RSRC2:TRAP_HANDLER: 0
; COMPUTE_PGM_RSRC2:TGID_X_EN: 1
; COMPUTE_PGM_RSRC2:TGID_Y_EN: 0
; COMPUTE_PGM_RSRC2:TGID_Z_EN: 0
; COMPUTE_PGM_RSRC2:TIDIG_COMP_CNT: 2
; COMPUTE_PGM_RSRC3_GFX90A:ACCUM_OFFSET: 5
; COMPUTE_PGM_RSRC3_GFX90A:TG_SPLIT: 0
	.section	.text._ZN4vllm38concat_and_cache_mla_rope_fused_kernelIN3c104HalfES2_Lb1EffLNS_18Fp8KVCacheDataTypeE0EEEvPKlPT_S7_PKS6_PKT0_illlliPT3_S5_iiiiPKf,"axG",@progbits,_ZN4vllm38concat_and_cache_mla_rope_fused_kernelIN3c104HalfES2_Lb1EffLNS_18Fp8KVCacheDataTypeE0EEEvPKlPT_S7_PKS6_PKT0_illlliPT3_S5_iiiiPKf,comdat
	.protected	_ZN4vllm38concat_and_cache_mla_rope_fused_kernelIN3c104HalfES2_Lb1EffLNS_18Fp8KVCacheDataTypeE0EEEvPKlPT_S7_PKS6_PKT0_illlliPT3_S5_iiiiPKf ; -- Begin function _ZN4vllm38concat_and_cache_mla_rope_fused_kernelIN3c104HalfES2_Lb1EffLNS_18Fp8KVCacheDataTypeE0EEEvPKlPT_S7_PKS6_PKT0_illlliPT3_S5_iiiiPKf
	.globl	_ZN4vllm38concat_and_cache_mla_rope_fused_kernelIN3c104HalfES2_Lb1EffLNS_18Fp8KVCacheDataTypeE0EEEvPKlPT_S7_PKS6_PKT0_illlliPT3_S5_iiiiPKf
	.p2align	8
	.type	_ZN4vllm38concat_and_cache_mla_rope_fused_kernelIN3c104HalfES2_Lb1EffLNS_18Fp8KVCacheDataTypeE0EEEvPKlPT_S7_PKS6_PKT0_illlliPT3_S5_iiiiPKf,@function
_ZN4vllm38concat_and_cache_mla_rope_fused_kernelIN3c104HalfES2_Lb1EffLNS_18Fp8KVCacheDataTypeE0EEEvPKlPT_S7_PKS6_PKT0_illlliPT3_S5_iiiiPKf: ; @_ZN4vllm38concat_and_cache_mla_rope_fused_kernelIN3c104HalfES2_Lb1EffLNS_18Fp8KVCacheDataTypeE0EEEvPKlPT_S7_PKS6_PKT0_illlliPT3_S5_iiiiPKf
; %bb.0:
	s_load_dwordx2 s[8:9], s[2:3], 0x60
	s_mov_b32 s5, 0
	s_lshl_b64 s[6:7], s[4:5], 3
	s_waitcnt lgkmcnt(0)
	s_add_u32 s8, s8, s6
	s_addc_u32 s9, s9, s7
	s_load_dwordx2 s[30:31], s[8:9], 0x0
	s_waitcnt lgkmcnt(0)
	v_cmp_lt_i64_e64 s[8:9], s[30:31], 0
	s_and_b64 vcc, exec, s[8:9]
	s_cbranch_vccnz .LBB8_13
; %bb.1:
	s_load_dword s5, s[2:3], 0x28
	s_load_dwordx2 s[8:9], s[2:3], 0x0
	s_load_dwordx2 s[26:27], s[2:3], 0x20
	s_load_dwordx4 s[16:19], s[2:3], 0x10
	v_and_b32_e32 v2, 0x3ff, v0
	s_waitcnt lgkmcnt(0)
	s_ashr_i32 s24, s5, 31
	s_add_u32 s6, s8, s6
	s_addc_u32 s7, s9, s7
	s_load_dwordx2 s[22:23], s[6:7], 0x0
	s_load_dwordx8 s[8:15], s[2:3], 0x30
	s_load_dwordx2 s[20:21], s[2:3], 0x58
	s_load_dword s25, s[2:3], 0x50
	s_waitcnt lgkmcnt(0)
	s_mul_i32 s6, s22, s24
	s_mul_hi_u32 s7, s22, s5
	s_add_i32 s6, s7, s6
	s_mul_i32 s7, s23, s5
	s_add_i32 s7, s6, s7
	s_mul_i32 s6, s22, s5
	s_lshl_b64 s[28:29], s[6:7], 1
	s_add_u32 s22, s26, s28
	s_addc_u32 s23, s27, s29
	s_lshr_b32 s6, s5, 31
	s_add_i32 s5, s5, s6
	s_ashr_i32 s24, s5, 1
	s_mul_i32 s5, s24, s25
	v_cmp_gt_i32_e32 vcc, s5, v2
	s_and_saveexec_b64 s[6:7], vcc
	s_cbranch_execz .LBB8_4
; %bb.2:
	s_load_dwordx2 s[34:35], s[2:3], 0x8
	s_load_dword s36, s[2:3], 0x8c
	s_mul_i32 s9, s4, s9
	s_mul_hi_u32 s33, s4, s8
	s_add_i32 s9, s33, s9
	s_mul_i32 s8, s4, s8
	s_ashr_i32 s25, s24, 31
	s_lshl_b64 s[8:9], s[8:9], 1
	s_waitcnt lgkmcnt(0)
	s_add_u32 s8, s34, s8
	s_addc_u32 s9, s35, s9
	s_abs_i32 s33, s24
	v_cvt_f32_u32_e32 v1, s33
	s_sub_i32 s40, 0, s33
	s_mov_b64 s[34:35], 0
	s_and_b32 s38, s36, 0xffff
	v_rcp_iflag_f32_e32 v1, v1
	s_sub_i32 s39, 0, s24
	s_lshl_b64 s[36:37], s[24:25], 1
	v_mov_b32_e32 v4, v2
	v_mul_f32_e32 v1, 0x4f7ffffe, v1
	v_cvt_u32_f32_e32 v1, v1
	v_mul_lo_u32 v3, s40, v1
	v_mul_hi_u32 v3, v1, v3
	v_add_u32_e32 v1, v1, v3
.LBB8_3:                                ; =>This Inner Loop Header: Depth=1
	v_sub_u32_e32 v5, 0, v4
	v_max_i32_e32 v5, v4, v5
	v_mul_hi_u32 v6, v5, v1
	v_mul_lo_u32 v7, v6, s33
	v_sub_u32_e32 v5, v5, v7
	v_add_u32_e32 v8, 1, v6
	v_cmp_le_u32_e32 vcc, s33, v5
	v_subrev_u32_e32 v7, s33, v5
	v_ashrrev_i32_e32 v3, 31, v4
	v_cndmask_b32_e32 v6, v6, v8, vcc
	v_cndmask_b32_e32 v5, v5, v7, vcc
	v_add_u32_e32 v7, 1, v6
	v_cmp_le_u32_e32 vcc, s33, v5
	v_xor_b32_e32 v3, s25, v3
	s_nop 0
	v_cndmask_b32_e32 v5, v6, v7, vcc
	v_xor_b32_e32 v5, v5, v3
	v_sub_u32_e32 v3, v5, v3
	v_mad_u64_u32 v[6:7], s[40:41], s39, v3, v[4:5]
	v_ashrrev_i32_e32 v5, 31, v3
	v_mul_lo_u32 v10, v3, s11
	v_mad_u64_u32 v[8:9], s[40:41], v3, s10, 0
	v_mul_lo_u32 v3, v5, s10
	v_ashrrev_i32_e32 v7, 31, v6
	v_add3_u32 v9, v9, v10, v3
	v_lshlrev_b64 v[6:7], 1, v[6:7]
	v_lshl_add_u64 v[8:9], v[8:9], 1, s[8:9]
	v_lshl_add_u64 v[10:11], s[22:23], 0, v[6:7]
	;; [unrolled: 1-line block ×4, first 2 shown]
	global_load_ushort v3, v[10:11], off
	global_load_ushort v5, v[12:13], off
	v_lshl_add_u64 v[8:9], v[6:7], 0, s[36:37]
	global_load_ushort v10, v[6:7], off
	global_load_ushort v11, v[8:9], off
	v_add_u32_e32 v4, s38, v4
	v_cmp_le_i32_e32 vcc, s5, v4
	s_or_b64 s[34:35], vcc, s[34:35]
	s_waitcnt vmcnt(0)
	v_mul_f16_e32 v12, v5, v11
	v_mul_f16_e32 v11, v3, v11
	v_fma_f16 v3, v3, v10, -v12
	v_fma_f16 v5, v5, v10, v11
	global_store_short v[6:7], v3, off
	global_store_short v[8:9], v5, off
	s_andn2_b64 exec, exec, s[34:35]
	s_cbranch_execnz .LBB8_3
.LBB8_4:
	s_or_b64 exec, exec, s[6:7]
	s_load_dwordx4 s[8:11], s[2:3], 0x68
	s_waitcnt lgkmcnt(0)
	s_ashr_i32 s35, s11, 31
	s_mov_b32 s34, s11
	s_or_b64 s[6:7], s[30:31], s[34:35]
	s_mov_b32 s6, 0
	s_cmp_lg_u64 s[6:7], 0
	s_cbranch_scc0 .LBB8_14
; %bb.5:
	s_add_u32 s6, s34, s35
	s_mov_b32 s38, s35
	s_mov_b32 s39, s35
	s_addc_u32 s7, s35, s35
	s_xor_b64 s[40:41], s[6:7], s[38:39]
	v_cvt_f32_u32_e32 v1, s40
	v_cvt_f32_u32_e32 v3, s41
	s_sub_u32 s5, 0, s40
	s_subb_u32 s6, 0, s41
	v_fmamk_f32 v1, v3, 0x4f800000, v1
	v_rcp_f32_e32 v1, v1
	s_nop 0
	v_mul_f32_e32 v1, 0x5f7ffffc, v1
	v_mul_f32_e32 v3, 0x2f800000, v1
	v_trunc_f32_e32 v3, v3
	v_fmamk_f32 v1, v3, 0xcf800000, v1
	v_cvt_u32_f32_e32 v3, v3
	v_cvt_u32_f32_e32 v1, v1
	v_readfirstlane_b32 s7, v3
	v_readfirstlane_b32 s11, v1
	s_mul_i32 s25, s5, s7
	s_mul_hi_u32 s42, s5, s11
	s_mul_i32 s33, s6, s11
	s_add_i32 s25, s42, s25
	s_add_i32 s25, s25, s33
	s_mul_i32 s43, s5, s11
	s_mul_hi_u32 s33, s11, s25
	s_mul_i32 s42, s11, s25
	s_mul_hi_u32 s11, s11, s43
	s_add_u32 s11, s11, s42
	s_addc_u32 s33, 0, s33
	s_mul_hi_u32 s44, s7, s43
	s_mul_i32 s43, s7, s43
	s_add_u32 s11, s11, s43
	s_mul_hi_u32 s42, s7, s25
	s_addc_u32 s11, s33, s44
	s_addc_u32 s33, s42, 0
	s_mul_i32 s25, s7, s25
	s_add_u32 s11, s11, s25
	s_addc_u32 s25, 0, s33
	v_add_co_u32_e32 v1, vcc, s11, v1
	s_cmp_lg_u64 vcc, 0
	s_addc_u32 s7, s7, s25
	v_readfirstlane_b32 s25, v1
	s_mul_i32 s11, s5, s7
	s_mul_hi_u32 s33, s5, s25
	s_add_i32 s11, s33, s11
	s_mul_i32 s6, s6, s25
	s_add_i32 s11, s11, s6
	s_mul_i32 s5, s5, s25
	s_mul_hi_u32 s33, s7, s5
	s_mul_i32 s42, s7, s5
	s_mul_i32 s44, s25, s11
	s_mul_hi_u32 s5, s25, s5
	s_mul_hi_u32 s43, s25, s11
	s_add_u32 s5, s5, s44
	s_addc_u32 s25, 0, s43
	s_add_u32 s5, s5, s42
	s_mul_hi_u32 s6, s7, s11
	s_addc_u32 s5, s25, s33
	s_addc_u32 s6, s6, 0
	s_mul_i32 s11, s7, s11
	s_add_u32 s5, s5, s11
	s_addc_u32 s6, 0, s6
	v_add_co_u32_e32 v1, vcc, s5, v1
	s_cmp_lg_u64 vcc, 0
	s_addc_u32 s5, s7, s6
	s_ashr_i32 s42, s31, 31
	s_add_u32 s6, s30, s42
	s_mov_b32 s43, s42
	s_addc_u32 s7, s31, s42
	s_xor_b64 s[44:45], s[6:7], s[42:43]
	v_readfirstlane_b32 s11, v1
	s_mul_i32 s7, s44, s5
	s_mul_hi_u32 s25, s44, s11
	s_mul_hi_u32 s6, s44, s5
	s_add_u32 s7, s25, s7
	s_addc_u32 s6, 0, s6
	s_mul_hi_u32 s33, s45, s11
	s_mul_i32 s11, s45, s11
	s_add_u32 s7, s7, s11
	s_mul_hi_u32 s25, s45, s5
	s_addc_u32 s6, s6, s33
	s_addc_u32 s7, s25, 0
	s_mul_i32 s5, s45, s5
	s_add_u32 s5, s6, s5
	s_addc_u32 s11, 0, s7
	s_mul_i32 s6, s40, s11
	s_mul_hi_u32 s7, s40, s5
	s_add_i32 s6, s7, s6
	s_mul_i32 s7, s41, s5
	s_add_i32 s25, s6, s7
	s_mul_i32 s7, s40, s5
	v_mov_b32_e32 v1, s7
	s_sub_i32 s6, s45, s25
	v_sub_co_u32_e32 v1, vcc, s44, v1
	s_cmp_lg_u64 vcc, 0
	s_subb_u32 s33, s6, s41
	v_subrev_co_u32_e64 v3, s[6:7], s40, v1
	s_cmp_lg_u64 s[6:7], 0
	s_subb_u32 s6, s33, 0
	s_cmp_ge_u32 s6, s41
	v_readfirstlane_b32 s33, v3
	s_cselect_b32 s7, -1, 0
	s_cmp_ge_u32 s33, s40
	s_cselect_b32 s33, -1, 0
	s_cmp_eq_u32 s6, s41
	s_cselect_b32 s6, s33, s7
	s_add_u32 s7, s5, 1
	s_addc_u32 s33, s11, 0
	s_add_u32 s44, s5, 2
	s_addc_u32 s46, s11, 0
	s_cmp_lg_u32 s6, 0
	s_cselect_b32 s6, s44, s7
	s_cselect_b32 s7, s46, s33
	s_cmp_lg_u64 vcc, 0
	s_subb_u32 s25, s45, s25
	s_cmp_ge_u32 s25, s41
	v_readfirstlane_b32 s44, v1
	s_cselect_b32 s33, -1, 0
	s_cmp_ge_u32 s44, s40
	s_cselect_b32 s40, -1, 0
	s_cmp_eq_u32 s25, s41
	s_cselect_b32 s25, s40, s33
	s_cmp_lg_u32 s25, 0
	s_cselect_b32 s7, s7, s11
	s_cselect_b32 s6, s6, s5
	s_xor_b64 s[38:39], s[42:43], s[38:39]
	s_xor_b64 s[6:7], s[6:7], s[38:39]
	s_sub_u32 s6, s6, s38
	s_subb_u32 s7, s7, s39
	s_cbranch_execnz .LBB8_7
.LBB8_6:
	v_cvt_f32_u32_e32 v1, s34
	s_sub_i32 s5, 0, s34
	s_mov_b32 s7, 0
	v_rcp_iflag_f32_e32 v1, v1
	s_nop 0
	v_mul_f32_e32 v1, 0x4f7ffffe, v1
	v_cvt_u32_f32_e32 v1, v1
	s_nop 0
	v_readfirstlane_b32 s6, v1
	s_mul_i32 s5, s5, s6
	s_mul_hi_u32 s5, s6, s5
	s_add_i32 s6, s6, s5
	s_mul_hi_u32 s5, s30, s6
	s_mul_i32 s11, s5, s34
	s_sub_i32 s11, s30, s11
	s_add_i32 s6, s5, 1
	s_sub_i32 s25, s11, s34
	s_cmp_ge_u32 s11, s34
	s_cselect_b32 s5, s6, s5
	s_cselect_b32 s11, s25, s11
	s_add_i32 s6, s5, 1
	s_cmp_ge_u32 s11, s34
	s_cselect_b32 s6, s6, s5
.LBB8_7:
	s_mul_i32 s5, s6, s35
	s_mul_hi_u32 s11, s6, s34
	s_add_i32 s5, s11, s5
	s_mul_i32 s11, s7, s34
	s_add_i32 s5, s5, s11
	s_mul_i32 s11, s6, s34
	s_sub_u32 s33, s30, s11
	s_subb_u32 s5, s31, s5
	v_cmp_gt_i32_e32 vcc, s24, v2
	s_mul_hi_u32 s40, s6, s8
	s_mul_i32 s41, s7, s8
	s_mul_i32 s34, s6, s8
	s_mul_hi_u32 s7, s33, s9
	s_mul_i32 s5, s5, s9
	s_mul_i32 s30, s33, s9
	s_and_saveexec_b64 s[36:37], vcc
	s_cbranch_execz .LBB8_10
; %bb.8:
	s_load_dwordx2 s[0:1], s[0:1], 0x4
	v_bfe_u32 v1, v0, 10, 10
	s_mul_i32 s11, s4, s13
	s_ashr_i32 s25, s24, 31
	v_bfe_u32 v0, v0, 20, 10
	s_waitcnt lgkmcnt(0)
	s_lshr_b32 s0, s0, 16
	s_mul_i32 s0, s0, s1
	v_mul_lo_u32 v3, s0, v2
	s_mul_hi_u32 s0, s4, s12
	v_mad_u32_u24 v1, v1, s1, v3
	s_add_i32 s1, s0, s11
	s_mul_i32 s0, s4, s12
	s_load_dword s12, s[2:3], 0x8c
	s_lshl_b64 s[38:39], s[0:1], 1
	s_add_u32 s0, s16, s38
	s_addc_u32 s1, s17, s39
	s_ashr_i32 s31, s8, 31
	s_waitcnt lgkmcnt(0)
	s_and_b32 s42, s12, 0xffff
	s_ashr_i32 s46, s9, 31
	s_ashr_i32 s11, s10, 31
	s_lshl_b32 s43, s42, 1
	s_lshl_b64 s[44:45], s[24:25], 1
	s_add_u32 s12, s28, s44
	s_addc_u32 s28, s29, s45
	s_add_u32 s26, s26, s12
	s_addc_u32 s27, s27, s28
	;; [unrolled: 2-line block ×3, first 2 shown]
	s_add_u32 s16, s16, s12
	s_mul_i32 s12, s6, s31
	s_addc_u32 s17, s17, s28
	s_add_i32 s12, s40, s12
	s_add_i32 s35, s12, s41
	s_mul_i32 s12, s33, s46
	s_add_i32 s12, s7, s12
	s_add_i32 s31, s12, s5
	s_lshl_b64 s[28:29], s[24:25], 2
	s_lshl_b64 s[38:39], s[34:35], 2
	;; [unrolled: 1-line block ×3, first 2 shown]
	s_add_u32 s12, s38, s44
	s_addc_u32 s25, s39, s45
	s_lshl_b64 s[38:39], s[10:11], 2
	s_add_u32 s11, s12, s38
	s_addc_u32 s12, s25, s39
	v_add_lshl_u32 v3, v1, v0, 1
	v_mov_b32_e32 v1, 0
	s_add_u32 s38, s20, s11
	v_lshlrev_b32_e32 v4, 2, v2
	v_mov_b32_e32 v5, v1
	s_addc_u32 s39, s21, s12
	v_add_u32_e32 v6, 0x800, v3
	v_lshlrev_b32_e32 v0, 1, v2
	s_mov_b32 s13, 0
	v_lshl_add_u64 v[4:5], s[38:39], 0, v[4:5]
	s_lshl_b32 s12, s42, 2
	s_mov_b64 s[38:39], 0
	v_mov_b32_e32 v7, v2
.LBB8_9:                                ; =>This Inner Loop Header: Depth=1
	v_lshl_add_u64 v[10:11], s[26:27], 0, v[0:1]
	v_lshl_add_u64 v[8:9], s[22:23], 0, v[0:1]
	;; [unrolled: 1-line block ×4, first 2 shown]
	global_load_ushort v16, v[10:11], off
	global_load_ushort v17, v[14:15], off
	;; [unrolled: 1-line block ×4, first 2 shown]
	s_add_u32 s22, s22, s43
	s_addc_u32 s23, s23, 0
	s_add_u32 s26, s26, s43
	s_addc_u32 s27, s27, 0
	s_add_u32 s16, s16, s43
	s_addc_u32 s17, s17, 0
	v_add_u32_e32 v7, s42, v7
	s_add_u32 s0, s0, s43
	v_cmp_le_i32_e32 vcc, s24, v7
	s_addc_u32 s1, s1, 0
	v_lshl_add_u64 v[8:9], v[4:5], 0, s[28:29]
	s_or_b64 s[38:39], vcc, s[38:39]
	s_waitcnt vmcnt(2)
	v_mul_f16_e32 v10, v16, v17
	s_waitcnt vmcnt(1)
	v_mul_f16_e32 v11, v18, v17
	s_waitcnt vmcnt(0)
	v_fma_f16 v10, v18, v19, -v10
	v_fma_f16 v11, v16, v19, v11
	ds_write_b16 v6, v10
	ds_write_b16 v3, v11
	ds_read_b32 v16, v6
	ds_read_b32 v17, v3
	global_store_short v[12:13], v10, off
	global_store_short v[14:15], v11, off
	s_waitcnt lgkmcnt(1)
	global_store_dword v[4:5], v16, off
	s_waitcnt lgkmcnt(0)
	global_store_dword v[8:9], v17, off
	v_lshl_add_u64 v[4:5], v[4:5], 0, s[12:13]
	s_andn2_b64 exec, exec, s[38:39]
	s_cbranch_execnz .LBB8_9
.LBB8_10:
	s_or_b64 exec, exec, s[36:37]
	v_cmp_gt_i32_e32 vcc, s10, v2
	s_and_saveexec_b64 s[0:1], vcc
	s_cbranch_execz .LBB8_13
; %bb.11:
	s_mul_i32 s0, s4, s15
	s_mul_hi_u32 s1, s4, s14
	s_add_i32 s1, s1, s0
	s_mul_i32 s0, s4, s14
	s_lshl_b64 s[0:1], s[0:1], 1
	s_add_u32 s0, s18, s0
	s_addc_u32 s1, s19, s1
	s_ashr_i32 s4, s8, 31
	s_mul_i32 s4, s6, s4
	s_add_i32 s4, s40, s4
	s_add_i32 s35, s4, s41
	s_lshl_b64 s[12:13], s[34:35], 2
	s_add_u32 s4, s20, s12
	s_addc_u32 s6, s21, s13
	s_ashr_i32 s8, s9, 31
	s_mul_i32 s33, s33, s8
	s_load_dword s8, s[2:3], 0x8c
	s_add_i32 s7, s7, s33
	s_add_i32 s31, s7, s5
	s_lshl_b64 s[2:3], s[30:31], 2
	s_add_u32 s2, s4, s2
	s_addc_u32 s3, s6, s3
	s_waitcnt lgkmcnt(0)
	s_and_b32 s6, s8, 0xffff
	s_mov_b64 s[4:5], 0
.LBB8_12:                               ; =>This Inner Loop Header: Depth=1
	v_ashrrev_i32_e32 v3, 31, v2
	v_lshl_add_u64 v[0:1], v[2:3], 1, s[0:1]
	global_load_dword v4, v[0:1], off
	v_lshl_add_u64 v[0:1], v[2:3], 2, s[2:3]
	v_add_u32_e32 v2, s6, v2
	v_cmp_le_i32_e32 vcc, s10, v2
	s_or_b64 s[4:5], vcc, s[4:5]
	s_waitcnt vmcnt(0)
	global_store_dword v[0:1], v4, off
	s_andn2_b64 exec, exec, s[4:5]
	s_cbranch_execnz .LBB8_12
.LBB8_13:
	s_endpgm
.LBB8_14:
                                        ; implicit-def: $sgpr6_sgpr7
	s_branch .LBB8_6
	.section	.rodata,"a",@progbits
	.p2align	6, 0x0
	.amdhsa_kernel _ZN4vllm38concat_and_cache_mla_rope_fused_kernelIN3c104HalfES2_Lb1EffLNS_18Fp8KVCacheDataTypeE0EEEvPKlPT_S7_PKS6_PKT0_illlliPT3_S5_iiiiPKf
		.amdhsa_group_segment_fixed_size 4096
		.amdhsa_private_segment_fixed_size 0
		.amdhsa_kernarg_size 384
		.amdhsa_user_sgpr_count 4
		.amdhsa_user_sgpr_dispatch_ptr 1
		.amdhsa_user_sgpr_queue_ptr 0
		.amdhsa_user_sgpr_kernarg_segment_ptr 1
		.amdhsa_user_sgpr_dispatch_id 0
		.amdhsa_user_sgpr_kernarg_preload_length 0
		.amdhsa_user_sgpr_kernarg_preload_offset 0
		.amdhsa_user_sgpr_private_segment_size 0
		.amdhsa_uses_dynamic_stack 0
		.amdhsa_enable_private_segment 0
		.amdhsa_system_sgpr_workgroup_id_x 1
		.amdhsa_system_sgpr_workgroup_id_y 0
		.amdhsa_system_sgpr_workgroup_id_z 0
		.amdhsa_system_sgpr_workgroup_info 0
		.amdhsa_system_vgpr_workitem_id 2
		.amdhsa_next_free_vgpr 20
		.amdhsa_next_free_sgpr 47
		.amdhsa_accum_offset 20
		.amdhsa_reserve_vcc 1
		.amdhsa_float_round_mode_32 0
		.amdhsa_float_round_mode_16_64 0
		.amdhsa_float_denorm_mode_32 3
		.amdhsa_float_denorm_mode_16_64 3
		.amdhsa_dx10_clamp 1
		.amdhsa_ieee_mode 1
		.amdhsa_fp16_overflow 0
		.amdhsa_tg_split 0
		.amdhsa_exception_fp_ieee_invalid_op 0
		.amdhsa_exception_fp_denorm_src 0
		.amdhsa_exception_fp_ieee_div_zero 0
		.amdhsa_exception_fp_ieee_overflow 0
		.amdhsa_exception_fp_ieee_underflow 0
		.amdhsa_exception_fp_ieee_inexact 0
		.amdhsa_exception_int_div_zero 0
	.end_amdhsa_kernel
	.section	.text._ZN4vllm38concat_and_cache_mla_rope_fused_kernelIN3c104HalfES2_Lb1EffLNS_18Fp8KVCacheDataTypeE0EEEvPKlPT_S7_PKS6_PKT0_illlliPT3_S5_iiiiPKf,"axG",@progbits,_ZN4vllm38concat_and_cache_mla_rope_fused_kernelIN3c104HalfES2_Lb1EffLNS_18Fp8KVCacheDataTypeE0EEEvPKlPT_S7_PKS6_PKT0_illlliPT3_S5_iiiiPKf,comdat
.Lfunc_end8:
	.size	_ZN4vllm38concat_and_cache_mla_rope_fused_kernelIN3c104HalfES2_Lb1EffLNS_18Fp8KVCacheDataTypeE0EEEvPKlPT_S7_PKS6_PKT0_illlliPT3_S5_iiiiPKf, .Lfunc_end8-_ZN4vllm38concat_and_cache_mla_rope_fused_kernelIN3c104HalfES2_Lb1EffLNS_18Fp8KVCacheDataTypeE0EEEvPKlPT_S7_PKS6_PKT0_illlliPT3_S5_iiiiPKf
                                        ; -- End function
	.section	.AMDGPU.csdata,"",@progbits
; Kernel info:
; codeLenInByte = 2068
; NumSgprs: 53
; NumVgprs: 20
; NumAgprs: 0
; TotalNumVgprs: 20
; ScratchSize: 0
; MemoryBound: 0
; FloatMode: 240
; IeeeMode: 1
; LDSByteSize: 4096 bytes/workgroup (compile time only)
; SGPRBlocks: 6
; VGPRBlocks: 2
; NumSGPRsForWavesPerEU: 53
; NumVGPRsForWavesPerEU: 20
; AccumOffset: 20
; Occupancy: 8
; WaveLimiterHint : 1
; COMPUTE_PGM_RSRC2:SCRATCH_EN: 0
; COMPUTE_PGM_RSRC2:USER_SGPR: 4
; COMPUTE_PGM_RSRC2:TRAP_HANDLER: 0
; COMPUTE_PGM_RSRC2:TGID_X_EN: 1
; COMPUTE_PGM_RSRC2:TGID_Y_EN: 0
; COMPUTE_PGM_RSRC2:TGID_Z_EN: 0
; COMPUTE_PGM_RSRC2:TIDIG_COMP_CNT: 2
; COMPUTE_PGM_RSRC3_GFX90A:ACCUM_OFFSET: 4
; COMPUTE_PGM_RSRC3_GFX90A:TG_SPLIT: 0
	.section	.text._ZN4vllm38concat_and_cache_mla_rope_fused_kernelIN3c104HalfES2_Lb0EffLNS_18Fp8KVCacheDataTypeE0EEEvPKlPT_S7_PKS6_PKT0_illlliPT3_S5_iiiiPKf,"axG",@progbits,_ZN4vllm38concat_and_cache_mla_rope_fused_kernelIN3c104HalfES2_Lb0EffLNS_18Fp8KVCacheDataTypeE0EEEvPKlPT_S7_PKS6_PKT0_illlliPT3_S5_iiiiPKf,comdat
	.protected	_ZN4vllm38concat_and_cache_mla_rope_fused_kernelIN3c104HalfES2_Lb0EffLNS_18Fp8KVCacheDataTypeE0EEEvPKlPT_S7_PKS6_PKT0_illlliPT3_S5_iiiiPKf ; -- Begin function _ZN4vllm38concat_and_cache_mla_rope_fused_kernelIN3c104HalfES2_Lb0EffLNS_18Fp8KVCacheDataTypeE0EEEvPKlPT_S7_PKS6_PKT0_illlliPT3_S5_iiiiPKf
	.globl	_ZN4vllm38concat_and_cache_mla_rope_fused_kernelIN3c104HalfES2_Lb0EffLNS_18Fp8KVCacheDataTypeE0EEEvPKlPT_S7_PKS6_PKT0_illlliPT3_S5_iiiiPKf
	.p2align	8
	.type	_ZN4vllm38concat_and_cache_mla_rope_fused_kernelIN3c104HalfES2_Lb0EffLNS_18Fp8KVCacheDataTypeE0EEEvPKlPT_S7_PKS6_PKT0_illlliPT3_S5_iiiiPKf,@function
_ZN4vllm38concat_and_cache_mla_rope_fused_kernelIN3c104HalfES2_Lb0EffLNS_18Fp8KVCacheDataTypeE0EEEvPKlPT_S7_PKS6_PKT0_illlliPT3_S5_iiiiPKf: ; @_ZN4vllm38concat_and_cache_mla_rope_fused_kernelIN3c104HalfES2_Lb0EffLNS_18Fp8KVCacheDataTypeE0EEEvPKlPT_S7_PKS6_PKT0_illlliPT3_S5_iiiiPKf
; %bb.0:
	s_load_dwordx2 s[8:9], s[2:3], 0x60
	s_mov_b32 s5, 0
	s_lshl_b64 s[6:7], s[4:5], 3
	s_waitcnt lgkmcnt(0)
	s_add_u32 s8, s8, s6
	s_addc_u32 s9, s9, s7
	s_load_dwordx2 s[28:29], s[8:9], 0x0
	s_waitcnt lgkmcnt(0)
	v_cmp_lt_i64_e64 s[8:9], s[28:29], 0
	s_and_b64 vcc, exec, s[8:9]
	s_cbranch_vccnz .LBB9_13
; %bb.1:
	s_load_dword s5, s[2:3], 0x28
	s_load_dwordx2 s[8:9], s[2:3], 0x0
	s_load_dwordx2 s[24:25], s[2:3], 0x20
	s_load_dwordx4 s[16:19], s[2:3], 0x10
	v_and_b32_e32 v2, 0x3ff, v0
	s_waitcnt lgkmcnt(0)
	s_ashr_i32 s26, s5, 31
	s_add_u32 s6, s8, s6
	s_addc_u32 s7, s9, s7
	s_load_dwordx2 s[22:23], s[6:7], 0x0
	s_load_dwordx8 s[8:15], s[2:3], 0x30
	s_load_dwordx2 s[20:21], s[2:3], 0x58
	s_load_dword s30, s[2:3], 0x50
	v_lshlrev_b32_e32 v4, 1, v2
	s_waitcnt lgkmcnt(0)
	s_mul_i32 s6, s22, s26
	s_mul_hi_u32 s7, s22, s5
	s_add_i32 s6, s7, s6
	s_mul_i32 s7, s23, s5
	s_add_i32 s27, s6, s7
	s_lshr_b32 s6, s5, 31
	s_mul_i32 s26, s22, s5
	s_add_i32 s5, s5, s6
	s_ashr_i32 s22, s5, 1
	s_mul_i32 s5, s22, s30
	v_cmp_gt_i32_e32 vcc, s5, v2
	s_and_saveexec_b64 s[6:7], vcc
	s_cbranch_execz .LBB9_4
; %bb.2:
	s_load_dwordx2 s[34:35], s[2:3], 0x8
	s_load_dword s36, s[2:3], 0x8c
	s_lshl_b64 s[30:31], s[26:27], 1
	s_add_u32 s30, s24, s30
	s_mul_i32 s9, s4, s9
	s_mul_hi_u32 s33, s4, s8
	s_addc_u32 s31, s25, s31
	s_add_i32 s9, s33, s9
	s_mul_i32 s8, s4, s8
	s_ashr_i32 s23, s22, 31
	s_lshl_b64 s[8:9], s[8:9], 1
	s_waitcnt lgkmcnt(0)
	s_add_u32 s8, s34, s8
	s_addc_u32 s9, s35, s9
	s_abs_i32 s33, s22
	v_cvt_f32_u32_e32 v1, s33
	s_sub_i32 s34, 0, s33
	s_and_b32 s36, s36, 0xffff
	s_sub_i32 s37, 0, s22
	v_rcp_iflag_f32_e32 v1, v1
	s_lshl_b32 s39, s36, 1
	v_mov_b32_e32 v6, v4
	v_mov_b32_e32 v8, v2
	v_mul_f32_e32 v1, 0x4f7ffffe, v1
	v_cvt_u32_f32_e32 v1, v1
	v_mul_lo_u32 v3, s34, v1
	v_mul_hi_u32 v3, v1, v3
	s_lshl_b32 s34, s22, 1
	v_add_u32_e32 v1, v1, v3
	s_sub_i32 s38, 0, s34
	s_mov_b64 s[34:35], 0
.LBB9_3:                                ; =>This Inner Loop Header: Depth=1
	v_sub_u32_e32 v5, 0, v8
	v_max_i32_e32 v5, v8, v5
	v_mul_hi_u32 v7, v5, v1
	v_mul_lo_u32 v9, v7, s33
	v_sub_u32_e32 v5, v5, v9
	v_add_u32_e32 v10, 1, v7
	v_cmp_le_u32_e32 vcc, s33, v5
	v_subrev_u32_e32 v9, s33, v5
	v_ashrrev_i32_e32 v3, 31, v8
	v_cndmask_b32_e32 v7, v7, v10, vcc
	v_cndmask_b32_e32 v5, v5, v9, vcc
	v_add_u32_e32 v9, 1, v7
	v_cmp_le_u32_e32 vcc, s33, v5
	v_xor_b32_e32 v3, s23, v3
	s_nop 0
	v_cndmask_b32_e32 v5, v7, v9, vcc
	v_xor_b32_e32 v5, v5, v3
	v_sub_u32_e32 v3, v5, v3
	v_ashrrev_i32_e32 v5, 31, v3
	v_mul_lo_u32 v7, v3, s11
	v_mad_u64_u32 v[10:11], s[40:41], s37, v3, v[8:9]
	v_mad_u64_u32 v[12:13], s[40:41], v3, s10, 0
	;; [unrolled: 1-line block ×3, first 2 shown]
	v_mul_lo_u32 v3, v5, s10
	v_ashrrev_i32_e32 v11, 31, v10
	v_add3_u32 v13, v13, v7, v3
	v_ashrrev_i32_e32 v15, 31, v14
	v_lshl_add_u64 v[10:11], v[10:11], 1, s[30:31]
	v_lshl_add_u64 v[12:13], v[12:13], 1, s[8:9]
	;; [unrolled: 1-line block ×3, first 2 shown]
	global_load_ushort v3, v[10:11], off
	global_load_ushort v5, v[16:17], off
	v_lshl_add_u64 v[10:11], v[14:15], 1, v[12:13]
	global_load_dword v7, v[10:11], off
	v_add_u32_e32 v8, s36, v8
	v_cmp_le_i32_e32 vcc, s5, v8
	v_add_u32_e32 v6, s39, v6
	s_or_b64 s[34:35], vcc, s[34:35]
	s_waitcnt vmcnt(0)
	v_mul_f16_sdwa v9, v5, v7 dst_sel:DWORD dst_unused:UNUSED_PAD src0_sel:DWORD src1_sel:WORD_1
	v_mul_f16_sdwa v12, v3, v7 dst_sel:DWORD dst_unused:UNUSED_PAD src0_sel:DWORD src1_sel:WORD_1
	v_fma_f16 v3, v3, v7, -v9
	v_fma_f16 v5, v5, v7, v12
	v_pack_b32_f16 v3, v3, v5
	global_store_dword v[10:11], v3, off
	s_andn2_b64 exec, exec, s[34:35]
	s_cbranch_execnz .LBB9_3
.LBB9_4:
	s_or_b64 exec, exec, s[6:7]
	s_load_dwordx4 s[8:11], s[2:3], 0x68
	s_waitcnt lgkmcnt(0)
	s_ashr_i32 s31, s11, 31
	s_mov_b32 s30, s11
	s_or_b64 s[6:7], s[28:29], s[30:31]
	s_mov_b32 s6, 0
	s_cmp_lg_u64 s[6:7], 0
	s_cbranch_scc0 .LBB9_14
; %bb.5:
	s_add_u32 s6, s30, s31
	s_mov_b32 s36, s31
	s_mov_b32 s37, s31
	s_addc_u32 s7, s31, s31
	s_xor_b64 s[38:39], s[6:7], s[36:37]
	v_cvt_f32_u32_e32 v1, s38
	v_cvt_f32_u32_e32 v3, s39
	s_sub_u32 s5, 0, s38
	s_subb_u32 s6, 0, s39
	v_fmamk_f32 v1, v3, 0x4f800000, v1
	v_rcp_f32_e32 v1, v1
	s_nop 0
	v_mul_f32_e32 v1, 0x5f7ffffc, v1
	v_mul_f32_e32 v3, 0x2f800000, v1
	v_trunc_f32_e32 v3, v3
	v_fmamk_f32 v1, v3, 0xcf800000, v1
	v_cvt_u32_f32_e32 v3, v3
	v_cvt_u32_f32_e32 v1, v1
	v_readfirstlane_b32 s7, v3
	v_readfirstlane_b32 s11, v1
	s_mul_i32 s23, s5, s7
	s_mul_hi_u32 s40, s5, s11
	s_mul_i32 s33, s6, s11
	s_add_i32 s23, s40, s23
	s_add_i32 s23, s23, s33
	s_mul_i32 s41, s5, s11
	s_mul_hi_u32 s33, s11, s23
	s_mul_i32 s40, s11, s23
	s_mul_hi_u32 s11, s11, s41
	s_add_u32 s11, s11, s40
	s_addc_u32 s33, 0, s33
	s_mul_hi_u32 s42, s7, s41
	s_mul_i32 s41, s7, s41
	s_add_u32 s11, s11, s41
	s_mul_hi_u32 s40, s7, s23
	s_addc_u32 s11, s33, s42
	s_addc_u32 s33, s40, 0
	s_mul_i32 s23, s7, s23
	s_add_u32 s11, s11, s23
	s_addc_u32 s23, 0, s33
	v_add_co_u32_e32 v1, vcc, s11, v1
	s_cmp_lg_u64 vcc, 0
	s_addc_u32 s7, s7, s23
	v_readfirstlane_b32 s23, v1
	s_mul_i32 s11, s5, s7
	s_mul_hi_u32 s33, s5, s23
	s_add_i32 s11, s33, s11
	s_mul_i32 s6, s6, s23
	s_add_i32 s11, s11, s6
	s_mul_i32 s5, s5, s23
	s_mul_hi_u32 s33, s7, s5
	s_mul_i32 s40, s7, s5
	s_mul_i32 s42, s23, s11
	s_mul_hi_u32 s5, s23, s5
	s_mul_hi_u32 s41, s23, s11
	s_add_u32 s5, s5, s42
	s_addc_u32 s23, 0, s41
	s_add_u32 s5, s5, s40
	s_mul_hi_u32 s6, s7, s11
	s_addc_u32 s5, s23, s33
	s_addc_u32 s6, s6, 0
	s_mul_i32 s11, s7, s11
	s_add_u32 s5, s5, s11
	s_addc_u32 s6, 0, s6
	v_add_co_u32_e32 v1, vcc, s5, v1
	s_cmp_lg_u64 vcc, 0
	s_addc_u32 s5, s7, s6
	s_ashr_i32 s40, s29, 31
	s_add_u32 s6, s28, s40
	s_mov_b32 s41, s40
	s_addc_u32 s7, s29, s40
	s_xor_b64 s[42:43], s[6:7], s[40:41]
	v_readfirstlane_b32 s11, v1
	s_mul_i32 s7, s42, s5
	s_mul_hi_u32 s23, s42, s11
	s_mul_hi_u32 s6, s42, s5
	s_add_u32 s7, s23, s7
	s_addc_u32 s6, 0, s6
	s_mul_hi_u32 s33, s43, s11
	s_mul_i32 s11, s43, s11
	s_add_u32 s7, s7, s11
	s_mul_hi_u32 s23, s43, s5
	s_addc_u32 s6, s6, s33
	s_addc_u32 s7, s23, 0
	s_mul_i32 s5, s43, s5
	s_add_u32 s5, s6, s5
	s_addc_u32 s11, 0, s7
	s_mul_i32 s6, s38, s11
	s_mul_hi_u32 s7, s38, s5
	s_add_i32 s6, s7, s6
	s_mul_i32 s7, s39, s5
	s_add_i32 s23, s6, s7
	s_mul_i32 s7, s38, s5
	v_mov_b32_e32 v1, s7
	s_sub_i32 s6, s43, s23
	v_sub_co_u32_e32 v1, vcc, s42, v1
	s_cmp_lg_u64 vcc, 0
	s_subb_u32 s33, s6, s39
	v_subrev_co_u32_e64 v3, s[6:7], s38, v1
	s_cmp_lg_u64 s[6:7], 0
	s_subb_u32 s6, s33, 0
	s_cmp_ge_u32 s6, s39
	v_readfirstlane_b32 s33, v3
	s_cselect_b32 s7, -1, 0
	s_cmp_ge_u32 s33, s38
	s_cselect_b32 s33, -1, 0
	s_cmp_eq_u32 s6, s39
	s_cselect_b32 s6, s33, s7
	s_add_u32 s7, s5, 1
	s_addc_u32 s33, s11, 0
	s_add_u32 s42, s5, 2
	s_addc_u32 s44, s11, 0
	s_cmp_lg_u32 s6, 0
	s_cselect_b32 s6, s42, s7
	s_cselect_b32 s7, s44, s33
	s_cmp_lg_u64 vcc, 0
	s_subb_u32 s23, s43, s23
	s_cmp_ge_u32 s23, s39
	v_readfirstlane_b32 s42, v1
	s_cselect_b32 s33, -1, 0
	s_cmp_ge_u32 s42, s38
	s_cselect_b32 s38, -1, 0
	s_cmp_eq_u32 s23, s39
	s_cselect_b32 s23, s38, s33
	s_cmp_lg_u32 s23, 0
	s_cselect_b32 s7, s7, s11
	s_cselect_b32 s6, s6, s5
	s_xor_b64 s[36:37], s[40:41], s[36:37]
	s_xor_b64 s[6:7], s[6:7], s[36:37]
	s_sub_u32 s6, s6, s36
	s_subb_u32 s7, s7, s37
	s_cbranch_execnz .LBB9_7
.LBB9_6:
	v_cvt_f32_u32_e32 v1, s30
	s_sub_i32 s5, 0, s30
	s_mov_b32 s7, 0
	v_rcp_iflag_f32_e32 v1, v1
	s_nop 0
	v_mul_f32_e32 v1, 0x4f7ffffe, v1
	v_cvt_u32_f32_e32 v1, v1
	s_nop 0
	v_readfirstlane_b32 s6, v1
	s_mul_i32 s5, s5, s6
	s_mul_hi_u32 s5, s6, s5
	s_add_i32 s6, s6, s5
	s_mul_hi_u32 s5, s28, s6
	s_mul_i32 s11, s5, s30
	s_sub_i32 s11, s28, s11
	s_add_i32 s6, s5, 1
	s_sub_i32 s23, s11, s30
	s_cmp_ge_u32 s11, s30
	s_cselect_b32 s5, s6, s5
	s_cselect_b32 s11, s23, s11
	s_add_i32 s6, s5, 1
	s_cmp_ge_u32 s11, s30
	s_cselect_b32 s6, s6, s5
.LBB9_7:
	s_mul_i32 s5, s6, s31
	s_mul_hi_u32 s11, s6, s30
	s_add_i32 s5, s11, s5
	s_mul_i32 s11, s7, s30
	s_add_i32 s5, s5, s11
	s_mul_i32 s11, s6, s30
	s_sub_u32 s33, s28, s11
	s_subb_u32 s5, s29, s5
	v_cmp_gt_i32_e32 vcc, s22, v2
	s_mul_hi_u32 s36, s6, s8
	s_mul_i32 s37, s7, s8
	s_mul_i32 s30, s6, s8
	s_mul_hi_u32 s7, s33, s9
	s_mul_i32 s5, s5, s9
	s_mul_i32 s28, s33, s9
	s_and_saveexec_b64 s[34:35], vcc
	s_cbranch_execz .LBB9_10
; %bb.8:
	s_load_dwordx2 s[0:1], s[0:1], 0x4
	s_ashr_i32 s23, s22, 31
	s_load_dword s29, s[2:3], 0x8c
	s_ashr_i32 s31, s8, 31
	s_ashr_i32 s39, s9, 31
	s_waitcnt lgkmcnt(0)
	s_lshr_b32 s0, s0, 16
	s_mul_i32 s0, s0, s1
	s_ashr_i32 s11, s10, 31
	s_and_b32 s38, s29, 0xffff
	s_lshl_b64 s[26:27], s[26:27], 1
	v_bfe_u32 v1, v0, 10, 10
	v_mul_lo_u32 v3, s0, v2
	s_add_u32 s24, s24, s26
	v_bfe_u32 v0, v0, 20, 10
	v_mad_u32_u24 v1, v1, s1, v3
	v_mov_b32_e32 v5, 0
	s_addc_u32 s25, s25, s27
	v_add_lshl_u32 v3, v1, v0, 1
	v_lshl_add_u64 v[0:1], s[24:25], 0, v[4:5]
	s_lshl_b64 s[24:25], s[22:23], 1
	s_mul_i32 s23, s6, s31
	s_add_i32 s23, s36, s23
	s_add_i32 s31, s23, s37
	s_mul_i32 s23, s33, s39
	s_add_i32 s23, s7, s23
	s_add_i32 s29, s23, s5
	s_lshl_b32 s0, s38, 1
	s_lshl_b64 s[26:27], s[30:31], 2
	s_lshl_b64 s[40:41], s[28:29], 2
	s_add_u32 s23, s26, s40
	s_addc_u32 s29, s27, s41
	s_lshl_b64 s[26:27], s[10:11], 2
	s_add_u32 s11, s20, s26
	s_addc_u32 s27, s21, s27
	s_add_u32 s26, s11, s23
	s_mul_i32 s11, s13, s4
	s_mul_hi_u32 s13, s12, s4
	v_lshlrev_b32_e32 v4, 3, v2
	s_addc_u32 s27, s27, s29
	s_add_i32 s13, s13, s11
	s_mul_i32 s12, s12, s4
	v_lshl_add_u64 v[6:7], s[26:27], 0, v[4:5]
	s_lshl_b32 s26, s38, 3
	s_lshl_b64 s[12:13], s[12:13], 1
	s_add_u32 s12, s16, s12
	v_lshlrev_b32_e32 v4, 2, v2
	s_addc_u32 s13, s17, s13
	s_mov_b32 s1, 0
	v_lshl_add_u64 v[4:5], s[12:13], 0, v[4:5]
	v_add_u32_e32 v8, 0x800, v3
	s_mov_b32 s27, s1
	v_lshl_add_u64 v[4:5], v[4:5], 0, 2
	s_lshl_b32 s12, s38, 2
	s_mov_b32 s13, s1
	s_mov_b64 s[16:17], 0
	v_mov_b32_e32 v9, v2
.LBB9_9:                                ; =>This Inner Loop Header: Depth=1
	global_load_ushort v12, v[0:1], off
	v_lshl_add_u64 v[10:11], v[0:1], 0, s[24:25]
	global_load_dword v13, v[4:5], off offset:-2
	global_load_ushort v14, v[10:11], off
	v_add_u32_e32 v9, s38, v9
	v_cmp_le_i32_e32 vcc, s22, v9
	v_lshl_add_u64 v[0:1], v[0:1], 0, s[0:1]
	s_or_b64 s[16:17], vcc, s[16:17]
	s_waitcnt vmcnt(1)
	v_mul_f16_sdwa v10, v12, v13 dst_sel:DWORD dst_unused:UNUSED_PAD src0_sel:DWORD src1_sel:WORD_1
	s_waitcnt vmcnt(0)
	v_mul_f16_sdwa v11, v14, v13 dst_sel:DWORD dst_unused:UNUSED_PAD src0_sel:DWORD src1_sel:WORD_1
	v_fma_f16 v14, v14, v13, v10
	v_fma_f16 v12, v12, v13, -v11
	ds_write_b16 v3, v14
	ds_write_b16 v8, v12
	ds_read_b32 v11, v3
	ds_read_b32 v10, v8
	v_pack_b32_f16 v12, v12, v14
	global_store_dword v[4:5], v12, off offset:-2
	v_lshl_add_u64 v[4:5], v[4:5], 0, s[12:13]
	s_waitcnt lgkmcnt(0)
	global_store_dwordx2 v[6:7], v[10:11], off
	v_lshl_add_u64 v[6:7], v[6:7], 0, s[26:27]
	s_andn2_b64 exec, exec, s[16:17]
	s_cbranch_execnz .LBB9_9
.LBB9_10:
	s_or_b64 exec, exec, s[34:35]
	v_cmp_gt_i32_e32 vcc, s10, v2
	s_and_saveexec_b64 s[0:1], vcc
	s_cbranch_execz .LBB9_13
; %bb.11:
	s_mul_i32 s0, s4, s15
	s_mul_hi_u32 s1, s4, s14
	s_add_i32 s1, s1, s0
	s_mul_i32 s0, s4, s14
	s_lshl_b64 s[0:1], s[0:1], 1
	s_add_u32 s0, s18, s0
	s_addc_u32 s1, s19, s1
	s_ashr_i32 s4, s8, 31
	s_mul_i32 s4, s6, s4
	s_add_i32 s4, s36, s4
	s_add_i32 s31, s4, s37
	s_lshl_b64 s[12:13], s[30:31], 2
	s_add_u32 s4, s20, s12
	s_addc_u32 s6, s21, s13
	s_ashr_i32 s8, s9, 31
	s_mul_i32 s33, s33, s8
	s_load_dword s8, s[2:3], 0x8c
	s_add_i32 s7, s7, s33
	s_add_i32 s29, s7, s5
	s_lshl_b64 s[2:3], s[28:29], 2
	s_add_u32 s2, s4, s2
	s_addc_u32 s3, s6, s3
	s_waitcnt lgkmcnt(0)
	s_and_b32 s6, s8, 0xffff
	s_mov_b64 s[4:5], 0
.LBB9_12:                               ; =>This Inner Loop Header: Depth=1
	v_ashrrev_i32_e32 v3, 31, v2
	v_lshl_add_u64 v[0:1], v[2:3], 1, s[0:1]
	global_load_dword v4, v[0:1], off
	v_lshl_add_u64 v[0:1], v[2:3], 2, s[2:3]
	v_add_u32_e32 v2, s6, v2
	v_cmp_le_i32_e32 vcc, s10, v2
	s_or_b64 s[4:5], vcc, s[4:5]
	s_waitcnt vmcnt(0)
	global_store_dword v[0:1], v4, off
	s_andn2_b64 exec, exec, s[4:5]
	s_cbranch_execnz .LBB9_12
.LBB9_13:
	s_endpgm
.LBB9_14:
                                        ; implicit-def: $sgpr6_sgpr7
	s_branch .LBB9_6
	.section	.rodata,"a",@progbits
	.p2align	6, 0x0
	.amdhsa_kernel _ZN4vllm38concat_and_cache_mla_rope_fused_kernelIN3c104HalfES2_Lb0EffLNS_18Fp8KVCacheDataTypeE0EEEvPKlPT_S7_PKS6_PKT0_illlliPT3_S5_iiiiPKf
		.amdhsa_group_segment_fixed_size 4096
		.amdhsa_private_segment_fixed_size 0
		.amdhsa_kernarg_size 384
		.amdhsa_user_sgpr_count 4
		.amdhsa_user_sgpr_dispatch_ptr 1
		.amdhsa_user_sgpr_queue_ptr 0
		.amdhsa_user_sgpr_kernarg_segment_ptr 1
		.amdhsa_user_sgpr_dispatch_id 0
		.amdhsa_user_sgpr_kernarg_preload_length 0
		.amdhsa_user_sgpr_kernarg_preload_offset 0
		.amdhsa_user_sgpr_private_segment_size 0
		.amdhsa_uses_dynamic_stack 0
		.amdhsa_enable_private_segment 0
		.amdhsa_system_sgpr_workgroup_id_x 1
		.amdhsa_system_sgpr_workgroup_id_y 0
		.amdhsa_system_sgpr_workgroup_id_z 0
		.amdhsa_system_sgpr_workgroup_info 0
		.amdhsa_system_vgpr_workitem_id 2
		.amdhsa_next_free_vgpr 18
		.amdhsa_next_free_sgpr 45
		.amdhsa_accum_offset 20
		.amdhsa_reserve_vcc 1
		.amdhsa_float_round_mode_32 0
		.amdhsa_float_round_mode_16_64 0
		.amdhsa_float_denorm_mode_32 3
		.amdhsa_float_denorm_mode_16_64 3
		.amdhsa_dx10_clamp 1
		.amdhsa_ieee_mode 1
		.amdhsa_fp16_overflow 0
		.amdhsa_tg_split 0
		.amdhsa_exception_fp_ieee_invalid_op 0
		.amdhsa_exception_fp_denorm_src 0
		.amdhsa_exception_fp_ieee_div_zero 0
		.amdhsa_exception_fp_ieee_overflow 0
		.amdhsa_exception_fp_ieee_underflow 0
		.amdhsa_exception_fp_ieee_inexact 0
		.amdhsa_exception_int_div_zero 0
	.end_amdhsa_kernel
	.section	.text._ZN4vllm38concat_and_cache_mla_rope_fused_kernelIN3c104HalfES2_Lb0EffLNS_18Fp8KVCacheDataTypeE0EEEvPKlPT_S7_PKS6_PKT0_illlliPT3_S5_iiiiPKf,"axG",@progbits,_ZN4vllm38concat_and_cache_mla_rope_fused_kernelIN3c104HalfES2_Lb0EffLNS_18Fp8KVCacheDataTypeE0EEEvPKlPT_S7_PKS6_PKT0_illlliPT3_S5_iiiiPKf,comdat
.Lfunc_end9:
	.size	_ZN4vllm38concat_and_cache_mla_rope_fused_kernelIN3c104HalfES2_Lb0EffLNS_18Fp8KVCacheDataTypeE0EEEvPKlPT_S7_PKS6_PKT0_illlliPT3_S5_iiiiPKf, .Lfunc_end9-_ZN4vllm38concat_and_cache_mla_rope_fused_kernelIN3c104HalfES2_Lb0EffLNS_18Fp8KVCacheDataTypeE0EEEvPKlPT_S7_PKS6_PKT0_illlliPT3_S5_iiiiPKf
                                        ; -- End function
	.section	.AMDGPU.csdata,"",@progbits
; Kernel info:
; codeLenInByte = 2024
; NumSgprs: 51
; NumVgprs: 18
; NumAgprs: 0
; TotalNumVgprs: 18
; ScratchSize: 0
; MemoryBound: 0
; FloatMode: 240
; IeeeMode: 1
; LDSByteSize: 4096 bytes/workgroup (compile time only)
; SGPRBlocks: 6
; VGPRBlocks: 2
; NumSGPRsForWavesPerEU: 51
; NumVGPRsForWavesPerEU: 18
; AccumOffset: 20
; Occupancy: 8
; WaveLimiterHint : 1
; COMPUTE_PGM_RSRC2:SCRATCH_EN: 0
; COMPUTE_PGM_RSRC2:USER_SGPR: 4
; COMPUTE_PGM_RSRC2:TRAP_HANDLER: 0
; COMPUTE_PGM_RSRC2:TGID_X_EN: 1
; COMPUTE_PGM_RSRC2:TGID_Y_EN: 0
; COMPUTE_PGM_RSRC2:TGID_Z_EN: 0
; COMPUTE_PGM_RSRC2:TIDIG_COMP_CNT: 2
; COMPUTE_PGM_RSRC3_GFX90A:ACCUM_OFFSET: 4
; COMPUTE_PGM_RSRC3_GFX90A:TG_SPLIT: 0
	.section	.text._ZN4vllm38concat_and_cache_mla_rope_fused_kernelIN3c104HalfENS1_8BFloat16ELb1EffLNS_18Fp8KVCacheDataTypeE0EEEvPKlPT_S8_PKS7_PKT0_illlliPT3_S6_iiiiPKf,"axG",@progbits,_ZN4vllm38concat_and_cache_mla_rope_fused_kernelIN3c104HalfENS1_8BFloat16ELb1EffLNS_18Fp8KVCacheDataTypeE0EEEvPKlPT_S8_PKS7_PKT0_illlliPT3_S6_iiiiPKf,comdat
	.protected	_ZN4vllm38concat_and_cache_mla_rope_fused_kernelIN3c104HalfENS1_8BFloat16ELb1EffLNS_18Fp8KVCacheDataTypeE0EEEvPKlPT_S8_PKS7_PKT0_illlliPT3_S6_iiiiPKf ; -- Begin function _ZN4vllm38concat_and_cache_mla_rope_fused_kernelIN3c104HalfENS1_8BFloat16ELb1EffLNS_18Fp8KVCacheDataTypeE0EEEvPKlPT_S8_PKS7_PKT0_illlliPT3_S6_iiiiPKf
	.globl	_ZN4vllm38concat_and_cache_mla_rope_fused_kernelIN3c104HalfENS1_8BFloat16ELb1EffLNS_18Fp8KVCacheDataTypeE0EEEvPKlPT_S8_PKS7_PKT0_illlliPT3_S6_iiiiPKf
	.p2align	8
	.type	_ZN4vllm38concat_and_cache_mla_rope_fused_kernelIN3c104HalfENS1_8BFloat16ELb1EffLNS_18Fp8KVCacheDataTypeE0EEEvPKlPT_S8_PKS7_PKT0_illlliPT3_S6_iiiiPKf,@function
_ZN4vllm38concat_and_cache_mla_rope_fused_kernelIN3c104HalfENS1_8BFloat16ELb1EffLNS_18Fp8KVCacheDataTypeE0EEEvPKlPT_S8_PKS7_PKT0_illlliPT3_S6_iiiiPKf: ; @_ZN4vllm38concat_and_cache_mla_rope_fused_kernelIN3c104HalfENS1_8BFloat16ELb1EffLNS_18Fp8KVCacheDataTypeE0EEEvPKlPT_S8_PKS7_PKT0_illlliPT3_S6_iiiiPKf
; %bb.0:
	s_load_dwordx2 s[8:9], s[2:3], 0x60
	s_mov_b32 s5, 0
	s_lshl_b64 s[6:7], s[4:5], 3
	s_waitcnt lgkmcnt(0)
	s_add_u32 s8, s8, s6
	s_addc_u32 s9, s9, s7
	s_load_dwordx2 s[30:31], s[8:9], 0x0
	s_waitcnt lgkmcnt(0)
	v_cmp_lt_i64_e64 s[8:9], s[30:31], 0
	s_and_b64 vcc, exec, s[8:9]
	s_cbranch_vccnz .LBB10_13
; %bb.1:
	s_load_dword s5, s[2:3], 0x28
	s_load_dwordx2 s[8:9], s[2:3], 0x0
	s_load_dwordx2 s[26:27], s[2:3], 0x20
	s_load_dwordx4 s[16:19], s[2:3], 0x10
	v_and_b32_e32 v2, 0x3ff, v0
	s_waitcnt lgkmcnt(0)
	s_ashr_i32 s24, s5, 31
	s_add_u32 s6, s8, s6
	s_addc_u32 s7, s9, s7
	s_load_dwordx2 s[22:23], s[6:7], 0x0
	s_load_dwordx8 s[8:15], s[2:3], 0x30
	s_load_dwordx2 s[20:21], s[2:3], 0x58
	s_load_dword s25, s[2:3], 0x50
	s_waitcnt lgkmcnt(0)
	s_mul_i32 s6, s22, s24
	s_mul_hi_u32 s7, s22, s5
	s_add_i32 s6, s7, s6
	s_mul_i32 s7, s23, s5
	s_add_i32 s7, s6, s7
	s_mul_i32 s6, s22, s5
	s_lshl_b64 s[28:29], s[6:7], 1
	s_add_u32 s22, s26, s28
	s_addc_u32 s23, s27, s29
	s_lshr_b32 s6, s5, 31
	s_add_i32 s5, s5, s6
	s_ashr_i32 s24, s5, 1
	s_mul_i32 s5, s24, s25
	v_cmp_gt_i32_e32 vcc, s5, v2
	s_and_saveexec_b64 s[6:7], vcc
	s_cbranch_execz .LBB10_4
; %bb.2:
	s_load_dwordx2 s[34:35], s[2:3], 0x8
	s_load_dword s36, s[2:3], 0x8c
	s_mul_i32 s9, s4, s9
	s_mul_hi_u32 s33, s4, s8
	s_add_i32 s9, s33, s9
	s_mul_i32 s8, s4, s8
	s_ashr_i32 s25, s24, 31
	s_lshl_b64 s[8:9], s[8:9], 1
	s_waitcnt lgkmcnt(0)
	s_add_u32 s8, s34, s8
	s_addc_u32 s9, s35, s9
	s_abs_i32 s33, s24
	v_cvt_f32_u32_e32 v1, s33
	s_sub_i32 s40, 0, s33
	s_mov_b64 s[34:35], 0
	s_and_b32 s38, s36, 0xffff
	v_rcp_iflag_f32_e32 v1, v1
	s_sub_i32 s39, 0, s24
	s_lshl_b64 s[36:37], s[24:25], 1
	v_mov_b32_e32 v4, v2
	v_mul_f32_e32 v1, 0x4f7ffffe, v1
	v_cvt_u32_f32_e32 v1, v1
	v_mul_lo_u32 v3, s40, v1
	v_mul_hi_u32 v3, v1, v3
	v_add_u32_e32 v1, v1, v3
.LBB10_3:                               ; =>This Inner Loop Header: Depth=1
	v_sub_u32_e32 v5, 0, v4
	v_max_i32_e32 v5, v4, v5
	v_mul_hi_u32 v6, v5, v1
	v_mul_lo_u32 v7, v6, s33
	v_sub_u32_e32 v5, v5, v7
	v_add_u32_e32 v8, 1, v6
	v_cmp_le_u32_e32 vcc, s33, v5
	v_subrev_u32_e32 v7, s33, v5
	v_ashrrev_i32_e32 v3, 31, v4
	v_cndmask_b32_e32 v6, v6, v8, vcc
	v_cndmask_b32_e32 v5, v5, v7, vcc
	v_add_u32_e32 v7, 1, v6
	v_cmp_le_u32_e32 vcc, s33, v5
	v_xor_b32_e32 v3, s25, v3
	s_nop 0
	v_cndmask_b32_e32 v5, v6, v7, vcc
	v_xor_b32_e32 v5, v5, v3
	v_sub_u32_e32 v3, v5, v3
	v_mad_u64_u32 v[6:7], s[40:41], s39, v3, v[4:5]
	v_ashrrev_i32_e32 v5, 31, v3
	v_ashrrev_i32_e32 v7, 31, v6
	v_mul_lo_u32 v10, v3, s11
	v_mad_u64_u32 v[8:9], s[40:41], v3, s10, 0
	v_mul_lo_u32 v3, v5, s10
	v_lshlrev_b64 v[6:7], 1, v[6:7]
	v_add3_u32 v9, v9, v10, v3
	v_lshl_add_u64 v[10:11], s[22:23], 0, v[6:7]
	v_lshl_add_u64 v[12:13], v[10:11], 0, s[36:37]
	global_load_ushort v3, v[10:11], off
	global_load_ushort v5, v[12:13], off
	v_lshl_add_u64 v[8:9], v[8:9], 1, s[8:9]
	v_lshl_add_u64 v[6:7], v[8:9], 0, v[6:7]
	;; [unrolled: 1-line block ×3, first 2 shown]
	global_load_ushort v10, v[6:7], off
	global_load_ushort v11, v[8:9], off
	v_add_u32_e32 v4, s38, v4
	v_cmp_le_i32_e32 vcc, s5, v4
	s_or_b64 s[34:35], vcc, s[34:35]
	s_waitcnt vmcnt(3)
	v_lshlrev_b32_e32 v3, 16, v3
	s_waitcnt vmcnt(2)
	v_lshlrev_b32_e32 v5, 16, v5
	v_cvt_f16_f32_e32 v5, v5
	v_cvt_f16_f32_e32 v3, v3
	s_waitcnt vmcnt(0)
	v_mul_f16_e32 v12, v11, v5
	v_mul_f16_e32 v5, v10, v5
	v_fma_f16 v10, v10, v3, -v12
	v_fma_f16 v3, v11, v3, v5
	global_store_short v[6:7], v10, off
	global_store_short v[8:9], v3, off
	s_andn2_b64 exec, exec, s[34:35]
	s_cbranch_execnz .LBB10_3
.LBB10_4:
	s_or_b64 exec, exec, s[6:7]
	s_load_dwordx4 s[8:11], s[2:3], 0x68
	s_waitcnt lgkmcnt(0)
	s_ashr_i32 s35, s11, 31
	s_mov_b32 s34, s11
	s_or_b64 s[6:7], s[30:31], s[34:35]
	s_mov_b32 s6, 0
	s_cmp_lg_u64 s[6:7], 0
	s_cbranch_scc0 .LBB10_14
; %bb.5:
	s_add_u32 s6, s34, s35
	s_mov_b32 s38, s35
	s_mov_b32 s39, s35
	s_addc_u32 s7, s35, s35
	s_xor_b64 s[40:41], s[6:7], s[38:39]
	v_cvt_f32_u32_e32 v1, s40
	v_cvt_f32_u32_e32 v3, s41
	s_sub_u32 s5, 0, s40
	s_subb_u32 s6, 0, s41
	v_fmamk_f32 v1, v3, 0x4f800000, v1
	v_rcp_f32_e32 v1, v1
	s_nop 0
	v_mul_f32_e32 v1, 0x5f7ffffc, v1
	v_mul_f32_e32 v3, 0x2f800000, v1
	v_trunc_f32_e32 v3, v3
	v_fmamk_f32 v1, v3, 0xcf800000, v1
	v_cvt_u32_f32_e32 v3, v3
	v_cvt_u32_f32_e32 v1, v1
	v_readfirstlane_b32 s7, v3
	v_readfirstlane_b32 s11, v1
	s_mul_i32 s25, s5, s7
	s_mul_hi_u32 s42, s5, s11
	s_mul_i32 s33, s6, s11
	s_add_i32 s25, s42, s25
	s_add_i32 s25, s25, s33
	s_mul_i32 s43, s5, s11
	s_mul_hi_u32 s33, s11, s25
	s_mul_i32 s42, s11, s25
	s_mul_hi_u32 s11, s11, s43
	s_add_u32 s11, s11, s42
	s_addc_u32 s33, 0, s33
	s_mul_hi_u32 s44, s7, s43
	s_mul_i32 s43, s7, s43
	s_add_u32 s11, s11, s43
	s_mul_hi_u32 s42, s7, s25
	s_addc_u32 s11, s33, s44
	s_addc_u32 s33, s42, 0
	s_mul_i32 s25, s7, s25
	s_add_u32 s11, s11, s25
	s_addc_u32 s25, 0, s33
	v_add_co_u32_e32 v1, vcc, s11, v1
	s_cmp_lg_u64 vcc, 0
	s_addc_u32 s7, s7, s25
	v_readfirstlane_b32 s25, v1
	s_mul_i32 s11, s5, s7
	s_mul_hi_u32 s33, s5, s25
	s_add_i32 s11, s33, s11
	s_mul_i32 s6, s6, s25
	s_add_i32 s11, s11, s6
	s_mul_i32 s5, s5, s25
	s_mul_hi_u32 s33, s7, s5
	s_mul_i32 s42, s7, s5
	s_mul_i32 s44, s25, s11
	s_mul_hi_u32 s5, s25, s5
	s_mul_hi_u32 s43, s25, s11
	s_add_u32 s5, s5, s44
	s_addc_u32 s25, 0, s43
	s_add_u32 s5, s5, s42
	s_mul_hi_u32 s6, s7, s11
	s_addc_u32 s5, s25, s33
	s_addc_u32 s6, s6, 0
	s_mul_i32 s11, s7, s11
	s_add_u32 s5, s5, s11
	s_addc_u32 s6, 0, s6
	v_add_co_u32_e32 v1, vcc, s5, v1
	s_cmp_lg_u64 vcc, 0
	s_addc_u32 s5, s7, s6
	s_ashr_i32 s42, s31, 31
	s_add_u32 s6, s30, s42
	s_mov_b32 s43, s42
	s_addc_u32 s7, s31, s42
	s_xor_b64 s[44:45], s[6:7], s[42:43]
	v_readfirstlane_b32 s11, v1
	s_mul_i32 s7, s44, s5
	s_mul_hi_u32 s25, s44, s11
	s_mul_hi_u32 s6, s44, s5
	s_add_u32 s7, s25, s7
	s_addc_u32 s6, 0, s6
	s_mul_hi_u32 s33, s45, s11
	s_mul_i32 s11, s45, s11
	s_add_u32 s7, s7, s11
	s_mul_hi_u32 s25, s45, s5
	s_addc_u32 s6, s6, s33
	s_addc_u32 s7, s25, 0
	s_mul_i32 s5, s45, s5
	s_add_u32 s5, s6, s5
	s_addc_u32 s11, 0, s7
	s_mul_i32 s6, s40, s11
	s_mul_hi_u32 s7, s40, s5
	s_add_i32 s6, s7, s6
	s_mul_i32 s7, s41, s5
	s_add_i32 s25, s6, s7
	s_mul_i32 s7, s40, s5
	v_mov_b32_e32 v1, s7
	s_sub_i32 s6, s45, s25
	v_sub_co_u32_e32 v1, vcc, s44, v1
	s_cmp_lg_u64 vcc, 0
	s_subb_u32 s33, s6, s41
	v_subrev_co_u32_e64 v3, s[6:7], s40, v1
	s_cmp_lg_u64 s[6:7], 0
	s_subb_u32 s6, s33, 0
	s_cmp_ge_u32 s6, s41
	v_readfirstlane_b32 s33, v3
	s_cselect_b32 s7, -1, 0
	s_cmp_ge_u32 s33, s40
	s_cselect_b32 s33, -1, 0
	s_cmp_eq_u32 s6, s41
	s_cselect_b32 s6, s33, s7
	s_add_u32 s7, s5, 1
	s_addc_u32 s33, s11, 0
	s_add_u32 s44, s5, 2
	s_addc_u32 s46, s11, 0
	s_cmp_lg_u32 s6, 0
	s_cselect_b32 s6, s44, s7
	s_cselect_b32 s7, s46, s33
	s_cmp_lg_u64 vcc, 0
	s_subb_u32 s25, s45, s25
	s_cmp_ge_u32 s25, s41
	v_readfirstlane_b32 s44, v1
	s_cselect_b32 s33, -1, 0
	s_cmp_ge_u32 s44, s40
	s_cselect_b32 s40, -1, 0
	s_cmp_eq_u32 s25, s41
	s_cselect_b32 s25, s40, s33
	s_cmp_lg_u32 s25, 0
	s_cselect_b32 s7, s7, s11
	s_cselect_b32 s6, s6, s5
	s_xor_b64 s[38:39], s[42:43], s[38:39]
	s_xor_b64 s[6:7], s[6:7], s[38:39]
	s_sub_u32 s6, s6, s38
	s_subb_u32 s7, s7, s39
	s_cbranch_execnz .LBB10_7
.LBB10_6:
	v_cvt_f32_u32_e32 v1, s34
	s_sub_i32 s5, 0, s34
	s_mov_b32 s7, 0
	v_rcp_iflag_f32_e32 v1, v1
	s_nop 0
	v_mul_f32_e32 v1, 0x4f7ffffe, v1
	v_cvt_u32_f32_e32 v1, v1
	s_nop 0
	v_readfirstlane_b32 s6, v1
	s_mul_i32 s5, s5, s6
	s_mul_hi_u32 s5, s6, s5
	s_add_i32 s6, s6, s5
	s_mul_hi_u32 s5, s30, s6
	s_mul_i32 s11, s5, s34
	s_sub_i32 s11, s30, s11
	s_add_i32 s6, s5, 1
	s_sub_i32 s25, s11, s34
	s_cmp_ge_u32 s11, s34
	s_cselect_b32 s5, s6, s5
	s_cselect_b32 s11, s25, s11
	s_add_i32 s6, s5, 1
	s_cmp_ge_u32 s11, s34
	s_cselect_b32 s6, s6, s5
.LBB10_7:
	s_mul_i32 s5, s6, s35
	s_mul_hi_u32 s11, s6, s34
	s_add_i32 s5, s11, s5
	s_mul_i32 s11, s7, s34
	s_add_i32 s5, s5, s11
	s_mul_i32 s11, s6, s34
	s_sub_u32 s33, s30, s11
	s_subb_u32 s5, s31, s5
	v_cmp_gt_i32_e32 vcc, s24, v2
	s_mul_hi_u32 s40, s6, s8
	s_mul_i32 s41, s7, s8
	s_mul_i32 s34, s6, s8
	s_mul_hi_u32 s7, s33, s9
	s_mul_i32 s5, s5, s9
	s_mul_i32 s30, s33, s9
	s_and_saveexec_b64 s[36:37], vcc
	s_cbranch_execz .LBB10_10
; %bb.8:
	s_load_dwordx2 s[0:1], s[0:1], 0x4
	v_bfe_u32 v1, v0, 10, 10
	s_mul_i32 s11, s4, s13
	s_ashr_i32 s25, s24, 31
	v_bfe_u32 v0, v0, 20, 10
	s_waitcnt lgkmcnt(0)
	s_lshr_b32 s0, s0, 16
	s_mul_i32 s0, s0, s1
	v_mul_lo_u32 v3, s0, v2
	s_mul_hi_u32 s0, s4, s12
	v_mad_u32_u24 v1, v1, s1, v3
	s_add_i32 s1, s0, s11
	s_mul_i32 s0, s4, s12
	s_load_dword s12, s[2:3], 0x8c
	s_lshl_b64 s[38:39], s[0:1], 1
	s_add_u32 s0, s16, s38
	s_addc_u32 s1, s17, s39
	s_ashr_i32 s31, s8, 31
	s_waitcnt lgkmcnt(0)
	s_and_b32 s42, s12, 0xffff
	s_ashr_i32 s46, s9, 31
	s_ashr_i32 s11, s10, 31
	s_lshl_b32 s43, s42, 1
	s_lshl_b64 s[44:45], s[24:25], 1
	s_add_u32 s12, s28, s44
	s_addc_u32 s28, s29, s45
	s_add_u32 s26, s26, s12
	s_addc_u32 s27, s27, s28
	;; [unrolled: 2-line block ×3, first 2 shown]
	s_add_u32 s16, s16, s12
	s_mul_i32 s12, s6, s31
	s_addc_u32 s17, s17, s28
	s_add_i32 s12, s40, s12
	s_add_i32 s35, s12, s41
	s_mul_i32 s12, s33, s46
	s_add_i32 s12, s7, s12
	s_add_i32 s31, s12, s5
	s_lshl_b64 s[28:29], s[24:25], 2
	s_lshl_b64 s[38:39], s[34:35], 2
	;; [unrolled: 1-line block ×3, first 2 shown]
	s_add_u32 s12, s38, s44
	s_addc_u32 s25, s39, s45
	s_lshl_b64 s[38:39], s[10:11], 2
	s_add_u32 s11, s12, s38
	s_addc_u32 s12, s25, s39
	v_add_lshl_u32 v3, v1, v0, 1
	v_mov_b32_e32 v1, 0
	s_add_u32 s38, s20, s11
	v_lshlrev_b32_e32 v4, 2, v2
	v_mov_b32_e32 v5, v1
	s_addc_u32 s39, s21, s12
	v_add_u32_e32 v6, 0x800, v3
	v_lshlrev_b32_e32 v0, 1, v2
	s_mov_b32 s13, 0
	v_lshl_add_u64 v[4:5], s[38:39], 0, v[4:5]
	s_lshl_b32 s12, s42, 2
	s_mov_b64 s[38:39], 0
	v_mov_b32_e32 v7, v2
.LBB10_9:                               ; =>This Inner Loop Header: Depth=1
	v_lshl_add_u64 v[8:9], s[22:23], 0, v[0:1]
	v_lshl_add_u64 v[10:11], s[26:27], 0, v[0:1]
	;; [unrolled: 1-line block ×4, first 2 shown]
	global_load_ushort v16, v[8:9], off
	global_load_ushort v17, v[10:11], off
	;; [unrolled: 1-line block ×4, first 2 shown]
	s_add_u32 s22, s22, s43
	s_addc_u32 s23, s23, 0
	s_add_u32 s26, s26, s43
	s_addc_u32 s27, s27, 0
	;; [unrolled: 2-line block ×3, first 2 shown]
	v_add_u32_e32 v7, s42, v7
	s_add_u32 s0, s0, s43
	v_cmp_le_i32_e32 vcc, s24, v7
	s_addc_u32 s1, s1, 0
	v_lshl_add_u64 v[8:9], v[4:5], 0, s[28:29]
	s_or_b64 s[38:39], vcc, s[38:39]
	s_waitcnt vmcnt(3)
	v_lshlrev_b32_e32 v10, 16, v16
	s_waitcnt vmcnt(2)
	v_lshlrev_b32_e32 v11, 16, v17
	v_cvt_f16_f32_e32 v11, v11
	v_cvt_f16_f32_e32 v10, v10
	s_waitcnt vmcnt(1)
	v_mul_f16_e32 v16, v18, v11
	s_waitcnt vmcnt(0)
	v_mul_f16_e32 v11, v19, v11
	v_fma_f16 v16, v19, v10, -v16
	v_fma_f16 v10, v18, v10, v11
	ds_write_b16 v6, v16
	ds_write_b16 v3, v10
	ds_read_b32 v11, v6
	ds_read_b32 v17, v3
	global_store_short v[12:13], v16, off
	global_store_short v[14:15], v10, off
	s_waitcnt lgkmcnt(1)
	global_store_dword v[4:5], v11, off
	s_waitcnt lgkmcnt(0)
	global_store_dword v[8:9], v17, off
	v_lshl_add_u64 v[4:5], v[4:5], 0, s[12:13]
	s_andn2_b64 exec, exec, s[38:39]
	s_cbranch_execnz .LBB10_9
.LBB10_10:
	s_or_b64 exec, exec, s[36:37]
	v_cmp_gt_i32_e32 vcc, s10, v2
	s_and_saveexec_b64 s[0:1], vcc
	s_cbranch_execz .LBB10_13
; %bb.11:
	s_mul_i32 s0, s4, s15
	s_mul_hi_u32 s1, s4, s14
	s_add_i32 s1, s1, s0
	s_mul_i32 s0, s4, s14
	s_lshl_b64 s[0:1], s[0:1], 1
	s_add_u32 s0, s18, s0
	s_addc_u32 s1, s19, s1
	s_ashr_i32 s4, s8, 31
	s_mul_i32 s4, s6, s4
	s_add_i32 s4, s40, s4
	s_add_i32 s35, s4, s41
	s_lshl_b64 s[12:13], s[34:35], 2
	s_add_u32 s4, s20, s12
	s_addc_u32 s6, s21, s13
	s_ashr_i32 s8, s9, 31
	s_mul_i32 s33, s33, s8
	s_load_dword s8, s[2:3], 0x8c
	s_add_i32 s7, s7, s33
	s_add_i32 s31, s7, s5
	s_lshl_b64 s[2:3], s[30:31], 2
	s_add_u32 s2, s4, s2
	s_addc_u32 s3, s6, s3
	s_waitcnt lgkmcnt(0)
	s_and_b32 s6, s8, 0xffff
	s_mov_b64 s[4:5], 0
.LBB10_12:                              ; =>This Inner Loop Header: Depth=1
	v_ashrrev_i32_e32 v3, 31, v2
	v_lshl_add_u64 v[0:1], v[2:3], 1, s[0:1]
	global_load_dword v4, v[0:1], off
	v_lshl_add_u64 v[0:1], v[2:3], 2, s[2:3]
	v_add_u32_e32 v2, s6, v2
	v_cmp_le_i32_e32 vcc, s10, v2
	s_or_b64 s[4:5], vcc, s[4:5]
	s_waitcnt vmcnt(0)
	global_store_dword v[0:1], v4, off
	s_andn2_b64 exec, exec, s[4:5]
	s_cbranch_execnz .LBB10_12
.LBB10_13:
	s_endpgm
.LBB10_14:
                                        ; implicit-def: $sgpr6_sgpr7
	s_branch .LBB10_6
	.section	.rodata,"a",@progbits
	.p2align	6, 0x0
	.amdhsa_kernel _ZN4vllm38concat_and_cache_mla_rope_fused_kernelIN3c104HalfENS1_8BFloat16ELb1EffLNS_18Fp8KVCacheDataTypeE0EEEvPKlPT_S8_PKS7_PKT0_illlliPT3_S6_iiiiPKf
		.amdhsa_group_segment_fixed_size 4096
		.amdhsa_private_segment_fixed_size 0
		.amdhsa_kernarg_size 384
		.amdhsa_user_sgpr_count 4
		.amdhsa_user_sgpr_dispatch_ptr 1
		.amdhsa_user_sgpr_queue_ptr 0
		.amdhsa_user_sgpr_kernarg_segment_ptr 1
		.amdhsa_user_sgpr_dispatch_id 0
		.amdhsa_user_sgpr_kernarg_preload_length 0
		.amdhsa_user_sgpr_kernarg_preload_offset 0
		.amdhsa_user_sgpr_private_segment_size 0
		.amdhsa_uses_dynamic_stack 0
		.amdhsa_enable_private_segment 0
		.amdhsa_system_sgpr_workgroup_id_x 1
		.amdhsa_system_sgpr_workgroup_id_y 0
		.amdhsa_system_sgpr_workgroup_id_z 0
		.amdhsa_system_sgpr_workgroup_info 0
		.amdhsa_system_vgpr_workitem_id 2
		.amdhsa_next_free_vgpr 20
		.amdhsa_next_free_sgpr 47
		.amdhsa_accum_offset 20
		.amdhsa_reserve_vcc 1
		.amdhsa_float_round_mode_32 0
		.amdhsa_float_round_mode_16_64 0
		.amdhsa_float_denorm_mode_32 3
		.amdhsa_float_denorm_mode_16_64 3
		.amdhsa_dx10_clamp 1
		.amdhsa_ieee_mode 1
		.amdhsa_fp16_overflow 0
		.amdhsa_tg_split 0
		.amdhsa_exception_fp_ieee_invalid_op 0
		.amdhsa_exception_fp_denorm_src 0
		.amdhsa_exception_fp_ieee_div_zero 0
		.amdhsa_exception_fp_ieee_overflow 0
		.amdhsa_exception_fp_ieee_underflow 0
		.amdhsa_exception_fp_ieee_inexact 0
		.amdhsa_exception_int_div_zero 0
	.end_amdhsa_kernel
	.section	.text._ZN4vllm38concat_and_cache_mla_rope_fused_kernelIN3c104HalfENS1_8BFloat16ELb1EffLNS_18Fp8KVCacheDataTypeE0EEEvPKlPT_S8_PKS7_PKT0_illlliPT3_S6_iiiiPKf,"axG",@progbits,_ZN4vllm38concat_and_cache_mla_rope_fused_kernelIN3c104HalfENS1_8BFloat16ELb1EffLNS_18Fp8KVCacheDataTypeE0EEEvPKlPT_S8_PKS7_PKT0_illlliPT3_S6_iiiiPKf,comdat
.Lfunc_end10:
	.size	_ZN4vllm38concat_and_cache_mla_rope_fused_kernelIN3c104HalfENS1_8BFloat16ELb1EffLNS_18Fp8KVCacheDataTypeE0EEEvPKlPT_S8_PKS7_PKT0_illlliPT3_S6_iiiiPKf, .Lfunc_end10-_ZN4vllm38concat_and_cache_mla_rope_fused_kernelIN3c104HalfENS1_8BFloat16ELb1EffLNS_18Fp8KVCacheDataTypeE0EEEvPKlPT_S8_PKS7_PKT0_illlliPT3_S6_iiiiPKf
                                        ; -- End function
	.section	.AMDGPU.csdata,"",@progbits
; Kernel info:
; codeLenInByte = 2112
; NumSgprs: 53
; NumVgprs: 20
; NumAgprs: 0
; TotalNumVgprs: 20
; ScratchSize: 0
; MemoryBound: 0
; FloatMode: 240
; IeeeMode: 1
; LDSByteSize: 4096 bytes/workgroup (compile time only)
; SGPRBlocks: 6
; VGPRBlocks: 2
; NumSGPRsForWavesPerEU: 53
; NumVGPRsForWavesPerEU: 20
; AccumOffset: 20
; Occupancy: 8
; WaveLimiterHint : 1
; COMPUTE_PGM_RSRC2:SCRATCH_EN: 0
; COMPUTE_PGM_RSRC2:USER_SGPR: 4
; COMPUTE_PGM_RSRC2:TRAP_HANDLER: 0
; COMPUTE_PGM_RSRC2:TGID_X_EN: 1
; COMPUTE_PGM_RSRC2:TGID_Y_EN: 0
; COMPUTE_PGM_RSRC2:TGID_Z_EN: 0
; COMPUTE_PGM_RSRC2:TIDIG_COMP_CNT: 2
; COMPUTE_PGM_RSRC3_GFX90A:ACCUM_OFFSET: 4
; COMPUTE_PGM_RSRC3_GFX90A:TG_SPLIT: 0
	.section	.text._ZN4vllm38concat_and_cache_mla_rope_fused_kernelIN3c104HalfENS1_8BFloat16ELb0EffLNS_18Fp8KVCacheDataTypeE0EEEvPKlPT_S8_PKS7_PKT0_illlliPT3_S6_iiiiPKf,"axG",@progbits,_ZN4vllm38concat_and_cache_mla_rope_fused_kernelIN3c104HalfENS1_8BFloat16ELb0EffLNS_18Fp8KVCacheDataTypeE0EEEvPKlPT_S8_PKS7_PKT0_illlliPT3_S6_iiiiPKf,comdat
	.protected	_ZN4vllm38concat_and_cache_mla_rope_fused_kernelIN3c104HalfENS1_8BFloat16ELb0EffLNS_18Fp8KVCacheDataTypeE0EEEvPKlPT_S8_PKS7_PKT0_illlliPT3_S6_iiiiPKf ; -- Begin function _ZN4vllm38concat_and_cache_mla_rope_fused_kernelIN3c104HalfENS1_8BFloat16ELb0EffLNS_18Fp8KVCacheDataTypeE0EEEvPKlPT_S8_PKS7_PKT0_illlliPT3_S6_iiiiPKf
	.globl	_ZN4vllm38concat_and_cache_mla_rope_fused_kernelIN3c104HalfENS1_8BFloat16ELb0EffLNS_18Fp8KVCacheDataTypeE0EEEvPKlPT_S8_PKS7_PKT0_illlliPT3_S6_iiiiPKf
	.p2align	8
	.type	_ZN4vllm38concat_and_cache_mla_rope_fused_kernelIN3c104HalfENS1_8BFloat16ELb0EffLNS_18Fp8KVCacheDataTypeE0EEEvPKlPT_S8_PKS7_PKT0_illlliPT3_S6_iiiiPKf,@function
_ZN4vllm38concat_and_cache_mla_rope_fused_kernelIN3c104HalfENS1_8BFloat16ELb0EffLNS_18Fp8KVCacheDataTypeE0EEEvPKlPT_S8_PKS7_PKT0_illlliPT3_S6_iiiiPKf: ; @_ZN4vllm38concat_and_cache_mla_rope_fused_kernelIN3c104HalfENS1_8BFloat16ELb0EffLNS_18Fp8KVCacheDataTypeE0EEEvPKlPT_S8_PKS7_PKT0_illlliPT3_S6_iiiiPKf
; %bb.0:
	s_load_dwordx2 s[8:9], s[2:3], 0x60
	s_mov_b32 s5, 0
	s_lshl_b64 s[6:7], s[4:5], 3
	s_waitcnt lgkmcnt(0)
	s_add_u32 s8, s8, s6
	s_addc_u32 s9, s9, s7
	s_load_dwordx2 s[28:29], s[8:9], 0x0
	s_waitcnt lgkmcnt(0)
	v_cmp_lt_i64_e64 s[8:9], s[28:29], 0
	s_and_b64 vcc, exec, s[8:9]
	s_cbranch_vccnz .LBB11_13
; %bb.1:
	s_load_dword s5, s[2:3], 0x28
	s_load_dwordx2 s[8:9], s[2:3], 0x0
	s_load_dwordx2 s[24:25], s[2:3], 0x20
	s_load_dwordx4 s[16:19], s[2:3], 0x10
	v_and_b32_e32 v2, 0x3ff, v0
	s_waitcnt lgkmcnt(0)
	s_ashr_i32 s26, s5, 31
	s_add_u32 s6, s8, s6
	s_addc_u32 s7, s9, s7
	s_load_dwordx2 s[22:23], s[6:7], 0x0
	s_load_dwordx8 s[8:15], s[2:3], 0x30
	s_load_dwordx2 s[20:21], s[2:3], 0x58
	s_load_dword s30, s[2:3], 0x50
	v_lshlrev_b32_e32 v4, 1, v2
	s_waitcnt lgkmcnt(0)
	s_mul_i32 s6, s22, s26
	s_mul_hi_u32 s7, s22, s5
	s_add_i32 s6, s7, s6
	s_mul_i32 s7, s23, s5
	s_add_i32 s27, s6, s7
	s_lshr_b32 s6, s5, 31
	s_mul_i32 s26, s22, s5
	s_add_i32 s5, s5, s6
	s_ashr_i32 s22, s5, 1
	s_mul_i32 s5, s22, s30
	v_cmp_gt_i32_e32 vcc, s5, v2
	s_and_saveexec_b64 s[6:7], vcc
	s_cbranch_execz .LBB11_4
; %bb.2:
	s_load_dwordx2 s[34:35], s[2:3], 0x8
	s_load_dword s36, s[2:3], 0x8c
	s_lshl_b64 s[30:31], s[26:27], 1
	s_add_u32 s30, s24, s30
	s_mul_i32 s9, s4, s9
	s_mul_hi_u32 s33, s4, s8
	s_addc_u32 s31, s25, s31
	s_add_i32 s9, s33, s9
	s_mul_i32 s8, s4, s8
	s_ashr_i32 s23, s22, 31
	s_lshl_b64 s[8:9], s[8:9], 1
	s_waitcnt lgkmcnt(0)
	s_add_u32 s8, s34, s8
	s_addc_u32 s9, s35, s9
	s_abs_i32 s33, s22
	v_cvt_f32_u32_e32 v1, s33
	s_sub_i32 s34, 0, s33
	s_and_b32 s36, s36, 0xffff
	s_sub_i32 s37, 0, s22
	v_rcp_iflag_f32_e32 v1, v1
	s_lshl_b32 s39, s36, 1
	v_mov_b32_e32 v6, v4
	v_mov_b32_e32 v8, v2
	v_mul_f32_e32 v1, 0x4f7ffffe, v1
	v_cvt_u32_f32_e32 v1, v1
	v_mul_lo_u32 v3, s34, v1
	v_mul_hi_u32 v3, v1, v3
	s_lshl_b32 s34, s22, 1
	v_add_u32_e32 v1, v1, v3
	s_sub_i32 s38, 0, s34
	s_mov_b64 s[34:35], 0
.LBB11_3:                               ; =>This Inner Loop Header: Depth=1
	v_sub_u32_e32 v5, 0, v8
	v_max_i32_e32 v5, v8, v5
	v_mul_hi_u32 v7, v5, v1
	v_mul_lo_u32 v9, v7, s33
	v_sub_u32_e32 v5, v5, v9
	v_add_u32_e32 v10, 1, v7
	v_cmp_le_u32_e32 vcc, s33, v5
	v_subrev_u32_e32 v9, s33, v5
	v_ashrrev_i32_e32 v3, 31, v8
	v_cndmask_b32_e32 v7, v7, v10, vcc
	v_cndmask_b32_e32 v5, v5, v9, vcc
	v_add_u32_e32 v9, 1, v7
	v_cmp_le_u32_e32 vcc, s33, v5
	v_xor_b32_e32 v3, s23, v3
	s_nop 0
	v_cndmask_b32_e32 v5, v7, v9, vcc
	v_xor_b32_e32 v5, v5, v3
	v_sub_u32_e32 v3, v5, v3
	v_mad_u64_u32 v[10:11], s[40:41], s37, v3, v[8:9]
	v_ashrrev_i32_e32 v11, 31, v10
	v_ashrrev_i32_e32 v5, 31, v3
	v_mul_lo_u32 v7, v3, s11
	v_lshl_add_u64 v[10:11], v[10:11], 1, s[30:31]
	v_mad_u64_u32 v[12:13], s[40:41], v3, s10, 0
	v_mad_u64_u32 v[14:15], s[40:41], s38, v3, v[6:7]
	v_mul_lo_u32 v3, v5, s10
	v_lshl_add_u64 v[16:17], s[22:23], 1, v[10:11]
	v_add3_u32 v13, v13, v7, v3
	global_load_ushort v3, v[10:11], off
	global_load_ushort v5, v[16:17], off
	v_ashrrev_i32_e32 v15, 31, v14
	v_lshl_add_u64 v[10:11], v[12:13], 1, s[8:9]
	v_lshl_add_u64 v[10:11], v[14:15], 1, v[10:11]
	global_load_dword v7, v[10:11], off
	v_add_u32_e32 v8, s36, v8
	v_cmp_le_i32_e32 vcc, s5, v8
	v_add_u32_e32 v6, s39, v6
	s_or_b64 s[34:35], vcc, s[34:35]
	s_waitcnt vmcnt(2)
	v_lshlrev_b32_e32 v3, 16, v3
	s_waitcnt vmcnt(1)
	v_lshlrev_b32_e32 v5, 16, v5
	v_cvt_f16_f32_e32 v5, v5
	v_cvt_f16_f32_e32 v3, v3
	s_waitcnt vmcnt(0)
	v_lshrrev_b32_e32 v9, 16, v7
	v_mul_f16_e32 v12, v9, v5
	v_mul_f16_e32 v5, v7, v5
	v_fma_f16 v7, v7, v3, -v12
	v_fma_f16 v3, v9, v3, v5
	v_pack_b32_f16 v3, v7, v3
	global_store_dword v[10:11], v3, off
	s_andn2_b64 exec, exec, s[34:35]
	s_cbranch_execnz .LBB11_3
.LBB11_4:
	s_or_b64 exec, exec, s[6:7]
	s_load_dwordx4 s[8:11], s[2:3], 0x68
	s_waitcnt lgkmcnt(0)
	s_ashr_i32 s31, s11, 31
	s_mov_b32 s30, s11
	s_or_b64 s[6:7], s[28:29], s[30:31]
	s_mov_b32 s6, 0
	s_cmp_lg_u64 s[6:7], 0
	s_cbranch_scc0 .LBB11_14
; %bb.5:
	s_add_u32 s6, s30, s31
	s_mov_b32 s36, s31
	s_mov_b32 s37, s31
	s_addc_u32 s7, s31, s31
	s_xor_b64 s[38:39], s[6:7], s[36:37]
	v_cvt_f32_u32_e32 v1, s38
	v_cvt_f32_u32_e32 v3, s39
	s_sub_u32 s5, 0, s38
	s_subb_u32 s6, 0, s39
	v_fmamk_f32 v1, v3, 0x4f800000, v1
	v_rcp_f32_e32 v1, v1
	s_nop 0
	v_mul_f32_e32 v1, 0x5f7ffffc, v1
	v_mul_f32_e32 v3, 0x2f800000, v1
	v_trunc_f32_e32 v3, v3
	v_fmamk_f32 v1, v3, 0xcf800000, v1
	v_cvt_u32_f32_e32 v3, v3
	v_cvt_u32_f32_e32 v1, v1
	v_readfirstlane_b32 s7, v3
	v_readfirstlane_b32 s11, v1
	s_mul_i32 s23, s5, s7
	s_mul_hi_u32 s40, s5, s11
	s_mul_i32 s33, s6, s11
	s_add_i32 s23, s40, s23
	s_add_i32 s23, s23, s33
	s_mul_i32 s41, s5, s11
	s_mul_hi_u32 s33, s11, s23
	s_mul_i32 s40, s11, s23
	s_mul_hi_u32 s11, s11, s41
	s_add_u32 s11, s11, s40
	s_addc_u32 s33, 0, s33
	s_mul_hi_u32 s42, s7, s41
	s_mul_i32 s41, s7, s41
	s_add_u32 s11, s11, s41
	s_mul_hi_u32 s40, s7, s23
	s_addc_u32 s11, s33, s42
	s_addc_u32 s33, s40, 0
	s_mul_i32 s23, s7, s23
	s_add_u32 s11, s11, s23
	s_addc_u32 s23, 0, s33
	v_add_co_u32_e32 v1, vcc, s11, v1
	s_cmp_lg_u64 vcc, 0
	s_addc_u32 s7, s7, s23
	v_readfirstlane_b32 s23, v1
	s_mul_i32 s11, s5, s7
	s_mul_hi_u32 s33, s5, s23
	s_add_i32 s11, s33, s11
	s_mul_i32 s6, s6, s23
	s_add_i32 s11, s11, s6
	s_mul_i32 s5, s5, s23
	s_mul_hi_u32 s33, s7, s5
	s_mul_i32 s40, s7, s5
	s_mul_i32 s42, s23, s11
	s_mul_hi_u32 s5, s23, s5
	s_mul_hi_u32 s41, s23, s11
	s_add_u32 s5, s5, s42
	s_addc_u32 s23, 0, s41
	s_add_u32 s5, s5, s40
	s_mul_hi_u32 s6, s7, s11
	s_addc_u32 s5, s23, s33
	s_addc_u32 s6, s6, 0
	s_mul_i32 s11, s7, s11
	s_add_u32 s5, s5, s11
	s_addc_u32 s6, 0, s6
	v_add_co_u32_e32 v1, vcc, s5, v1
	s_cmp_lg_u64 vcc, 0
	s_addc_u32 s5, s7, s6
	s_ashr_i32 s40, s29, 31
	s_add_u32 s6, s28, s40
	s_mov_b32 s41, s40
	s_addc_u32 s7, s29, s40
	s_xor_b64 s[42:43], s[6:7], s[40:41]
	v_readfirstlane_b32 s11, v1
	s_mul_i32 s7, s42, s5
	s_mul_hi_u32 s23, s42, s11
	s_mul_hi_u32 s6, s42, s5
	s_add_u32 s7, s23, s7
	s_addc_u32 s6, 0, s6
	s_mul_hi_u32 s33, s43, s11
	s_mul_i32 s11, s43, s11
	s_add_u32 s7, s7, s11
	s_mul_hi_u32 s23, s43, s5
	s_addc_u32 s6, s6, s33
	s_addc_u32 s7, s23, 0
	s_mul_i32 s5, s43, s5
	s_add_u32 s5, s6, s5
	s_addc_u32 s11, 0, s7
	s_mul_i32 s6, s38, s11
	s_mul_hi_u32 s7, s38, s5
	s_add_i32 s6, s7, s6
	s_mul_i32 s7, s39, s5
	s_add_i32 s23, s6, s7
	s_mul_i32 s7, s38, s5
	v_mov_b32_e32 v1, s7
	s_sub_i32 s6, s43, s23
	v_sub_co_u32_e32 v1, vcc, s42, v1
	s_cmp_lg_u64 vcc, 0
	s_subb_u32 s33, s6, s39
	v_subrev_co_u32_e64 v3, s[6:7], s38, v1
	s_cmp_lg_u64 s[6:7], 0
	s_subb_u32 s6, s33, 0
	s_cmp_ge_u32 s6, s39
	v_readfirstlane_b32 s33, v3
	s_cselect_b32 s7, -1, 0
	s_cmp_ge_u32 s33, s38
	s_cselect_b32 s33, -1, 0
	s_cmp_eq_u32 s6, s39
	s_cselect_b32 s6, s33, s7
	s_add_u32 s7, s5, 1
	s_addc_u32 s33, s11, 0
	s_add_u32 s42, s5, 2
	s_addc_u32 s44, s11, 0
	s_cmp_lg_u32 s6, 0
	s_cselect_b32 s6, s42, s7
	s_cselect_b32 s7, s44, s33
	s_cmp_lg_u64 vcc, 0
	s_subb_u32 s23, s43, s23
	s_cmp_ge_u32 s23, s39
	v_readfirstlane_b32 s42, v1
	s_cselect_b32 s33, -1, 0
	s_cmp_ge_u32 s42, s38
	s_cselect_b32 s38, -1, 0
	s_cmp_eq_u32 s23, s39
	s_cselect_b32 s23, s38, s33
	s_cmp_lg_u32 s23, 0
	s_cselect_b32 s7, s7, s11
	s_cselect_b32 s6, s6, s5
	s_xor_b64 s[36:37], s[40:41], s[36:37]
	s_xor_b64 s[6:7], s[6:7], s[36:37]
	s_sub_u32 s6, s6, s36
	s_subb_u32 s7, s7, s37
	s_cbranch_execnz .LBB11_7
.LBB11_6:
	v_cvt_f32_u32_e32 v1, s30
	s_sub_i32 s5, 0, s30
	s_mov_b32 s7, 0
	v_rcp_iflag_f32_e32 v1, v1
	s_nop 0
	v_mul_f32_e32 v1, 0x4f7ffffe, v1
	v_cvt_u32_f32_e32 v1, v1
	s_nop 0
	v_readfirstlane_b32 s6, v1
	s_mul_i32 s5, s5, s6
	s_mul_hi_u32 s5, s6, s5
	s_add_i32 s6, s6, s5
	s_mul_hi_u32 s5, s28, s6
	s_mul_i32 s11, s5, s30
	s_sub_i32 s11, s28, s11
	s_add_i32 s6, s5, 1
	s_sub_i32 s23, s11, s30
	s_cmp_ge_u32 s11, s30
	s_cselect_b32 s5, s6, s5
	s_cselect_b32 s11, s23, s11
	s_add_i32 s6, s5, 1
	s_cmp_ge_u32 s11, s30
	s_cselect_b32 s6, s6, s5
.LBB11_7:
	s_mul_i32 s5, s6, s31
	s_mul_hi_u32 s11, s6, s30
	s_add_i32 s5, s11, s5
	s_mul_i32 s11, s7, s30
	s_add_i32 s5, s5, s11
	s_mul_i32 s11, s6, s30
	s_sub_u32 s33, s28, s11
	s_subb_u32 s5, s29, s5
	v_cmp_gt_i32_e32 vcc, s22, v2
	s_mul_hi_u32 s36, s6, s8
	s_mul_i32 s37, s7, s8
	s_mul_i32 s30, s6, s8
	s_mul_hi_u32 s7, s33, s9
	s_mul_i32 s5, s5, s9
	s_mul_i32 s28, s33, s9
	s_and_saveexec_b64 s[34:35], vcc
	s_cbranch_execz .LBB11_10
; %bb.8:
	s_load_dwordx2 s[0:1], s[0:1], 0x4
	s_ashr_i32 s23, s22, 31
	s_load_dword s29, s[2:3], 0x8c
	s_ashr_i32 s31, s8, 31
	s_ashr_i32 s39, s9, 31
	s_waitcnt lgkmcnt(0)
	s_lshr_b32 s0, s0, 16
	s_mul_i32 s0, s0, s1
	s_ashr_i32 s11, s10, 31
	s_and_b32 s38, s29, 0xffff
	s_lshl_b64 s[26:27], s[26:27], 1
	v_bfe_u32 v1, v0, 10, 10
	v_mul_lo_u32 v3, s0, v2
	s_add_u32 s24, s24, s26
	v_bfe_u32 v0, v0, 20, 10
	v_mad_u32_u24 v1, v1, s1, v3
	v_mov_b32_e32 v5, 0
	s_addc_u32 s25, s25, s27
	v_add_lshl_u32 v3, v1, v0, 1
	v_lshl_add_u64 v[0:1], s[24:25], 0, v[4:5]
	s_lshl_b64 s[24:25], s[22:23], 1
	s_mul_i32 s23, s6, s31
	s_add_i32 s23, s36, s23
	s_add_i32 s31, s23, s37
	s_mul_i32 s23, s33, s39
	s_add_i32 s23, s7, s23
	s_add_i32 s29, s23, s5
	s_lshl_b32 s0, s38, 1
	s_lshl_b64 s[26:27], s[30:31], 2
	s_lshl_b64 s[40:41], s[28:29], 2
	s_add_u32 s23, s26, s40
	s_addc_u32 s29, s27, s41
	s_lshl_b64 s[26:27], s[10:11], 2
	s_add_u32 s11, s20, s26
	s_addc_u32 s27, s21, s27
	s_add_u32 s26, s11, s23
	s_mul_i32 s11, s13, s4
	s_mul_hi_u32 s13, s12, s4
	v_lshlrev_b32_e32 v4, 3, v2
	s_addc_u32 s27, s27, s29
	s_add_i32 s13, s13, s11
	s_mul_i32 s12, s12, s4
	v_lshl_add_u64 v[6:7], s[26:27], 0, v[4:5]
	s_lshl_b32 s26, s38, 3
	s_lshl_b64 s[12:13], s[12:13], 1
	s_add_u32 s12, s16, s12
	v_lshlrev_b32_e32 v4, 2, v2
	s_addc_u32 s13, s17, s13
	s_mov_b32 s1, 0
	v_lshl_add_u64 v[4:5], s[12:13], 0, v[4:5]
	v_add_u32_e32 v8, 0x800, v3
	s_mov_b32 s27, s1
	v_lshl_add_u64 v[4:5], v[4:5], 0, 2
	s_lshl_b32 s12, s38, 2
	s_mov_b32 s13, s1
	s_mov_b64 s[16:17], 0
	v_mov_b32_e32 v9, v2
.LBB11_9:                               ; =>This Inner Loop Header: Depth=1
	global_load_ushort v12, v[0:1], off
	v_lshl_add_u64 v[10:11], v[0:1], 0, s[24:25]
	global_load_ushort v13, v[10:11], off
	global_load_dword v14, v[4:5], off offset:-2
	v_add_u32_e32 v9, s38, v9
	v_cmp_le_i32_e32 vcc, s22, v9
	v_lshl_add_u64 v[0:1], v[0:1], 0, s[0:1]
	s_or_b64 s[16:17], vcc, s[16:17]
	s_waitcnt vmcnt(2)
	v_lshlrev_b32_e32 v10, 16, v12
	s_waitcnt vmcnt(1)
	v_lshlrev_b32_e32 v12, 16, v13
	v_cvt_f16_f32_e32 v12, v12
	v_cvt_f16_f32_e32 v10, v10
	s_waitcnt vmcnt(0)
	v_lshrrev_b32_e32 v11, 16, v14
	v_mul_f16_e32 v13, v11, v12
	v_mul_f16_e32 v12, v14, v12
	v_fma_f16 v13, v14, v10, -v13
	v_fma_f16 v12, v11, v10, v12
	ds_write_b16 v8, v13
	ds_write_b16 v3, v12
	ds_read_b32 v10, v8
	ds_read_b32 v11, v3
	v_pack_b32_f16 v12, v13, v12
	global_store_dword v[4:5], v12, off offset:-2
	v_lshl_add_u64 v[4:5], v[4:5], 0, s[12:13]
	s_waitcnt lgkmcnt(0)
	global_store_dwordx2 v[6:7], v[10:11], off
	v_lshl_add_u64 v[6:7], v[6:7], 0, s[26:27]
	s_andn2_b64 exec, exec, s[16:17]
	s_cbranch_execnz .LBB11_9
.LBB11_10:
	s_or_b64 exec, exec, s[34:35]
	v_cmp_gt_i32_e32 vcc, s10, v2
	s_and_saveexec_b64 s[0:1], vcc
	s_cbranch_execz .LBB11_13
; %bb.11:
	s_mul_i32 s0, s4, s15
	s_mul_hi_u32 s1, s4, s14
	s_add_i32 s1, s1, s0
	s_mul_i32 s0, s4, s14
	s_lshl_b64 s[0:1], s[0:1], 1
	s_add_u32 s0, s18, s0
	s_addc_u32 s1, s19, s1
	s_ashr_i32 s4, s8, 31
	s_mul_i32 s4, s6, s4
	s_add_i32 s4, s36, s4
	s_add_i32 s31, s4, s37
	s_lshl_b64 s[12:13], s[30:31], 2
	s_add_u32 s4, s20, s12
	s_addc_u32 s6, s21, s13
	s_ashr_i32 s8, s9, 31
	s_mul_i32 s33, s33, s8
	s_load_dword s8, s[2:3], 0x8c
	s_add_i32 s7, s7, s33
	s_add_i32 s29, s7, s5
	s_lshl_b64 s[2:3], s[28:29], 2
	s_add_u32 s2, s4, s2
	s_addc_u32 s3, s6, s3
	s_waitcnt lgkmcnt(0)
	s_and_b32 s6, s8, 0xffff
	s_mov_b64 s[4:5], 0
.LBB11_12:                              ; =>This Inner Loop Header: Depth=1
	v_ashrrev_i32_e32 v3, 31, v2
	v_lshl_add_u64 v[0:1], v[2:3], 1, s[0:1]
	global_load_dword v4, v[0:1], off
	v_lshl_add_u64 v[0:1], v[2:3], 2, s[2:3]
	v_add_u32_e32 v2, s6, v2
	v_cmp_le_i32_e32 vcc, s10, v2
	s_or_b64 s[4:5], vcc, s[4:5]
	s_waitcnt vmcnt(0)
	global_store_dword v[0:1], v4, off
	s_andn2_b64 exec, exec, s[4:5]
	s_cbranch_execnz .LBB11_12
.LBB11_13:
	s_endpgm
.LBB11_14:
                                        ; implicit-def: $sgpr6_sgpr7
	s_branch .LBB11_6
	.section	.rodata,"a",@progbits
	.p2align	6, 0x0
	.amdhsa_kernel _ZN4vllm38concat_and_cache_mla_rope_fused_kernelIN3c104HalfENS1_8BFloat16ELb0EffLNS_18Fp8KVCacheDataTypeE0EEEvPKlPT_S8_PKS7_PKT0_illlliPT3_S6_iiiiPKf
		.amdhsa_group_segment_fixed_size 4096
		.amdhsa_private_segment_fixed_size 0
		.amdhsa_kernarg_size 384
		.amdhsa_user_sgpr_count 4
		.amdhsa_user_sgpr_dispatch_ptr 1
		.amdhsa_user_sgpr_queue_ptr 0
		.amdhsa_user_sgpr_kernarg_segment_ptr 1
		.amdhsa_user_sgpr_dispatch_id 0
		.amdhsa_user_sgpr_kernarg_preload_length 0
		.amdhsa_user_sgpr_kernarg_preload_offset 0
		.amdhsa_user_sgpr_private_segment_size 0
		.amdhsa_uses_dynamic_stack 0
		.amdhsa_enable_private_segment 0
		.amdhsa_system_sgpr_workgroup_id_x 1
		.amdhsa_system_sgpr_workgroup_id_y 0
		.amdhsa_system_sgpr_workgroup_id_z 0
		.amdhsa_system_sgpr_workgroup_info 0
		.amdhsa_system_vgpr_workitem_id 2
		.amdhsa_next_free_vgpr 18
		.amdhsa_next_free_sgpr 45
		.amdhsa_accum_offset 20
		.amdhsa_reserve_vcc 1
		.amdhsa_float_round_mode_32 0
		.amdhsa_float_round_mode_16_64 0
		.amdhsa_float_denorm_mode_32 3
		.amdhsa_float_denorm_mode_16_64 3
		.amdhsa_dx10_clamp 1
		.amdhsa_ieee_mode 1
		.amdhsa_fp16_overflow 0
		.amdhsa_tg_split 0
		.amdhsa_exception_fp_ieee_invalid_op 0
		.amdhsa_exception_fp_denorm_src 0
		.amdhsa_exception_fp_ieee_div_zero 0
		.amdhsa_exception_fp_ieee_overflow 0
		.amdhsa_exception_fp_ieee_underflow 0
		.amdhsa_exception_fp_ieee_inexact 0
		.amdhsa_exception_int_div_zero 0
	.end_amdhsa_kernel
	.section	.text._ZN4vllm38concat_and_cache_mla_rope_fused_kernelIN3c104HalfENS1_8BFloat16ELb0EffLNS_18Fp8KVCacheDataTypeE0EEEvPKlPT_S8_PKS7_PKT0_illlliPT3_S6_iiiiPKf,"axG",@progbits,_ZN4vllm38concat_and_cache_mla_rope_fused_kernelIN3c104HalfENS1_8BFloat16ELb0EffLNS_18Fp8KVCacheDataTypeE0EEEvPKlPT_S8_PKS7_PKT0_illlliPT3_S6_iiiiPKf,comdat
.Lfunc_end11:
	.size	_ZN4vllm38concat_and_cache_mla_rope_fused_kernelIN3c104HalfENS1_8BFloat16ELb0EffLNS_18Fp8KVCacheDataTypeE0EEEvPKlPT_S8_PKS7_PKT0_illlliPT3_S6_iiiiPKf, .Lfunc_end11-_ZN4vllm38concat_and_cache_mla_rope_fused_kernelIN3c104HalfENS1_8BFloat16ELb0EffLNS_18Fp8KVCacheDataTypeE0EEEvPKlPT_S8_PKS7_PKT0_illlliPT3_S6_iiiiPKf
                                        ; -- End function
	.section	.AMDGPU.csdata,"",@progbits
; Kernel info:
; codeLenInByte = 2060
; NumSgprs: 51
; NumVgprs: 18
; NumAgprs: 0
; TotalNumVgprs: 18
; ScratchSize: 0
; MemoryBound: 0
; FloatMode: 240
; IeeeMode: 1
; LDSByteSize: 4096 bytes/workgroup (compile time only)
; SGPRBlocks: 6
; VGPRBlocks: 2
; NumSGPRsForWavesPerEU: 51
; NumVGPRsForWavesPerEU: 18
; AccumOffset: 20
; Occupancy: 8
; WaveLimiterHint : 1
; COMPUTE_PGM_RSRC2:SCRATCH_EN: 0
; COMPUTE_PGM_RSRC2:USER_SGPR: 4
; COMPUTE_PGM_RSRC2:TRAP_HANDLER: 0
; COMPUTE_PGM_RSRC2:TGID_X_EN: 1
; COMPUTE_PGM_RSRC2:TGID_Y_EN: 0
; COMPUTE_PGM_RSRC2:TGID_Z_EN: 0
; COMPUTE_PGM_RSRC2:TIDIG_COMP_CNT: 2
; COMPUTE_PGM_RSRC3_GFX90A:ACCUM_OFFSET: 4
; COMPUTE_PGM_RSRC3_GFX90A:TG_SPLIT: 0
	.section	.text._ZN4vllm38concat_and_cache_mla_rope_fused_kernelIN3c108BFloat16EfLb1EffLNS_18Fp8KVCacheDataTypeE0EEEvPKlPT_S7_PKS6_PKT0_illlliPT3_S5_iiiiPKf,"axG",@progbits,_ZN4vllm38concat_and_cache_mla_rope_fused_kernelIN3c108BFloat16EfLb1EffLNS_18Fp8KVCacheDataTypeE0EEEvPKlPT_S7_PKS6_PKT0_illlliPT3_S5_iiiiPKf,comdat
	.protected	_ZN4vllm38concat_and_cache_mla_rope_fused_kernelIN3c108BFloat16EfLb1EffLNS_18Fp8KVCacheDataTypeE0EEEvPKlPT_S7_PKS6_PKT0_illlliPT3_S5_iiiiPKf ; -- Begin function _ZN4vllm38concat_and_cache_mla_rope_fused_kernelIN3c108BFloat16EfLb1EffLNS_18Fp8KVCacheDataTypeE0EEEvPKlPT_S7_PKS6_PKT0_illlliPT3_S5_iiiiPKf
	.globl	_ZN4vllm38concat_and_cache_mla_rope_fused_kernelIN3c108BFloat16EfLb1EffLNS_18Fp8KVCacheDataTypeE0EEEvPKlPT_S7_PKS6_PKT0_illlliPT3_S5_iiiiPKf
	.p2align	8
	.type	_ZN4vllm38concat_and_cache_mla_rope_fused_kernelIN3c108BFloat16EfLb1EffLNS_18Fp8KVCacheDataTypeE0EEEvPKlPT_S7_PKS6_PKT0_illlliPT3_S5_iiiiPKf,@function
_ZN4vllm38concat_and_cache_mla_rope_fused_kernelIN3c108BFloat16EfLb1EffLNS_18Fp8KVCacheDataTypeE0EEEvPKlPT_S7_PKS6_PKT0_illlliPT3_S5_iiiiPKf: ; @_ZN4vllm38concat_and_cache_mla_rope_fused_kernelIN3c108BFloat16EfLb1EffLNS_18Fp8KVCacheDataTypeE0EEEvPKlPT_S7_PKS6_PKT0_illlliPT3_S5_iiiiPKf
; %bb.0:
	s_load_dwordx2 s[8:9], s[2:3], 0x60
	s_mov_b32 s5, 0
	s_lshl_b64 s[6:7], s[4:5], 3
	s_waitcnt lgkmcnt(0)
	s_add_u32 s8, s8, s6
	s_addc_u32 s9, s9, s7
	s_load_dwordx2 s[36:37], s[8:9], 0x0
	s_waitcnt lgkmcnt(0)
	v_cmp_lt_i64_e64 s[8:9], s[36:37], 0
	s_and_b64 vcc, exec, s[8:9]
	s_cbranch_vccnz .LBB12_13
; %bb.1:
	s_load_dword s5, s[2:3], 0x28
	s_load_dwordx2 s[8:9], s[2:3], 0x0
	s_load_dwordx2 s[30:31], s[2:3], 0x20
	s_load_dwordx4 s[20:23], s[2:3], 0x10
	v_and_b32_e32 v2, 0x3ff, v0
	s_waitcnt lgkmcnt(0)
	s_ashr_i32 s10, s5, 31
	s_add_u32 s6, s8, s6
	s_addc_u32 s7, s9, s7
	s_load_dwordx2 s[8:9], s[6:7], 0x0
	s_load_dwordx8 s[12:19], s[2:3], 0x30
	s_load_dwordx2 s[24:25], s[2:3], 0x58
	s_load_dword s11, s[2:3], 0x50
	s_waitcnt lgkmcnt(0)
	s_mul_i32 s6, s8, s10
	s_mul_hi_u32 s7, s8, s5
	s_add_i32 s6, s7, s6
	s_mul_i32 s7, s9, s5
	s_add_i32 s7, s6, s7
	s_mul_i32 s6, s8, s5
	s_lshl_b64 s[34:35], s[6:7], 2
	s_add_u32 s26, s30, s34
	s_addc_u32 s27, s31, s35
	s_lshr_b32 s6, s5, 31
	s_add_i32 s5, s5, s6
	s_ashr_i32 s28, s5, 1
	s_mul_i32 s5, s28, s11
	v_cmp_gt_i32_e32 vcc, s5, v2
	s_and_saveexec_b64 s[38:39], vcc
	s_cbranch_execz .LBB12_4
; %bb.2:
	s_load_dwordx2 s[6:7], s[2:3], 0x8
	s_load_dword s10, s[2:3], 0x8c
	s_mul_i32 s8, s4, s13
	s_mul_hi_u32 s9, s4, s12
	s_add_i32 s9, s9, s8
	s_mul_i32 s8, s4, s12
	s_ashr_i32 s29, s28, 31
	s_lshl_b64 s[8:9], s[8:9], 1
	s_waitcnt lgkmcnt(0)
	s_add_u32 s12, s6, s8
	s_addc_u32 s13, s7, s9
	s_abs_i32 s33, s28
	v_cvt_f32_u32_e32 v1, s33
	s_sub_i32 s6, 0, s33
	s_mov_b64 s[40:41], 0
	s_movk_i32 s42, 0x7fff
	v_rcp_iflag_f32_e32 v1, v1
	s_and_b32 s43, s10, 0xffff
	s_sub_i32 s44, 0, s28
	v_mov_b32_e32 v5, 0x7fc0
	v_mul_f32_e32 v1, 0x4f7ffffe, v1
	v_cvt_u32_f32_e32 v1, v1
	v_mov_b32_e32 v4, v2
	v_mul_lo_u32 v3, s6, v1
	v_mul_hi_u32 v3, v1, v3
	v_add_u32_e32 v1, v1, v3
	v_mov_b32_e32 v3, 0x7fc00000
.LBB12_3:                               ; =>This Inner Loop Header: Depth=1
	v_sub_u32_e32 v7, 0, v4
	v_max_i32_e32 v7, v4, v7
	v_mul_hi_u32 v8, v7, v1
	v_mul_lo_u32 v9, v8, s33
	v_sub_u32_e32 v7, v7, v9
	v_add_u32_e32 v10, 1, v8
	v_cmp_le_u32_e32 vcc, s33, v7
	v_subrev_u32_e32 v9, s33, v7
	v_ashrrev_i32_e32 v6, 31, v4
	v_cndmask_b32_e32 v8, v8, v10, vcc
	v_cndmask_b32_e32 v7, v7, v9, vcc
	v_add_u32_e32 v9, 1, v8
	v_cmp_le_u32_e32 vcc, s33, v7
	v_xor_b32_e32 v6, s29, v6
	s_nop 0
	v_cndmask_b32_e32 v7, v8, v9, vcc
	v_xor_b32_e32 v7, v7, v6
	v_sub_u32_e32 v8, v7, v6
	v_mad_u64_u32 v[6:7], s[6:7], s44, v8, v[4:5]
	v_ashrrev_i32_e32 v10, 31, v8
	v_mul_lo_u32 v12, v8, s15
	v_mad_u64_u32 v[8:9], s[6:7], v8, s14, 0
	v_ashrrev_i32_e32 v7, 31, v6
	v_mul_lo_u32 v13, v10, s14
	v_lshl_add_u64 v[10:11], v[6:7], 2, s[26:27]
	v_add3_u32 v9, v9, v12, v13
	v_lshl_add_u64 v[12:13], s[28:29], 2, v[10:11]
	v_lshl_add_u64 v[8:9], v[8:9], 1, s[12:13]
	global_load_dword v14, v[10:11], off
	global_load_dword v15, v[12:13], off
	v_lshl_add_u64 v[6:7], v[6:7], 1, v[8:9]
	v_lshl_add_u64 v[8:9], s[28:29], 1, v[6:7]
	global_load_ushort v10, v[6:7], off
	global_load_ushort v12, v[8:9], off
	v_add_u32_e32 v4, s43, v4
	v_cmp_le_i32_e32 vcc, s5, v4
	s_or_b64 s[40:41], vcc, s[40:41]
	s_waitcnt vmcnt(3)
	v_bfe_u32 v11, v14, 16, 1
	s_waitcnt vmcnt(2)
	v_bfe_u32 v13, v15, 16, 1
	v_add3_u32 v11, v14, v11, s42
	v_add3_u32 v13, v15, v13, s42
	v_and_b32_e32 v16, 0xffff0000, v11
	v_cmp_o_f32_e32 vcc, v14, v14
	v_and_b32_e32 v13, 0xffff0000, v13
	s_waitcnt vmcnt(1)
	v_lshlrev_b32_e32 v11, 16, v10
	s_waitcnt vmcnt(0)
	v_lshlrev_b32_e32 v10, 16, v12
	v_cndmask_b32_e32 v12, v3, v16, vcc
	v_cmp_o_f32_e32 vcc, v15, v15
	v_mov_b32_e32 v14, v11
	v_mov_b32_e32 v15, v10
	v_cndmask_b32_e32 v13, v3, v13, vcc
	v_pk_mul_f32 v[14:15], v[12:13], v[14:15]
	v_pk_mul_f32 v[10:11], v[12:13], v[10:11]
	v_bfe_u32 v12, v14, 16, 1
	v_bfe_u32 v13, v15, 16, 1
	;; [unrolled: 1-line block ×4, first 2 shown]
	v_add3_u32 v13, v15, v13, s42
	v_add3_u32 v12, v14, v12, s42
	;; [unrolled: 1-line block ×4, first 2 shown]
	v_and_b32_e32 v12, 0xffff0000, v12
	v_and_b32_e32 v13, 0xffff0000, v13
	v_cmp_o_f32_e32 vcc, v14, v14
	v_cmp_o_f32_e64 s[10:11], v15, v15
	v_and_b32_e32 v14, 0xffff0000, v16
	v_and_b32_e32 v16, 0xffff0000, v17
	v_cmp_o_f32_e64 s[6:7], v11, v11
	v_cmp_o_f32_e64 s[8:9], v10, v10
	v_cndmask_b32_e64 v10, v3, v13, s[10:11]
	v_cndmask_b32_e32 v11, v3, v12, vcc
	v_cndmask_b32_e64 v12, v3, v16, s[6:7]
	v_cndmask_b32_e64 v13, v3, v14, s[8:9]
	v_sub_f32_e32 v10, v11, v10
	v_add_f32_e32 v11, v13, v12
	v_bfe_u32 v12, v10, 16, 1
	v_bfe_u32 v13, v11, 16, 1
	v_add3_u32 v12, v10, v12, s42
	v_add3_u32 v13, v11, v13, s42
	v_lshrrev_b32_e32 v12, 16, v12
	v_cmp_o_f32_e64 s[6:7], v10, v10
	v_lshrrev_b32_e32 v13, 16, v13
	v_cmp_o_f32_e32 vcc, v11, v11
	v_cndmask_b32_e64 v10, v5, v12, s[6:7]
	s_nop 0
	v_cndmask_b32_e32 v11, v5, v13, vcc
	global_store_short v[6:7], v10, off
	global_store_short v[8:9], v11, off
	s_andn2_b64 exec, exec, s[40:41]
	s_cbranch_execnz .LBB12_3
.LBB12_4:
	s_or_b64 exec, exec, s[38:39]
	s_load_dwordx4 s[12:15], s[2:3], 0x68
	s_waitcnt lgkmcnt(0)
	s_ashr_i32 s9, s15, 31
	s_mov_b32 s8, s15
	s_or_b64 s[6:7], s[36:37], s[8:9]
	s_mov_b32 s6, 0
	s_cmp_lg_u64 s[6:7], 0
	s_cbranch_scc0 .LBB12_14
; %bb.5:
	s_add_u32 s6, s8, s9
	s_mov_b32 s10, s9
	s_mov_b32 s11, s9
	s_addc_u32 s7, s9, s9
	s_xor_b64 s[40:41], s[6:7], s[10:11]
	v_cvt_f32_u32_e32 v1, s40
	v_cvt_f32_u32_e32 v3, s41
	s_sub_u32 s5, 0, s40
	s_subb_u32 s6, 0, s41
	v_fmamk_f32 v1, v3, 0x4f800000, v1
	v_rcp_f32_e32 v1, v1
	s_nop 0
	v_mul_f32_e32 v1, 0x5f7ffffc, v1
	v_mul_f32_e32 v3, 0x2f800000, v1
	v_trunc_f32_e32 v3, v3
	v_fmamk_f32 v1, v3, 0xcf800000, v1
	v_cvt_u32_f32_e32 v3, v3
	v_cvt_u32_f32_e32 v1, v1
	v_readfirstlane_b32 s7, v3
	v_readfirstlane_b32 s15, v1
	s_mul_i32 s29, s5, s7
	s_mul_hi_u32 s42, s5, s15
	s_mul_i32 s33, s6, s15
	s_add_i32 s29, s42, s29
	s_add_i32 s29, s29, s33
	s_mul_i32 s43, s5, s15
	s_mul_hi_u32 s33, s15, s29
	s_mul_i32 s42, s15, s29
	s_mul_hi_u32 s15, s15, s43
	s_add_u32 s15, s15, s42
	s_addc_u32 s33, 0, s33
	s_mul_hi_u32 s44, s7, s43
	s_mul_i32 s43, s7, s43
	s_add_u32 s15, s15, s43
	s_mul_hi_u32 s42, s7, s29
	s_addc_u32 s15, s33, s44
	s_addc_u32 s33, s42, 0
	s_mul_i32 s29, s7, s29
	s_add_u32 s15, s15, s29
	s_addc_u32 s29, 0, s33
	v_add_co_u32_e32 v1, vcc, s15, v1
	s_cmp_lg_u64 vcc, 0
	s_addc_u32 s7, s7, s29
	v_readfirstlane_b32 s29, v1
	s_mul_i32 s15, s5, s7
	s_mul_hi_u32 s33, s5, s29
	s_add_i32 s15, s33, s15
	s_mul_i32 s6, s6, s29
	s_add_i32 s15, s15, s6
	s_mul_i32 s5, s5, s29
	s_mul_hi_u32 s33, s7, s5
	s_mul_i32 s42, s7, s5
	s_mul_i32 s44, s29, s15
	s_mul_hi_u32 s5, s29, s5
	s_mul_hi_u32 s43, s29, s15
	s_add_u32 s5, s5, s44
	s_addc_u32 s29, 0, s43
	s_add_u32 s5, s5, s42
	s_mul_hi_u32 s6, s7, s15
	s_addc_u32 s5, s29, s33
	s_addc_u32 s6, s6, 0
	s_mul_i32 s15, s7, s15
	s_add_u32 s5, s5, s15
	s_addc_u32 s6, 0, s6
	v_add_co_u32_e32 v1, vcc, s5, v1
	s_cmp_lg_u64 vcc, 0
	s_addc_u32 s5, s7, s6
	s_ashr_i32 s42, s37, 31
	s_add_u32 s6, s36, s42
	s_mov_b32 s43, s42
	s_addc_u32 s7, s37, s42
	s_xor_b64 s[44:45], s[6:7], s[42:43]
	v_readfirstlane_b32 s15, v1
	s_mul_i32 s7, s44, s5
	s_mul_hi_u32 s29, s44, s15
	s_mul_hi_u32 s6, s44, s5
	s_add_u32 s7, s29, s7
	s_addc_u32 s6, 0, s6
	s_mul_hi_u32 s33, s45, s15
	s_mul_i32 s15, s45, s15
	s_add_u32 s7, s7, s15
	s_mul_hi_u32 s29, s45, s5
	s_addc_u32 s6, s6, s33
	s_addc_u32 s7, s29, 0
	s_mul_i32 s5, s45, s5
	s_add_u32 s5, s6, s5
	s_addc_u32 s15, 0, s7
	s_mul_i32 s6, s40, s15
	s_mul_hi_u32 s7, s40, s5
	s_add_i32 s6, s7, s6
	s_mul_i32 s7, s41, s5
	s_add_i32 s29, s6, s7
	s_mul_i32 s7, s40, s5
	v_mov_b32_e32 v1, s7
	s_sub_i32 s6, s45, s29
	v_sub_co_u32_e32 v1, vcc, s44, v1
	s_cmp_lg_u64 vcc, 0
	s_subb_u32 s33, s6, s41
	v_subrev_co_u32_e64 v3, s[6:7], s40, v1
	s_cmp_lg_u64 s[6:7], 0
	s_subb_u32 s6, s33, 0
	s_cmp_ge_u32 s6, s41
	v_readfirstlane_b32 s33, v3
	s_cselect_b32 s7, -1, 0
	s_cmp_ge_u32 s33, s40
	s_cselect_b32 s33, -1, 0
	s_cmp_eq_u32 s6, s41
	s_cselect_b32 s6, s33, s7
	s_add_u32 s7, s5, 1
	s_addc_u32 s33, s15, 0
	s_add_u32 s44, s5, 2
	s_addc_u32 s46, s15, 0
	s_cmp_lg_u32 s6, 0
	s_cselect_b32 s6, s44, s7
	s_cselect_b32 s7, s46, s33
	s_cmp_lg_u64 vcc, 0
	s_subb_u32 s29, s45, s29
	s_cmp_ge_u32 s29, s41
	v_readfirstlane_b32 s44, v1
	s_cselect_b32 s33, -1, 0
	s_cmp_ge_u32 s44, s40
	s_cselect_b32 s40, -1, 0
	s_cmp_eq_u32 s29, s41
	s_cselect_b32 s29, s40, s33
	s_cmp_lg_u32 s29, 0
	s_cselect_b32 s7, s7, s15
	s_cselect_b32 s6, s6, s5
	s_xor_b64 s[10:11], s[42:43], s[10:11]
	s_xor_b64 s[6:7], s[6:7], s[10:11]
	s_sub_u32 s10, s6, s10
	s_subb_u32 s11, s7, s11
	s_cbranch_execnz .LBB12_7
.LBB12_6:
	v_cvt_f32_u32_e32 v1, s8
	s_sub_i32 s5, 0, s8
	s_mov_b32 s11, 0
	v_rcp_iflag_f32_e32 v1, v1
	s_nop 0
	v_mul_f32_e32 v1, 0x4f7ffffe, v1
	v_cvt_u32_f32_e32 v1, v1
	s_nop 0
	v_readfirstlane_b32 s6, v1
	s_mul_i32 s5, s5, s6
	s_mul_hi_u32 s5, s6, s5
	s_add_i32 s6, s6, s5
	s_mul_hi_u32 s5, s36, s6
	s_mul_i32 s7, s5, s8
	s_sub_i32 s7, s36, s7
	s_add_i32 s6, s5, 1
	s_sub_i32 s10, s7, s8
	s_cmp_ge_u32 s7, s8
	s_cselect_b32 s5, s6, s5
	s_cselect_b32 s7, s10, s7
	s_add_i32 s6, s5, 1
	s_cmp_ge_u32 s7, s8
	s_cselect_b32 s10, s6, s5
.LBB12_7:
	s_mul_i32 s5, s10, s9
	s_mul_hi_u32 s6, s10, s8
	s_add_i32 s5, s6, s5
	s_mul_i32 s6, s11, s8
	s_add_i32 s5, s5, s6
	s_mul_i32 s6, s10, s8
	s_sub_u32 s33, s36, s6
	s_subb_u32 s5, s37, s5
	v_cmp_gt_i32_e32 vcc, s28, v2
	s_mul_hi_u32 s46, s10, s12
	s_mul_i32 s47, s11, s12
	s_mul_i32 s38, s10, s12
	s_mul_hi_u32 s11, s33, s13
	s_mul_i32 s5, s5, s13
	s_mul_i32 s36, s33, s13
	s_and_saveexec_b64 s[40:41], vcc
	s_cbranch_execz .LBB12_10
; %bb.8:
	s_load_dwordx2 s[0:1], s[0:1], 0x4
	s_ashr_i32 s6, s12, 31
	v_bfe_u32 v1, v0, 10, 10
	s_ashr_i32 s29, s28, 31
	s_load_dword s8, s[2:3], 0x8c
	s_waitcnt lgkmcnt(0)
	s_lshr_b32 s0, s0, 16
	s_mul_i32 s0, s0, s1
	v_mul_lo_u32 v3, s0, v2
	s_mul_i32 s0, s10, s6
	s_add_i32 s0, s46, s0
	s_add_i32 s39, s0, s47
	s_ashr_i32 s0, s13, 31
	s_mul_i32 s0, s33, s0
	s_add_i32 s0, s11, s0
	s_add_i32 s37, s0, s5
	v_mad_u32_u24 v1, v1, s1, v3
	s_lshl_b64 s[0:1], s[38:39], 2
	s_lshl_b64 s[6:7], s[36:37], 2
	s_add_u32 s39, s0, s6
	s_addc_u32 s48, s1, s7
	s_add_u32 s6, s39, s24
	s_addc_u32 s7, s48, s25
	s_ashr_i32 s15, s14, 31
	s_lshl_b64 s[0:1], s[14:15], 2
	s_add_u32 s42, s6, s0
	s_addc_u32 s43, s7, s1
	s_and_b32 s15, s8, 0xffff
	s_lshl_b32 s37, s15, 2
	s_lshl_b64 s[6:7], s[28:29], 2
	s_add_u32 s8, s34, s6
	s_addc_u32 s9, s35, s7
	s_add_u32 s30, s30, s8
	s_addc_u32 s31, s31, s9
	s_mul_i32 s8, s17, s4
	s_mul_hi_u32 s9, s16, s4
	s_add_i32 s9, s9, s8
	s_mul_i32 s8, s16, s4
	s_lshl_b64 s[34:35], s[28:29], 1
	s_lshl_b64 s[8:9], s[8:9], 1
	s_add_u32 s8, s20, s8
	s_addc_u32 s9, s21, s9
	s_lshl_b32 s44, s15, 1
	s_add_u32 s6, s39, s6
	s_addc_u32 s7, s48, s7
	v_bfe_u32 v0, v0, 20, 10
	s_add_u32 s0, s6, s0
	v_add_lshl_u32 v3, v1, v0, 1
	v_mov_b32_e32 v1, 0
	s_addc_u32 s1, s7, s1
	v_lshlrev_b32_e32 v4, 1, v2
	v_mov_b32_e32 v5, v1
	s_add_u32 s16, s24, s0
	v_add_u32_e32 v8, 0x800, v3
	v_lshlrev_b32_e32 v0, 2, v2
	s_mov_b32 s45, 0
	v_lshl_add_u64 v[4:5], s[8:9], 0, v[4:5]
	s_addc_u32 s17, s25, s1
	s_mov_b64 s[20:21], 0
	s_movk_i32 s29, 0x7fff
	v_mov_b32_e32 v9, 0x7fc00000
	v_mov_b32_e32 v10, 0x7fc0
	;; [unrolled: 1-line block ×3, first 2 shown]
.LBB12_9:                               ; =>This Inner Loop Header: Depth=1
	v_lshl_add_u64 v[12:13], s[26:27], 0, v[0:1]
	v_lshl_add_u64 v[14:15], s[30:31], 0, v[0:1]
	;; [unrolled: 1-line block ×3, first 2 shown]
	global_load_dword v20, v[12:13], off
	global_load_dword v21, v[14:15], off
	global_load_ushort v16, v[4:5], off
	global_load_ushort v18, v[6:7], off
	s_add_u32 s26, s26, s37
	s_addc_u32 s27, s27, 0
	s_add_u32 s30, s30, s37
	s_addc_u32 s31, s31, 0
	v_lshl_add_u64 v[14:15], s[16:17], 0, v[0:1]
	s_add_u32 s16, s16, s37
	s_addc_u32 s17, s17, 0
	v_lshl_add_u64 v[12:13], s[42:43], 0, v[0:1]
	v_add_u32_e32 v11, s15, v11
	s_add_u32 s42, s42, s37
	v_cmp_le_i32_e32 vcc, s28, v11
	s_addc_u32 s43, s43, 0
	s_or_b64 s[20:21], vcc, s[20:21]
	s_waitcnt vmcnt(3)
	v_bfe_u32 v19, v20, 16, 1
	s_waitcnt vmcnt(2)
	v_bfe_u32 v22, v21, 16, 1
	v_add3_u32 v22, v21, v22, s29
	v_add3_u32 v23, v20, v19, s29
	s_waitcnt vmcnt(1)
	v_lshlrev_b32_e32 v17, 16, v16
	s_waitcnt vmcnt(0)
	v_lshlrev_b32_e32 v16, 16, v18
	v_and_b32_e32 v23, 0xffff0000, v23
	v_and_b32_e32 v22, 0xffff0000, v22
	v_cmp_o_f32_e32 vcc, v20, v20
	v_cmp_o_f32_e64 s[0:1], v21, v21
	v_mov_b32_e32 v18, v17
	v_mov_b32_e32 v19, v16
	v_cndmask_b32_e64 v21, v9, v22, s[0:1]
	v_cndmask_b32_e32 v20, v9, v23, vcc
	v_pk_mul_f32 v[18:19], v[20:21], v[18:19]
	v_pk_mul_f32 v[16:17], v[20:21], v[16:17]
	v_bfe_u32 v20, v18, 16, 1
	v_bfe_u32 v21, v19, 16, 1
	;; [unrolled: 1-line block ×4, first 2 shown]
	v_add3_u32 v21, v19, v21, s29
	v_add3_u32 v20, v18, v20, s29
	;; [unrolled: 1-line block ×4, first 2 shown]
	v_and_b32_e32 v20, 0xffff0000, v20
	v_and_b32_e32 v21, 0xffff0000, v21
	v_cmp_o_f32_e32 vcc, v18, v18
	v_cmp_o_f32_e64 s[8:9], v19, v19
	v_and_b32_e32 v18, 0xffff0000, v22
	v_and_b32_e32 v22, 0xffff0000, v23
	v_cmp_o_f32_e64 s[0:1], v17, v17
	v_cmp_o_f32_e64 s[6:7], v16, v16
	v_cndmask_b32_e64 v16, v9, v21, s[8:9]
	v_cndmask_b32_e32 v17, v9, v20, vcc
	v_cndmask_b32_e64 v19, v9, v22, s[0:1]
	v_cndmask_b32_e64 v18, v9, v18, s[6:7]
	v_sub_f32_e32 v16, v17, v16
	v_add_f32_e32 v17, v18, v19
	v_bfe_u32 v18, v16, 16, 1
	v_bfe_u32 v19, v17, 16, 1
	v_add3_u32 v18, v16, v18, s29
	v_add3_u32 v19, v17, v19, s29
	v_lshrrev_b32_e32 v18, 16, v18
	v_cmp_o_f32_e64 s[0:1], v16, v16
	v_lshrrev_b32_e32 v19, 16, v19
	v_cmp_o_f32_e32 vcc, v17, v17
	v_cndmask_b32_e64 v16, v10, v18, s[0:1]
	s_nop 0
	v_cndmask_b32_e32 v17, v10, v19, vcc
	ds_write_b16 v8, v16
	ds_write_b16 v3, v17
	ds_read_b32 v18, v8
	ds_read_b32 v19, v3
	global_store_short v[4:5], v16, off
	global_store_short v[6:7], v17, off
	v_lshl_add_u64 v[4:5], v[4:5], 0, s[44:45]
	s_waitcnt lgkmcnt(1)
	global_store_dword v[12:13], v18, off
	s_waitcnt lgkmcnt(0)
	global_store_dword v[14:15], v19, off
	s_andn2_b64 exec, exec, s[20:21]
	s_cbranch_execnz .LBB12_9
.LBB12_10:
	s_or_b64 exec, exec, s[40:41]
	v_cmp_gt_i32_e32 vcc, s14, v2
	s_and_saveexec_b64 s[0:1], vcc
	s_cbranch_execz .LBB12_13
; %bb.11:
	s_mul_i32 s0, s4, s19
	s_mul_hi_u32 s1, s4, s18
	s_add_i32 s1, s1, s0
	s_mul_i32 s0, s4, s18
	s_lshl_b64 s[0:1], s[0:1], 1
	s_add_u32 s0, s22, s0
	s_addc_u32 s1, s23, s1
	s_ashr_i32 s4, s12, 31
	s_mul_i32 s4, s10, s4
	s_add_i32 s4, s46, s4
	s_add_i32 s39, s4, s47
	s_lshl_b64 s[6:7], s[38:39], 2
	s_add_u32 s4, s24, s6
	s_addc_u32 s6, s25, s7
	s_ashr_i32 s7, s13, 31
	s_mul_i32 s33, s33, s7
	s_load_dword s8, s[2:3], 0x8c
	s_add_i32 s7, s11, s33
	s_add_i32 s37, s7, s5
	s_lshl_b64 s[2:3], s[36:37], 2
	s_add_u32 s2, s4, s2
	s_addc_u32 s3, s6, s3
	s_waitcnt lgkmcnt(0)
	s_and_b32 s6, s8, 0xffff
	s_mov_b64 s[4:5], 0
.LBB12_12:                              ; =>This Inner Loop Header: Depth=1
	v_ashrrev_i32_e32 v3, 31, v2
	v_lshl_add_u64 v[0:1], v[2:3], 1, s[0:1]
	global_load_dword v4, v[0:1], off
	v_lshl_add_u64 v[0:1], v[2:3], 2, s[2:3]
	v_add_u32_e32 v2, s6, v2
	v_cmp_le_i32_e32 vcc, s14, v2
	s_or_b64 s[4:5], vcc, s[4:5]
	s_waitcnt vmcnt(0)
	global_store_dword v[0:1], v4, off
	s_andn2_b64 exec, exec, s[4:5]
	s_cbranch_execnz .LBB12_12
.LBB12_13:
	s_endpgm
.LBB12_14:
                                        ; implicit-def: $sgpr10_sgpr11
	s_branch .LBB12_6
	.section	.rodata,"a",@progbits
	.p2align	6, 0x0
	.amdhsa_kernel _ZN4vllm38concat_and_cache_mla_rope_fused_kernelIN3c108BFloat16EfLb1EffLNS_18Fp8KVCacheDataTypeE0EEEvPKlPT_S7_PKS6_PKT0_illlliPT3_S5_iiiiPKf
		.amdhsa_group_segment_fixed_size 4096
		.amdhsa_private_segment_fixed_size 0
		.amdhsa_kernarg_size 384
		.amdhsa_user_sgpr_count 4
		.amdhsa_user_sgpr_dispatch_ptr 1
		.amdhsa_user_sgpr_queue_ptr 0
		.amdhsa_user_sgpr_kernarg_segment_ptr 1
		.amdhsa_user_sgpr_dispatch_id 0
		.amdhsa_user_sgpr_kernarg_preload_length 0
		.amdhsa_user_sgpr_kernarg_preload_offset 0
		.amdhsa_user_sgpr_private_segment_size 0
		.amdhsa_uses_dynamic_stack 0
		.amdhsa_enable_private_segment 0
		.amdhsa_system_sgpr_workgroup_id_x 1
		.amdhsa_system_sgpr_workgroup_id_y 0
		.amdhsa_system_sgpr_workgroup_id_z 0
		.amdhsa_system_sgpr_workgroup_info 0
		.amdhsa_system_vgpr_workitem_id 2
		.amdhsa_next_free_vgpr 24
		.amdhsa_next_free_sgpr 49
		.amdhsa_accum_offset 24
		.amdhsa_reserve_vcc 1
		.amdhsa_float_round_mode_32 0
		.amdhsa_float_round_mode_16_64 0
		.amdhsa_float_denorm_mode_32 3
		.amdhsa_float_denorm_mode_16_64 3
		.amdhsa_dx10_clamp 1
		.amdhsa_ieee_mode 1
		.amdhsa_fp16_overflow 0
		.amdhsa_tg_split 0
		.amdhsa_exception_fp_ieee_invalid_op 0
		.amdhsa_exception_fp_denorm_src 0
		.amdhsa_exception_fp_ieee_div_zero 0
		.amdhsa_exception_fp_ieee_overflow 0
		.amdhsa_exception_fp_ieee_underflow 0
		.amdhsa_exception_fp_ieee_inexact 0
		.amdhsa_exception_int_div_zero 0
	.end_amdhsa_kernel
	.section	.text._ZN4vllm38concat_and_cache_mla_rope_fused_kernelIN3c108BFloat16EfLb1EffLNS_18Fp8KVCacheDataTypeE0EEEvPKlPT_S7_PKS6_PKT0_illlliPT3_S5_iiiiPKf,"axG",@progbits,_ZN4vllm38concat_and_cache_mla_rope_fused_kernelIN3c108BFloat16EfLb1EffLNS_18Fp8KVCacheDataTypeE0EEEvPKlPT_S7_PKS6_PKT0_illlliPT3_S5_iiiiPKf,comdat
.Lfunc_end12:
	.size	_ZN4vllm38concat_and_cache_mla_rope_fused_kernelIN3c108BFloat16EfLb1EffLNS_18Fp8KVCacheDataTypeE0EEEvPKlPT_S7_PKS6_PKT0_illlliPT3_S5_iiiiPKf, .Lfunc_end12-_ZN4vllm38concat_and_cache_mla_rope_fused_kernelIN3c108BFloat16EfLb1EffLNS_18Fp8KVCacheDataTypeE0EEEvPKlPT_S7_PKS6_PKT0_illlliPT3_S5_iiiiPKf
                                        ; -- End function
	.section	.AMDGPU.csdata,"",@progbits
; Kernel info:
; codeLenInByte = 2724
; NumSgprs: 55
; NumVgprs: 24
; NumAgprs: 0
; TotalNumVgprs: 24
; ScratchSize: 0
; MemoryBound: 0
; FloatMode: 240
; IeeeMode: 1
; LDSByteSize: 4096 bytes/workgroup (compile time only)
; SGPRBlocks: 6
; VGPRBlocks: 2
; NumSGPRsForWavesPerEU: 55
; NumVGPRsForWavesPerEU: 24
; AccumOffset: 24
; Occupancy: 8
; WaveLimiterHint : 1
; COMPUTE_PGM_RSRC2:SCRATCH_EN: 0
; COMPUTE_PGM_RSRC2:USER_SGPR: 4
; COMPUTE_PGM_RSRC2:TRAP_HANDLER: 0
; COMPUTE_PGM_RSRC2:TGID_X_EN: 1
; COMPUTE_PGM_RSRC2:TGID_Y_EN: 0
; COMPUTE_PGM_RSRC2:TGID_Z_EN: 0
; COMPUTE_PGM_RSRC2:TIDIG_COMP_CNT: 2
; COMPUTE_PGM_RSRC3_GFX90A:ACCUM_OFFSET: 5
; COMPUTE_PGM_RSRC3_GFX90A:TG_SPLIT: 0
	.section	.text._ZN4vllm38concat_and_cache_mla_rope_fused_kernelIN3c108BFloat16EfLb0EffLNS_18Fp8KVCacheDataTypeE0EEEvPKlPT_S7_PKS6_PKT0_illlliPT3_S5_iiiiPKf,"axG",@progbits,_ZN4vllm38concat_and_cache_mla_rope_fused_kernelIN3c108BFloat16EfLb0EffLNS_18Fp8KVCacheDataTypeE0EEEvPKlPT_S7_PKS6_PKT0_illlliPT3_S5_iiiiPKf,comdat
	.protected	_ZN4vllm38concat_and_cache_mla_rope_fused_kernelIN3c108BFloat16EfLb0EffLNS_18Fp8KVCacheDataTypeE0EEEvPKlPT_S7_PKS6_PKT0_illlliPT3_S5_iiiiPKf ; -- Begin function _ZN4vllm38concat_and_cache_mla_rope_fused_kernelIN3c108BFloat16EfLb0EffLNS_18Fp8KVCacheDataTypeE0EEEvPKlPT_S7_PKS6_PKT0_illlliPT3_S5_iiiiPKf
	.globl	_ZN4vllm38concat_and_cache_mla_rope_fused_kernelIN3c108BFloat16EfLb0EffLNS_18Fp8KVCacheDataTypeE0EEEvPKlPT_S7_PKS6_PKT0_illlliPT3_S5_iiiiPKf
	.p2align	8
	.type	_ZN4vllm38concat_and_cache_mla_rope_fused_kernelIN3c108BFloat16EfLb0EffLNS_18Fp8KVCacheDataTypeE0EEEvPKlPT_S7_PKS6_PKT0_illlliPT3_S5_iiiiPKf,@function
_ZN4vllm38concat_and_cache_mla_rope_fused_kernelIN3c108BFloat16EfLb0EffLNS_18Fp8KVCacheDataTypeE0EEEvPKlPT_S7_PKS6_PKT0_illlliPT3_S5_iiiiPKf: ; @_ZN4vllm38concat_and_cache_mla_rope_fused_kernelIN3c108BFloat16EfLb0EffLNS_18Fp8KVCacheDataTypeE0EEEvPKlPT_S7_PKS6_PKT0_illlliPT3_S5_iiiiPKf
; %bb.0:
	s_load_dwordx2 s[8:9], s[2:3], 0x60
	s_mov_b32 s5, 0
	s_lshl_b64 s[6:7], s[4:5], 3
	s_waitcnt lgkmcnt(0)
	s_add_u32 s8, s8, s6
	s_addc_u32 s9, s9, s7
	s_load_dwordx2 s[34:35], s[8:9], 0x0
	s_waitcnt lgkmcnt(0)
	v_cmp_lt_i64_e64 s[8:9], s[34:35], 0
	s_and_b64 vcc, exec, s[8:9]
	s_cbranch_vccnz .LBB13_13
; %bb.1:
	s_load_dword s5, s[2:3], 0x28
	s_load_dwordx2 s[8:9], s[2:3], 0x0
	s_load_dwordx2 s[28:29], s[2:3], 0x20
	s_load_dwordx4 s[16:19], s[2:3], 0x10
	v_and_b32_e32 v2, 0x3ff, v0
	s_waitcnt lgkmcnt(0)
	s_ashr_i32 s22, s5, 31
	s_add_u32 s6, s8, s6
	s_addc_u32 s7, s9, s7
	s_load_dwordx2 s[20:21], s[6:7], 0x0
	s_load_dwordx8 s[8:15], s[2:3], 0x30
	s_load_dwordx2 s[24:25], s[2:3], 0x58
	s_load_dword s23, s[2:3], 0x50
	s_waitcnt lgkmcnt(0)
	s_mul_i32 s6, s20, s22
	s_mul_hi_u32 s7, s20, s5
	s_add_i32 s6, s7, s6
	s_mul_i32 s7, s21, s5
	s_add_i32 s31, s6, s7
	s_lshr_b32 s6, s5, 31
	s_mul_i32 s30, s20, s5
	s_add_i32 s5, s5, s6
	s_ashr_i32 s26, s5, 1
	s_mul_i32 s5, s26, s23
	v_cmp_gt_i32_e32 vcc, s5, v2
	s_and_saveexec_b64 s[20:21], vcc
	s_cbranch_execz .LBB13_4
; %bb.2:
	s_lshl_b64 s[6:7], s[30:31], 2
	s_add_u32 s22, s28, s6
	s_addc_u32 s23, s29, s7
	s_load_dwordx2 s[6:7], s[2:3], 0x8
	s_load_dword s36, s[2:3], 0x8c
	s_mul_i32 s9, s4, s9
	s_mul_hi_u32 s33, s4, s8
	s_add_i32 s9, s33, s9
	s_mul_i32 s8, s4, s8
	s_ashr_i32 s27, s26, 31
	s_lshl_b64 s[8:9], s[8:9], 1
	s_waitcnt lgkmcnt(0)
	s_add_u32 s8, s6, s8
	s_addc_u32 s9, s7, s9
	s_abs_i32 s33, s26
	v_cvt_f32_u32_e32 v1, s33
	s_sub_i32 s6, 0, s33
	s_and_b32 s38, s36, 0xffff
	s_sub_i32 s39, 0, s26
	v_rcp_iflag_f32_e32 v1, v1
	v_lshlrev_b32_e32 v4, 1, v2
	s_lshl_b32 s41, s38, 1
	s_mov_b64 s[36:37], 0
	v_mul_f32_e32 v1, 0x4f7ffffe, v1
	v_cvt_u32_f32_e32 v1, v1
	s_movk_i32 s42, 0x7fff
	v_mov_b32_e32 v5, 0x7fc0
	s_mov_b32 s43, 0x5040100
	v_mul_lo_u32 v3, s6, v1
	v_mul_hi_u32 v3, v1, v3
	s_lshl_b32 s6, s26, 1
	v_add_u32_e32 v1, v1, v3
	s_sub_i32 s40, 0, s6
	v_mov_b32_e32 v3, 0x7fc00000
	v_mov_b32_e32 v6, v2
.LBB13_3:                               ; =>This Inner Loop Header: Depth=1
	v_sub_u32_e32 v8, 0, v6
	v_max_i32_e32 v8, v6, v8
	v_mul_hi_u32 v9, v8, v1
	v_mul_lo_u32 v10, v9, s33
	v_sub_u32_e32 v8, v8, v10
	v_add_u32_e32 v11, 1, v9
	v_cmp_le_u32_e32 vcc, s33, v8
	v_subrev_u32_e32 v10, s33, v8
	v_ashrrev_i32_e32 v7, 31, v6
	v_cndmask_b32_e32 v9, v9, v11, vcc
	v_cndmask_b32_e32 v8, v8, v10, vcc
	v_add_u32_e32 v10, 1, v9
	v_cmp_le_u32_e32 vcc, s33, v8
	v_xor_b32_e32 v7, s27, v7
	s_nop 0
	v_cndmask_b32_e32 v8, v9, v10, vcc
	v_xor_b32_e32 v8, v8, v7
	v_sub_u32_e32 v7, v8, v7
	v_mad_u64_u32 v[8:9], s[6:7], s39, v7, v[6:7]
	v_ashrrev_i32_e32 v14, 31, v7
	v_ashrrev_i32_e32 v9, 31, v8
	v_mul_lo_u32 v15, v7, s11
	v_mad_u64_u32 v[10:11], s[6:7], v7, s10, 0
	v_mad_u64_u32 v[12:13], s[6:7], s40, v7, v[4:5]
	v_mul_lo_u32 v7, v14, s10
	v_lshl_add_u64 v[8:9], v[8:9], 2, s[22:23]
	v_add3_u32 v11, v11, v15, v7
	v_lshl_add_u64 v[14:15], s[26:27], 2, v[8:9]
	global_load_dword v7, v[8:9], off
	v_ashrrev_i32_e32 v13, 31, v12
	global_load_dword v14, v[14:15], off
	v_lshl_add_u64 v[8:9], v[10:11], 1, s[8:9]
	v_lshl_add_u64 v[8:9], v[12:13], 1, v[8:9]
	global_load_dword v10, v[8:9], off
	v_add_u32_e32 v6, s38, v6
	v_cmp_le_i32_e32 vcc, s5, v6
	s_or_b64 s[36:37], vcc, s[36:37]
	v_add_u32_e32 v4, s41, v4
	s_waitcnt vmcnt(2)
	v_bfe_u32 v11, v7, 16, 1
	v_add3_u32 v11, v7, v11, s42
	s_waitcnt vmcnt(1)
	v_bfe_u32 v12, v14, 16, 1
	v_and_b32_e32 v13, 0xffff0000, v11
	v_add3_u32 v12, v14, v12, s42
	v_cmp_o_f32_e32 vcc, v7, v7
	s_waitcnt vmcnt(0)
	v_and_b32_e32 v11, 0xffff0000, v10
	v_lshlrev_b32_e32 v10, 16, v10
	v_and_b32_e32 v7, 0xffff0000, v12
	v_cndmask_b32_e32 v12, v3, v13, vcc
	v_cmp_o_f32_e32 vcc, v14, v14
	v_pk_mul_f32 v[12:13], v[12:13], v[10:11] op_sel_hi:[0,1]
	v_bfe_u32 v15, v13, 16, 1
	v_cndmask_b32_e32 v14, v3, v7, vcc
	v_bfe_u32 v7, v12, 16, 1
	v_pk_mul_f32 v[10:11], v[14:15], v[10:11] op_sel_hi:[0,1]
	v_add3_u32 v14, v13, v15, s42
	v_add3_u32 v7, v12, v7, s42
	v_bfe_u32 v15, v11, 16, 1
	v_bfe_u32 v16, v10, 16, 1
	v_and_b32_e32 v7, 0xffff0000, v7
	v_and_b32_e32 v14, 0xffff0000, v14
	v_add3_u32 v16, v10, v16, s42
	v_add3_u32 v15, v11, v15, s42
	v_cmp_o_f32_e32 vcc, v12, v12
	v_cmp_o_f32_e64 s[6:7], v13, v13
	v_and_b32_e32 v15, 0xffff0000, v15
	v_and_b32_e32 v16, 0xffff0000, v16
	v_cndmask_b32_e64 v13, v3, v14, s[6:7]
	v_cndmask_b32_e32 v12, v3, v7, vcc
	v_cmp_o_f32_e32 vcc, v11, v11
	v_cmp_o_f32_e64 s[6:7], v10, v10
	s_nop 0
	v_cndmask_b32_e32 v10, v3, v15, vcc
	v_cndmask_b32_e64 v11, v3, v16, s[6:7]
	v_pk_add_f32 v[14:15], v[12:13], v[10:11] neg_lo:[0,1] neg_hi:[0,1]
	v_pk_add_f32 v[10:11], v[12:13], v[10:11]
	v_bfe_u32 v7, v14, 16, 1
	v_bfe_u32 v10, v11, 16, 1
	v_add3_u32 v10, v11, v10, s42
	v_add3_u32 v7, v14, v7, s42
	v_lshrrev_b32_e32 v7, 16, v7
	v_lshrrev_b32_e32 v10, 16, v10
	v_cmp_o_f32_e32 vcc, v11, v11
	v_cmp_o_f32_e64 s[6:7], v14, v14
	s_nop 0
	v_cndmask_b32_e32 v10, v5, v10, vcc
	v_cndmask_b32_e64 v7, v5, v7, s[6:7]
	v_perm_b32 v7, v10, v7, s43
	global_store_dword v[8:9], v7, off
	s_andn2_b64 exec, exec, s[36:37]
	s_cbranch_execnz .LBB13_3
.LBB13_4:
	s_or_b64 exec, exec, s[20:21]
	s_load_dwordx4 s[20:23], s[2:3], 0x68
	s_waitcnt lgkmcnt(0)
	s_ashr_i32 s9, s23, 31
	s_mov_b32 s8, s23
	s_or_b64 s[6:7], s[34:35], s[8:9]
	s_mov_b32 s6, 0
	s_cmp_lg_u64 s[6:7], 0
	s_cbranch_scc0 .LBB13_14
; %bb.5:
	s_add_u32 s6, s8, s9
	s_mov_b32 s36, s9
	s_mov_b32 s37, s9
	s_addc_u32 s7, s9, s9
	s_xor_b64 s[38:39], s[6:7], s[36:37]
	v_cvt_f32_u32_e32 v1, s38
	v_cvt_f32_u32_e32 v3, s39
	s_sub_u32 s5, 0, s38
	s_subb_u32 s6, 0, s39
	v_fmamk_f32 v1, v3, 0x4f800000, v1
	v_rcp_f32_e32 v1, v1
	s_nop 0
	v_mul_f32_e32 v1, 0x5f7ffffc, v1
	v_mul_f32_e32 v3, 0x2f800000, v1
	v_trunc_f32_e32 v3, v3
	v_fmamk_f32 v1, v3, 0xcf800000, v1
	v_cvt_u32_f32_e32 v3, v3
	v_cvt_u32_f32_e32 v1, v1
	v_readfirstlane_b32 s7, v3
	v_readfirstlane_b32 s23, v1
	s_mul_i32 s27, s5, s7
	s_mul_hi_u32 s40, s5, s23
	s_mul_i32 s33, s6, s23
	s_add_i32 s27, s40, s27
	s_add_i32 s27, s27, s33
	s_mul_i32 s41, s5, s23
	s_mul_hi_u32 s33, s23, s27
	s_mul_i32 s40, s23, s27
	s_mul_hi_u32 s23, s23, s41
	s_add_u32 s23, s23, s40
	s_addc_u32 s33, 0, s33
	s_mul_hi_u32 s42, s7, s41
	s_mul_i32 s41, s7, s41
	s_add_u32 s23, s23, s41
	s_mul_hi_u32 s40, s7, s27
	s_addc_u32 s23, s33, s42
	s_addc_u32 s33, s40, 0
	s_mul_i32 s27, s7, s27
	s_add_u32 s23, s23, s27
	s_addc_u32 s27, 0, s33
	v_add_co_u32_e32 v1, vcc, s23, v1
	s_cmp_lg_u64 vcc, 0
	s_addc_u32 s7, s7, s27
	v_readfirstlane_b32 s27, v1
	s_mul_i32 s23, s5, s7
	s_mul_hi_u32 s33, s5, s27
	s_add_i32 s23, s33, s23
	s_mul_i32 s6, s6, s27
	s_add_i32 s23, s23, s6
	s_mul_i32 s5, s5, s27
	s_mul_hi_u32 s33, s7, s5
	s_mul_i32 s40, s7, s5
	s_mul_i32 s42, s27, s23
	s_mul_hi_u32 s5, s27, s5
	s_mul_hi_u32 s41, s27, s23
	s_add_u32 s5, s5, s42
	s_addc_u32 s27, 0, s41
	s_add_u32 s5, s5, s40
	s_mul_hi_u32 s6, s7, s23
	s_addc_u32 s5, s27, s33
	s_addc_u32 s6, s6, 0
	s_mul_i32 s23, s7, s23
	s_add_u32 s5, s5, s23
	s_addc_u32 s6, 0, s6
	v_add_co_u32_e32 v1, vcc, s5, v1
	s_cmp_lg_u64 vcc, 0
	s_addc_u32 s5, s7, s6
	s_ashr_i32 s40, s35, 31
	s_add_u32 s6, s34, s40
	s_mov_b32 s41, s40
	s_addc_u32 s7, s35, s40
	s_xor_b64 s[42:43], s[6:7], s[40:41]
	v_readfirstlane_b32 s23, v1
	s_mul_i32 s7, s42, s5
	s_mul_hi_u32 s27, s42, s23
	s_mul_hi_u32 s6, s42, s5
	s_add_u32 s7, s27, s7
	s_addc_u32 s6, 0, s6
	s_mul_hi_u32 s33, s43, s23
	s_mul_i32 s23, s43, s23
	s_add_u32 s7, s7, s23
	s_mul_hi_u32 s27, s43, s5
	s_addc_u32 s6, s6, s33
	s_addc_u32 s7, s27, 0
	s_mul_i32 s5, s43, s5
	s_add_u32 s5, s6, s5
	s_addc_u32 s23, 0, s7
	s_mul_i32 s6, s38, s23
	s_mul_hi_u32 s7, s38, s5
	s_add_i32 s6, s7, s6
	s_mul_i32 s7, s39, s5
	s_add_i32 s27, s6, s7
	s_mul_i32 s7, s38, s5
	v_mov_b32_e32 v1, s7
	s_sub_i32 s6, s43, s27
	v_sub_co_u32_e32 v1, vcc, s42, v1
	s_cmp_lg_u64 vcc, 0
	s_subb_u32 s33, s6, s39
	v_subrev_co_u32_e64 v3, s[6:7], s38, v1
	s_cmp_lg_u64 s[6:7], 0
	s_subb_u32 s6, s33, 0
	s_cmp_ge_u32 s6, s39
	v_readfirstlane_b32 s33, v3
	s_cselect_b32 s7, -1, 0
	s_cmp_ge_u32 s33, s38
	s_cselect_b32 s33, -1, 0
	s_cmp_eq_u32 s6, s39
	s_cselect_b32 s6, s33, s7
	s_add_u32 s7, s5, 1
	s_addc_u32 s33, s23, 0
	s_add_u32 s42, s5, 2
	s_addc_u32 s44, s23, 0
	s_cmp_lg_u32 s6, 0
	s_cselect_b32 s6, s42, s7
	s_cselect_b32 s7, s44, s33
	s_cmp_lg_u64 vcc, 0
	s_subb_u32 s27, s43, s27
	s_cmp_ge_u32 s27, s39
	v_readfirstlane_b32 s42, v1
	s_cselect_b32 s33, -1, 0
	s_cmp_ge_u32 s42, s38
	s_cselect_b32 s38, -1, 0
	s_cmp_eq_u32 s27, s39
	s_cselect_b32 s27, s38, s33
	s_cmp_lg_u32 s27, 0
	s_cselect_b32 s7, s7, s23
	s_cselect_b32 s6, s6, s5
	s_xor_b64 s[36:37], s[40:41], s[36:37]
	s_xor_b64 s[6:7], s[6:7], s[36:37]
	s_sub_u32 s36, s6, s36
	s_subb_u32 s37, s7, s37
	s_cbranch_execnz .LBB13_7
.LBB13_6:
	v_cvt_f32_u32_e32 v1, s8
	s_sub_i32 s5, 0, s8
	s_mov_b32 s37, 0
	v_rcp_iflag_f32_e32 v1, v1
	s_nop 0
	v_mul_f32_e32 v1, 0x4f7ffffe, v1
	v_cvt_u32_f32_e32 v1, v1
	s_nop 0
	v_readfirstlane_b32 s6, v1
	s_mul_i32 s5, s5, s6
	s_mul_hi_u32 s5, s6, s5
	s_add_i32 s6, s6, s5
	s_mul_hi_u32 s5, s34, s6
	s_mul_i32 s7, s5, s8
	s_sub_i32 s7, s34, s7
	s_add_i32 s6, s5, 1
	s_sub_i32 s10, s7, s8
	s_cmp_ge_u32 s7, s8
	s_cselect_b32 s5, s6, s5
	s_cselect_b32 s7, s10, s7
	s_add_i32 s6, s5, 1
	s_cmp_ge_u32 s7, s8
	s_cselect_b32 s36, s6, s5
.LBB13_7:
	s_mul_i32 s5, s36, s9
	s_mul_hi_u32 s6, s36, s8
	s_add_i32 s5, s6, s5
	s_mul_i32 s6, s37, s8
	s_add_i32 s5, s5, s6
	s_mul_i32 s6, s36, s8
	s_sub_u32 s33, s34, s6
	s_subb_u32 s5, s35, s5
	v_cmp_gt_i32_e32 vcc, s26, v2
	s_mul_hi_u32 s42, s36, s20
	s_mul_i32 s43, s37, s20
	s_mul_i32 s38, s36, s20
	s_mul_hi_u32 s37, s33, s21
	s_mul_i32 s5, s5, s21
	s_mul_i32 s34, s33, s21
	s_and_saveexec_b64 s[40:41], vcc
	s_cbranch_execz .LBB13_10
; %bb.8:
	s_load_dwordx2 s[0:1], s[0:1], 0x4
	v_bfe_u32 v1, v0, 10, 10
	s_load_dword s6, s[2:3], 0x8c
	s_ashr_i32 s27, s26, 31
	s_ashr_i32 s7, s20, 31
	s_waitcnt lgkmcnt(0)
	s_lshr_b32 s0, s0, 16
	s_mul_i32 s0, s0, s1
	v_mul_lo_u32 v3, s0, v2
	v_mad_u32_u24 v1, v1, s1, v3
	s_ashr_i32 s8, s21, 31
	s_ashr_i32 s23, s22, 31
	s_and_b32 s44, s6, 0xffff
	s_lshl_b64 s[0:1], s[30:31], 2
	s_add_u32 s0, s28, s0
	v_bfe_u32 v0, v0, 20, 10
	v_lshlrev_b32_e32 v8, 2, v2
	v_mov_b32_e32 v9, 0
	s_addc_u32 s1, s29, s1
	v_add_lshl_u32 v3, v1, v0, 1
	v_lshl_add_u64 v[0:1], s[0:1], 0, v[8:9]
	s_mul_i32 s0, s13, s4
	s_mul_hi_u32 s1, s12, s4
	s_add_i32 s1, s1, s0
	s_mul_i32 s0, s12, s4
	s_lshl_b32 s28, s44, 2
	s_lshl_b64 s[0:1], s[0:1], 1
	s_add_u32 s0, s16, s0
	s_addc_u32 s1, s17, s1
	v_lshl_add_u64 v[6:7], s[0:1], 0, v[8:9]
	s_mul_i32 s0, s36, s7
	s_mul_i32 s6, s33, s8
	s_add_i32 s0, s42, s0
	s_add_i32 s6, s37, s6
	;; [unrolled: 1-line block ×4, first 2 shown]
	s_lshl_b64 s[0:1], s[38:39], 2
	s_lshl_b64 s[6:7], s[34:35], 2
	s_add_u32 s6, s0, s6
	s_addc_u32 s7, s1, s7
	s_lshl_b64 s[0:1], s[22:23], 2
	s_add_u32 s0, s24, s0
	s_addc_u32 s1, s25, s1
	s_add_u32 s0, s0, s6
	v_lshlrev_b32_e32 v8, 3, v2
	s_addc_u32 s1, s1, s7
	v_add_u32_e32 v10, 0x800, v3
	s_mov_b32 s31, 0
	v_lshl_add_u64 v[4:5], s[26:27], 2, v[0:1]
	v_lshl_add_u64 v[8:9], s[0:1], 0, v[8:9]
	s_lshl_b32 s30, s44, 3
	s_mov_b64 s[12:13], 0
	s_movk_i32 s23, 0x7fff
	v_mov_b32_e32 v11, 0x7fc00000
	v_mov_b32_e32 v12, 0x7fc0
	s_mov_b32 s27, 0x5040100
	s_mov_b64 s[16:17], 0
	v_mov_b32_e32 v13, v2
.LBB13_9:                               ; =>This Inner Loop Header: Depth=1
	v_lshl_add_u64 v[14:15], v[0:1], 0, s[16:17]
	v_lshl_add_u64 v[16:17], v[4:5], 0, s[16:17]
	;; [unrolled: 1-line block ×3, first 2 shown]
	global_load_dword v20, v[14:15], off
	global_load_dword v21, v[16:17], off
	;; [unrolled: 1-line block ×3, first 2 shown]
	v_add_u32_e32 v13, s44, v13
	s_add_u32 s16, s16, s28
	s_addc_u32 s17, s17, 0
	v_cmp_le_i32_e32 vcc, s26, v13
	s_or_b64 s[12:13], vcc, s[12:13]
	s_waitcnt vmcnt(2)
	v_bfe_u32 v16, v20, 16, 1
	s_waitcnt vmcnt(1)
	v_bfe_u32 v17, v21, 16, 1
	v_add3_u32 v16, v20, v16, s23
	v_add3_u32 v17, v21, v17, s23
	v_and_b32_e32 v16, 0xffff0000, v16
	v_and_b32_e32 v17, 0xffff0000, v17
	v_cmp_o_f32_e64 s[0:1], v21, v21
	v_cmp_o_f32_e64 s[6:7], v20, v20
	s_waitcnt vmcnt(0)
	v_and_b32_e32 v15, 0xffff0000, v22
	v_lshlrev_b32_e32 v14, 16, v22
	v_cndmask_b32_e64 v16, v11, v16, s[6:7]
	v_cndmask_b32_e64 v20, v11, v17, s[0:1]
	v_pk_mul_f32 v[16:17], v[16:17], v[14:15] op_sel_hi:[0,1]
	v_pk_mul_f32 v[14:15], v[20:21], v[14:15] op_sel_hi:[0,1]
	v_bfe_u32 v20, v16, 16, 1
	v_bfe_u32 v21, v17, 16, 1
	;; [unrolled: 1-line block ×4, first 2 shown]
	v_add3_u32 v21, v17, v21, s23
	v_add3_u32 v20, v16, v20, s23
	;; [unrolled: 1-line block ×4, first 2 shown]
	v_and_b32_e32 v20, 0xffff0000, v20
	v_and_b32_e32 v21, 0xffff0000, v21
	;; [unrolled: 1-line block ×4, first 2 shown]
	v_cmp_o_f32_e64 s[0:1], v16, v16
	v_cmp_o_f32_e64 s[6:7], v14, v14
	;; [unrolled: 1-line block ×4, first 2 shown]
	v_cndmask_b32_e64 v14, v11, v20, s[0:1]
	v_cndmask_b32_e64 v17, v11, v23, s[6:7]
	;; [unrolled: 1-line block ×4, first 2 shown]
	v_pk_add_f32 v[20:21], v[14:15], v[16:17] neg_lo:[0,1] neg_hi:[0,1]
	v_pk_add_f32 v[14:15], v[14:15], v[16:17]
	v_cmp_o_f32_e64 s[6:7], v20, v20
	v_bfe_u32 v14, v20, 16, 1
	v_bfe_u32 v16, v15, 16, 1
	v_add3_u32 v14, v20, v14, s23
	v_add3_u32 v16, v15, v16, s23
	v_lshrrev_b32_e32 v14, 16, v14
	v_lshrrev_b32_e32 v16, 16, v16
	v_cmp_o_f32_e64 s[0:1], v15, v15
	v_cndmask_b32_e64 v17, v12, v14, s[6:7]
	s_nop 0
	v_cndmask_b32_e64 v16, v12, v16, s[0:1]
	ds_write_b16 v10, v17
	ds_write_b16 v3, v16
	ds_read_b32 v14, v10
	ds_read_b32 v15, v3
	v_perm_b32 v16, v16, v17, s27
	global_store_dword v[18:19], v16, off
	s_waitcnt lgkmcnt(0)
	global_store_dwordx2 v[8:9], v[14:15], off
	v_lshl_add_u64 v[8:9], v[8:9], 0, s[30:31]
	s_andn2_b64 exec, exec, s[12:13]
	s_cbranch_execnz .LBB13_9
.LBB13_10:
	s_or_b64 exec, exec, s[40:41]
	v_cmp_gt_i32_e32 vcc, s22, v2
	s_and_saveexec_b64 s[0:1], vcc
	s_cbranch_execz .LBB13_13
; %bb.11:
	s_mul_i32 s0, s4, s15
	s_mul_hi_u32 s1, s4, s14
	s_add_i32 s1, s1, s0
	s_mul_i32 s0, s4, s14
	s_lshl_b64 s[0:1], s[0:1], 1
	s_add_u32 s0, s18, s0
	s_addc_u32 s1, s19, s1
	s_ashr_i32 s4, s20, 31
	s_mul_i32 s4, s36, s4
	s_add_i32 s4, s42, s4
	s_add_i32 s39, s4, s43
	s_lshl_b64 s[6:7], s[38:39], 2
	s_add_u32 s4, s24, s6
	s_addc_u32 s6, s25, s7
	s_ashr_i32 s7, s21, 31
	s_mul_i32 s33, s33, s7
	s_load_dword s8, s[2:3], 0x8c
	s_add_i32 s7, s37, s33
	s_add_i32 s35, s7, s5
	s_lshl_b64 s[2:3], s[34:35], 2
	s_add_u32 s2, s4, s2
	s_addc_u32 s3, s6, s3
	s_waitcnt lgkmcnt(0)
	s_and_b32 s6, s8, 0xffff
	s_mov_b64 s[4:5], 0
.LBB13_12:                              ; =>This Inner Loop Header: Depth=1
	v_ashrrev_i32_e32 v3, 31, v2
	v_lshl_add_u64 v[0:1], v[2:3], 1, s[0:1]
	global_load_dword v4, v[0:1], off
	v_lshl_add_u64 v[0:1], v[2:3], 2, s[2:3]
	v_add_u32_e32 v2, s6, v2
	v_cmp_le_i32_e32 vcc, s22, v2
	s_or_b64 s[4:5], vcc, s[4:5]
	s_waitcnt vmcnt(0)
	global_store_dword v[0:1], v4, off
	s_andn2_b64 exec, exec, s[4:5]
	s_cbranch_execnz .LBB13_12
.LBB13_13:
	s_endpgm
.LBB13_14:
                                        ; implicit-def: $sgpr36_sgpr37
	s_branch .LBB13_6
	.section	.rodata,"a",@progbits
	.p2align	6, 0x0
	.amdhsa_kernel _ZN4vllm38concat_and_cache_mla_rope_fused_kernelIN3c108BFloat16EfLb0EffLNS_18Fp8KVCacheDataTypeE0EEEvPKlPT_S7_PKS6_PKT0_illlliPT3_S5_iiiiPKf
		.amdhsa_group_segment_fixed_size 4096
		.amdhsa_private_segment_fixed_size 0
		.amdhsa_kernarg_size 384
		.amdhsa_user_sgpr_count 4
		.amdhsa_user_sgpr_dispatch_ptr 1
		.amdhsa_user_sgpr_queue_ptr 0
		.amdhsa_user_sgpr_kernarg_segment_ptr 1
		.amdhsa_user_sgpr_dispatch_id 0
		.amdhsa_user_sgpr_kernarg_preload_length 0
		.amdhsa_user_sgpr_kernarg_preload_offset 0
		.amdhsa_user_sgpr_private_segment_size 0
		.amdhsa_uses_dynamic_stack 0
		.amdhsa_enable_private_segment 0
		.amdhsa_system_sgpr_workgroup_id_x 1
		.amdhsa_system_sgpr_workgroup_id_y 0
		.amdhsa_system_sgpr_workgroup_id_z 0
		.amdhsa_system_sgpr_workgroup_info 0
		.amdhsa_system_vgpr_workitem_id 2
		.amdhsa_next_free_vgpr 24
		.amdhsa_next_free_sgpr 45
		.amdhsa_accum_offset 24
		.amdhsa_reserve_vcc 1
		.amdhsa_float_round_mode_32 0
		.amdhsa_float_round_mode_16_64 0
		.amdhsa_float_denorm_mode_32 3
		.amdhsa_float_denorm_mode_16_64 3
		.amdhsa_dx10_clamp 1
		.amdhsa_ieee_mode 1
		.amdhsa_fp16_overflow 0
		.amdhsa_tg_split 0
		.amdhsa_exception_fp_ieee_invalid_op 0
		.amdhsa_exception_fp_denorm_src 0
		.amdhsa_exception_fp_ieee_div_zero 0
		.amdhsa_exception_fp_ieee_overflow 0
		.amdhsa_exception_fp_ieee_underflow 0
		.amdhsa_exception_fp_ieee_inexact 0
		.amdhsa_exception_int_div_zero 0
	.end_amdhsa_kernel
	.section	.text._ZN4vllm38concat_and_cache_mla_rope_fused_kernelIN3c108BFloat16EfLb0EffLNS_18Fp8KVCacheDataTypeE0EEEvPKlPT_S7_PKS6_PKT0_illlliPT3_S5_iiiiPKf,"axG",@progbits,_ZN4vllm38concat_and_cache_mla_rope_fused_kernelIN3c108BFloat16EfLb0EffLNS_18Fp8KVCacheDataTypeE0EEEvPKlPT_S7_PKS6_PKT0_illlliPT3_S5_iiiiPKf,comdat
.Lfunc_end13:
	.size	_ZN4vllm38concat_and_cache_mla_rope_fused_kernelIN3c108BFloat16EfLb0EffLNS_18Fp8KVCacheDataTypeE0EEEvPKlPT_S7_PKS6_PKT0_illlliPT3_S5_iiiiPKf, .Lfunc_end13-_ZN4vllm38concat_and_cache_mla_rope_fused_kernelIN3c108BFloat16EfLb0EffLNS_18Fp8KVCacheDataTypeE0EEEvPKlPT_S7_PKS6_PKT0_illlliPT3_S5_iiiiPKf
                                        ; -- End function
	.section	.AMDGPU.csdata,"",@progbits
; Kernel info:
; codeLenInByte = 2704
; NumSgprs: 51
; NumVgprs: 24
; NumAgprs: 0
; TotalNumVgprs: 24
; ScratchSize: 0
; MemoryBound: 0
; FloatMode: 240
; IeeeMode: 1
; LDSByteSize: 4096 bytes/workgroup (compile time only)
; SGPRBlocks: 6
; VGPRBlocks: 2
; NumSGPRsForWavesPerEU: 51
; NumVGPRsForWavesPerEU: 24
; AccumOffset: 24
; Occupancy: 8
; WaveLimiterHint : 1
; COMPUTE_PGM_RSRC2:SCRATCH_EN: 0
; COMPUTE_PGM_RSRC2:USER_SGPR: 4
; COMPUTE_PGM_RSRC2:TRAP_HANDLER: 0
; COMPUTE_PGM_RSRC2:TGID_X_EN: 1
; COMPUTE_PGM_RSRC2:TGID_Y_EN: 0
; COMPUTE_PGM_RSRC2:TGID_Z_EN: 0
; COMPUTE_PGM_RSRC2:TIDIG_COMP_CNT: 2
; COMPUTE_PGM_RSRC3_GFX90A:ACCUM_OFFSET: 5
; COMPUTE_PGM_RSRC3_GFX90A:TG_SPLIT: 0
	.section	.text._ZN4vllm38concat_and_cache_mla_rope_fused_kernelIN3c108BFloat16ENS1_4HalfELb1EffLNS_18Fp8KVCacheDataTypeE0EEEvPKlPT_S8_PKS7_PKT0_illlliPT3_S6_iiiiPKf,"axG",@progbits,_ZN4vllm38concat_and_cache_mla_rope_fused_kernelIN3c108BFloat16ENS1_4HalfELb1EffLNS_18Fp8KVCacheDataTypeE0EEEvPKlPT_S8_PKS7_PKT0_illlliPT3_S6_iiiiPKf,comdat
	.protected	_ZN4vllm38concat_and_cache_mla_rope_fused_kernelIN3c108BFloat16ENS1_4HalfELb1EffLNS_18Fp8KVCacheDataTypeE0EEEvPKlPT_S8_PKS7_PKT0_illlliPT3_S6_iiiiPKf ; -- Begin function _ZN4vllm38concat_and_cache_mla_rope_fused_kernelIN3c108BFloat16ENS1_4HalfELb1EffLNS_18Fp8KVCacheDataTypeE0EEEvPKlPT_S8_PKS7_PKT0_illlliPT3_S6_iiiiPKf
	.globl	_ZN4vllm38concat_and_cache_mla_rope_fused_kernelIN3c108BFloat16ENS1_4HalfELb1EffLNS_18Fp8KVCacheDataTypeE0EEEvPKlPT_S8_PKS7_PKT0_illlliPT3_S6_iiiiPKf
	.p2align	8
	.type	_ZN4vllm38concat_and_cache_mla_rope_fused_kernelIN3c108BFloat16ENS1_4HalfELb1EffLNS_18Fp8KVCacheDataTypeE0EEEvPKlPT_S8_PKS7_PKT0_illlliPT3_S6_iiiiPKf,@function
_ZN4vllm38concat_and_cache_mla_rope_fused_kernelIN3c108BFloat16ENS1_4HalfELb1EffLNS_18Fp8KVCacheDataTypeE0EEEvPKlPT_S8_PKS7_PKT0_illlliPT3_S6_iiiiPKf: ; @_ZN4vllm38concat_and_cache_mla_rope_fused_kernelIN3c108BFloat16ENS1_4HalfELb1EffLNS_18Fp8KVCacheDataTypeE0EEEvPKlPT_S8_PKS7_PKT0_illlliPT3_S6_iiiiPKf
; %bb.0:
	s_load_dwordx2 s[8:9], s[2:3], 0x60
	s_mov_b32 s5, 0
	s_lshl_b64 s[6:7], s[4:5], 3
	s_waitcnt lgkmcnt(0)
	s_add_u32 s8, s8, s6
	s_addc_u32 s9, s9, s7
	s_load_dwordx2 s[36:37], s[8:9], 0x0
	s_waitcnt lgkmcnt(0)
	v_cmp_lt_i64_e64 s[8:9], s[36:37], 0
	s_and_b64 vcc, exec, s[8:9]
	s_cbranch_vccnz .LBB14_13
; %bb.1:
	s_load_dword s5, s[2:3], 0x28
	s_load_dwordx2 s[8:9], s[2:3], 0x0
	s_load_dwordx2 s[30:31], s[2:3], 0x20
	s_load_dwordx4 s[20:23], s[2:3], 0x10
	v_and_b32_e32 v2, 0x3ff, v0
	s_waitcnt lgkmcnt(0)
	s_ashr_i32 s10, s5, 31
	s_add_u32 s6, s8, s6
	s_addc_u32 s7, s9, s7
	s_load_dwordx2 s[8:9], s[6:7], 0x0
	s_load_dwordx8 s[12:19], s[2:3], 0x30
	s_load_dwordx2 s[24:25], s[2:3], 0x58
	s_load_dword s11, s[2:3], 0x50
	s_waitcnt lgkmcnt(0)
	s_mul_i32 s6, s8, s10
	s_mul_hi_u32 s7, s8, s5
	s_add_i32 s6, s7, s6
	s_mul_i32 s7, s9, s5
	s_add_i32 s7, s6, s7
	s_mul_i32 s6, s8, s5
	s_lshl_b64 s[34:35], s[6:7], 1
	s_add_u32 s26, s30, s34
	s_addc_u32 s27, s31, s35
	s_lshr_b32 s6, s5, 31
	s_add_i32 s5, s5, s6
	s_ashr_i32 s28, s5, 1
	s_mul_i32 s5, s28, s11
	v_cmp_gt_i32_e32 vcc, s5, v2
	s_and_saveexec_b64 s[38:39], vcc
	s_cbranch_execz .LBB14_4
; %bb.2:
	s_load_dwordx2 s[6:7], s[2:3], 0x8
	s_load_dword s10, s[2:3], 0x8c
	s_mul_i32 s8, s4, s13
	s_mul_hi_u32 s9, s4, s12
	s_add_i32 s9, s9, s8
	s_mul_i32 s8, s4, s12
	s_ashr_i32 s29, s28, 31
	s_lshl_b64 s[8:9], s[8:9], 1
	s_waitcnt lgkmcnt(0)
	s_add_u32 s12, s6, s8
	s_addc_u32 s13, s7, s9
	s_abs_i32 s33, s28
	v_cvt_f32_u32_e32 v1, s33
	s_sub_i32 s6, 0, s33
	s_mov_b64 s[40:41], 0
	s_and_b32 s44, s10, 0xffff
	v_rcp_iflag_f32_e32 v1, v1
	s_sub_i32 s45, 0, s28
	s_lshl_b64 s[42:43], s[28:29], 1
	s_movk_i32 s46, 0x7fff
	v_mul_f32_e32 v1, 0x4f7ffffe, v1
	v_cvt_u32_f32_e32 v1, v1
	v_mov_b32_e32 v5, 0x7fc0
	v_mov_b32_e32 v4, v2
	v_mul_lo_u32 v3, s6, v1
	v_mul_hi_u32 v3, v1, v3
	v_add_u32_e32 v1, v1, v3
	v_mov_b32_e32 v3, 0x7fc00000
.LBB14_3:                               ; =>This Inner Loop Header: Depth=1
	v_sub_u32_e32 v7, 0, v4
	v_max_i32_e32 v7, v4, v7
	v_mul_hi_u32 v8, v7, v1
	v_mul_lo_u32 v9, v8, s33
	v_sub_u32_e32 v7, v7, v9
	v_add_u32_e32 v10, 1, v8
	v_cmp_le_u32_e32 vcc, s33, v7
	v_subrev_u32_e32 v9, s33, v7
	v_ashrrev_i32_e32 v6, 31, v4
	v_cndmask_b32_e32 v8, v8, v10, vcc
	v_cndmask_b32_e32 v7, v7, v9, vcc
	v_add_u32_e32 v9, 1, v8
	v_cmp_le_u32_e32 vcc, s33, v7
	v_xor_b32_e32 v6, s29, v6
	s_nop 0
	v_cndmask_b32_e32 v7, v8, v9, vcc
	v_xor_b32_e32 v7, v7, v6
	v_sub_u32_e32 v8, v7, v6
	v_mad_u64_u32 v[6:7], s[6:7], s45, v8, v[4:5]
	v_ashrrev_i32_e32 v10, 31, v8
	v_ashrrev_i32_e32 v7, 31, v6
	v_mul_lo_u32 v11, v8, s15
	v_mad_u64_u32 v[8:9], s[6:7], v8, s14, 0
	v_mul_lo_u32 v10, v10, s14
	v_lshlrev_b64 v[6:7], 1, v[6:7]
	v_add3_u32 v9, v9, v11, v10
	v_lshl_add_u64 v[10:11], s[26:27], 0, v[6:7]
	v_lshl_add_u64 v[12:13], v[10:11], 0, s[42:43]
	global_load_ushort v14, v[10:11], off
	global_load_ushort v15, v[12:13], off
	v_lshl_add_u64 v[8:9], v[8:9], 1, s[12:13]
	v_lshl_add_u64 v[6:7], v[8:9], 0, v[6:7]
	;; [unrolled: 1-line block ×3, first 2 shown]
	global_load_ushort v10, v[6:7], off
	global_load_ushort v12, v[8:9], off
	v_add_u32_e32 v4, s44, v4
	v_cmp_le_i32_e32 vcc, s5, v4
	s_or_b64 s[40:41], vcc, s[40:41]
	s_waitcnt vmcnt(3)
	v_cvt_f32_f16_e32 v16, v14
	s_waitcnt vmcnt(2)
	v_cvt_f32_f16_e32 v17, v15
	v_cmp_o_f16_e32 vcc, v14, v14
	v_bfe_u32 v18, v16, 16, 1
	v_bfe_u32 v19, v17, 16, 1
	v_add3_u32 v16, v16, v18, s46
	v_add3_u32 v17, v17, v19, s46
	v_and_b32_e32 v16, 0xffff0000, v16
	s_waitcnt vmcnt(1)
	v_lshlrev_b32_e32 v11, 16, v10
	s_waitcnt vmcnt(0)
	v_lshlrev_b32_e32 v10, 16, v12
	v_and_b32_e32 v17, 0xffff0000, v17
	v_cndmask_b32_e32 v14, v3, v16, vcc
	v_cmp_o_f16_e32 vcc, v15, v15
	v_mov_b32_e32 v12, v11
	v_mov_b32_e32 v13, v10
	v_cndmask_b32_e32 v15, v3, v17, vcc
	v_pk_mul_f32 v[12:13], v[14:15], v[12:13]
	v_pk_mul_f32 v[10:11], v[14:15], v[10:11]
	v_bfe_u32 v14, v12, 16, 1
	v_bfe_u32 v15, v13, 16, 1
	;; [unrolled: 1-line block ×4, first 2 shown]
	v_add3_u32 v15, v13, v15, s46
	v_add3_u32 v14, v12, v14, s46
	;; [unrolled: 1-line block ×4, first 2 shown]
	v_and_b32_e32 v14, 0xffff0000, v14
	v_and_b32_e32 v15, 0xffff0000, v15
	v_cmp_o_f32_e32 vcc, v12, v12
	v_cmp_o_f32_e64 s[10:11], v13, v13
	v_and_b32_e32 v12, 0xffff0000, v16
	v_and_b32_e32 v16, 0xffff0000, v17
	v_cmp_o_f32_e64 s[6:7], v11, v11
	v_cmp_o_f32_e64 s[8:9], v10, v10
	v_cndmask_b32_e64 v10, v3, v15, s[10:11]
	v_cndmask_b32_e32 v11, v3, v14, vcc
	v_cndmask_b32_e64 v13, v3, v16, s[6:7]
	v_cndmask_b32_e64 v12, v3, v12, s[8:9]
	v_sub_f32_e32 v10, v11, v10
	v_add_f32_e32 v11, v12, v13
	v_bfe_u32 v12, v10, 16, 1
	v_bfe_u32 v13, v11, 16, 1
	v_add3_u32 v12, v10, v12, s46
	v_add3_u32 v13, v11, v13, s46
	v_lshrrev_b32_e32 v12, 16, v12
	v_cmp_o_f32_e64 s[6:7], v10, v10
	v_lshrrev_b32_e32 v13, 16, v13
	v_cmp_o_f32_e32 vcc, v11, v11
	v_cndmask_b32_e64 v10, v5, v12, s[6:7]
	s_nop 0
	v_cndmask_b32_e32 v11, v5, v13, vcc
	global_store_short v[6:7], v10, off
	global_store_short v[8:9], v11, off
	s_andn2_b64 exec, exec, s[40:41]
	s_cbranch_execnz .LBB14_3
.LBB14_4:
	s_or_b64 exec, exec, s[38:39]
	s_load_dwordx4 s[12:15], s[2:3], 0x68
	s_waitcnt lgkmcnt(0)
	s_ashr_i32 s9, s15, 31
	s_mov_b32 s8, s15
	s_or_b64 s[6:7], s[36:37], s[8:9]
	s_mov_b32 s6, 0
	s_cmp_lg_u64 s[6:7], 0
	s_cbranch_scc0 .LBB14_14
; %bb.5:
	s_add_u32 s6, s8, s9
	s_mov_b32 s10, s9
	s_mov_b32 s11, s9
	s_addc_u32 s7, s9, s9
	s_xor_b64 s[40:41], s[6:7], s[10:11]
	v_cvt_f32_u32_e32 v1, s40
	v_cvt_f32_u32_e32 v3, s41
	s_sub_u32 s5, 0, s40
	s_subb_u32 s6, 0, s41
	v_fmamk_f32 v1, v3, 0x4f800000, v1
	v_rcp_f32_e32 v1, v1
	s_nop 0
	v_mul_f32_e32 v1, 0x5f7ffffc, v1
	v_mul_f32_e32 v3, 0x2f800000, v1
	v_trunc_f32_e32 v3, v3
	v_fmamk_f32 v1, v3, 0xcf800000, v1
	v_cvt_u32_f32_e32 v3, v3
	v_cvt_u32_f32_e32 v1, v1
	v_readfirstlane_b32 s7, v3
	v_readfirstlane_b32 s15, v1
	s_mul_i32 s29, s5, s7
	s_mul_hi_u32 s42, s5, s15
	s_mul_i32 s33, s6, s15
	s_add_i32 s29, s42, s29
	s_add_i32 s29, s29, s33
	s_mul_i32 s43, s5, s15
	s_mul_hi_u32 s33, s15, s29
	s_mul_i32 s42, s15, s29
	s_mul_hi_u32 s15, s15, s43
	s_add_u32 s15, s15, s42
	s_addc_u32 s33, 0, s33
	s_mul_hi_u32 s44, s7, s43
	s_mul_i32 s43, s7, s43
	s_add_u32 s15, s15, s43
	s_mul_hi_u32 s42, s7, s29
	s_addc_u32 s15, s33, s44
	s_addc_u32 s33, s42, 0
	s_mul_i32 s29, s7, s29
	s_add_u32 s15, s15, s29
	s_addc_u32 s29, 0, s33
	v_add_co_u32_e32 v1, vcc, s15, v1
	s_cmp_lg_u64 vcc, 0
	s_addc_u32 s7, s7, s29
	v_readfirstlane_b32 s29, v1
	s_mul_i32 s15, s5, s7
	s_mul_hi_u32 s33, s5, s29
	s_add_i32 s15, s33, s15
	s_mul_i32 s6, s6, s29
	s_add_i32 s15, s15, s6
	s_mul_i32 s5, s5, s29
	s_mul_hi_u32 s33, s7, s5
	s_mul_i32 s42, s7, s5
	s_mul_i32 s44, s29, s15
	s_mul_hi_u32 s5, s29, s5
	s_mul_hi_u32 s43, s29, s15
	s_add_u32 s5, s5, s44
	s_addc_u32 s29, 0, s43
	s_add_u32 s5, s5, s42
	s_mul_hi_u32 s6, s7, s15
	s_addc_u32 s5, s29, s33
	s_addc_u32 s6, s6, 0
	s_mul_i32 s15, s7, s15
	s_add_u32 s5, s5, s15
	s_addc_u32 s6, 0, s6
	v_add_co_u32_e32 v1, vcc, s5, v1
	s_cmp_lg_u64 vcc, 0
	s_addc_u32 s5, s7, s6
	s_ashr_i32 s42, s37, 31
	s_add_u32 s6, s36, s42
	s_mov_b32 s43, s42
	s_addc_u32 s7, s37, s42
	s_xor_b64 s[44:45], s[6:7], s[42:43]
	v_readfirstlane_b32 s15, v1
	s_mul_i32 s7, s44, s5
	s_mul_hi_u32 s29, s44, s15
	s_mul_hi_u32 s6, s44, s5
	s_add_u32 s7, s29, s7
	s_addc_u32 s6, 0, s6
	s_mul_hi_u32 s33, s45, s15
	s_mul_i32 s15, s45, s15
	s_add_u32 s7, s7, s15
	s_mul_hi_u32 s29, s45, s5
	s_addc_u32 s6, s6, s33
	s_addc_u32 s7, s29, 0
	s_mul_i32 s5, s45, s5
	s_add_u32 s5, s6, s5
	s_addc_u32 s15, 0, s7
	s_mul_i32 s6, s40, s15
	s_mul_hi_u32 s7, s40, s5
	s_add_i32 s6, s7, s6
	s_mul_i32 s7, s41, s5
	s_add_i32 s29, s6, s7
	s_mul_i32 s7, s40, s5
	v_mov_b32_e32 v1, s7
	s_sub_i32 s6, s45, s29
	v_sub_co_u32_e32 v1, vcc, s44, v1
	s_cmp_lg_u64 vcc, 0
	s_subb_u32 s33, s6, s41
	v_subrev_co_u32_e64 v3, s[6:7], s40, v1
	s_cmp_lg_u64 s[6:7], 0
	s_subb_u32 s6, s33, 0
	s_cmp_ge_u32 s6, s41
	v_readfirstlane_b32 s33, v3
	s_cselect_b32 s7, -1, 0
	s_cmp_ge_u32 s33, s40
	s_cselect_b32 s33, -1, 0
	s_cmp_eq_u32 s6, s41
	s_cselect_b32 s6, s33, s7
	s_add_u32 s7, s5, 1
	s_addc_u32 s33, s15, 0
	s_add_u32 s44, s5, 2
	s_addc_u32 s46, s15, 0
	s_cmp_lg_u32 s6, 0
	s_cselect_b32 s6, s44, s7
	s_cselect_b32 s7, s46, s33
	s_cmp_lg_u64 vcc, 0
	s_subb_u32 s29, s45, s29
	s_cmp_ge_u32 s29, s41
	v_readfirstlane_b32 s44, v1
	s_cselect_b32 s33, -1, 0
	s_cmp_ge_u32 s44, s40
	s_cselect_b32 s40, -1, 0
	s_cmp_eq_u32 s29, s41
	s_cselect_b32 s29, s40, s33
	s_cmp_lg_u32 s29, 0
	s_cselect_b32 s7, s7, s15
	s_cselect_b32 s6, s6, s5
	s_xor_b64 s[10:11], s[42:43], s[10:11]
	s_xor_b64 s[6:7], s[6:7], s[10:11]
	s_sub_u32 s10, s6, s10
	s_subb_u32 s11, s7, s11
	s_cbranch_execnz .LBB14_7
.LBB14_6:
	v_cvt_f32_u32_e32 v1, s8
	s_sub_i32 s5, 0, s8
	s_mov_b32 s11, 0
	v_rcp_iflag_f32_e32 v1, v1
	s_nop 0
	v_mul_f32_e32 v1, 0x4f7ffffe, v1
	v_cvt_u32_f32_e32 v1, v1
	s_nop 0
	v_readfirstlane_b32 s6, v1
	s_mul_i32 s5, s5, s6
	s_mul_hi_u32 s5, s6, s5
	s_add_i32 s6, s6, s5
	s_mul_hi_u32 s5, s36, s6
	s_mul_i32 s7, s5, s8
	s_sub_i32 s7, s36, s7
	s_add_i32 s6, s5, 1
	s_sub_i32 s10, s7, s8
	s_cmp_ge_u32 s7, s8
	s_cselect_b32 s5, s6, s5
	s_cselect_b32 s7, s10, s7
	s_add_i32 s6, s5, 1
	s_cmp_ge_u32 s7, s8
	s_cselect_b32 s10, s6, s5
.LBB14_7:
	s_mul_i32 s5, s10, s9
	s_mul_hi_u32 s6, s10, s8
	s_add_i32 s5, s6, s5
	s_mul_i32 s6, s11, s8
	s_add_i32 s5, s5, s6
	s_mul_i32 s6, s10, s8
	s_sub_u32 s33, s36, s6
	s_subb_u32 s5, s37, s5
	v_cmp_gt_i32_e32 vcc, s28, v2
	s_mul_hi_u32 s46, s10, s12
	s_mul_i32 s47, s11, s12
	s_mul_i32 s38, s10, s12
	s_mul_hi_u32 s11, s33, s13
	s_mul_i32 s5, s5, s13
	s_mul_i32 s36, s33, s13
	s_and_saveexec_b64 s[40:41], vcc
	s_cbranch_execz .LBB14_10
; %bb.8:
	s_load_dwordx2 s[0:1], s[0:1], 0x4
	v_bfe_u32 v1, v0, 10, 10
	s_mul_i32 s6, s4, s17
	s_ashr_i32 s29, s28, 31
	v_bfe_u32 v0, v0, 20, 10
	s_waitcnt lgkmcnt(0)
	s_lshr_b32 s0, s0, 16
	s_mul_i32 s0, s0, s1
	v_mul_lo_u32 v3, s0, v2
	s_mul_hi_u32 s0, s4, s16
	v_mad_u32_u24 v1, v1, s1, v3
	s_add_i32 s1, s0, s6
	s_load_dword s6, s[2:3], 0x8c
	s_mul_i32 s0, s4, s16
	s_lshl_b64 s[0:1], s[0:1], 1
	s_add_u32 s16, s20, s0
	s_addc_u32 s17, s21, s1
	s_waitcnt lgkmcnt(0)
	s_and_b32 s48, s6, 0xffff
	s_ashr_i32 s8, s12, 31
	s_ashr_i32 s9, s13, 31
	;; [unrolled: 1-line block ×3, first 2 shown]
	s_lshl_b32 s49, s48, 1
	s_lshl_b64 s[6:7], s[28:29], 1
	s_add_u32 s34, s34, s6
	s_addc_u32 s35, s35, s7
	s_add_u32 s30, s30, s34
	s_addc_u32 s31, s31, s35
	;; [unrolled: 2-line block ×3, first 2 shown]
	s_add_u32 s20, s20, s0
	s_mul_i32 s0, s10, s8
	s_mul_i32 s6, s33, s9
	s_addc_u32 s21, s21, s1
	s_add_i32 s0, s46, s0
	s_add_i32 s6, s11, s6
	;; [unrolled: 1-line block ×4, first 2 shown]
	s_lshl_b64 s[34:35], s[28:29], 2
	s_lshl_b64 s[0:1], s[38:39], 2
	;; [unrolled: 1-line block ×3, first 2 shown]
	s_add_u32 s6, s0, s6
	s_addc_u32 s7, s1, s7
	s_lshl_b64 s[0:1], s[14:15], 2
	s_add_u32 s0, s6, s0
	s_addc_u32 s1, s7, s1
	v_add_lshl_u32 v3, v1, v0, 1
	v_mov_b32_e32 v1, 0
	s_add_u32 s0, s24, s0
	v_lshlrev_b32_e32 v4, 2, v2
	v_mov_b32_e32 v5, v1
	s_addc_u32 s1, s25, s1
	v_add_u32_e32 v10, 0x800, v3
	v_lshlrev_b32_e32 v0, 1, v2
	s_mov_b32 s43, 0
	v_lshl_add_u64 v[4:5], s[0:1], 0, v[4:5]
	s_lshl_b32 s42, s48, 2
	s_mov_b64 s[44:45], 0
	s_movk_i32 s15, 0x7fff
	v_mov_b32_e32 v11, 0x7fc00000
	v_mov_b32_e32 v12, 0x7fc0
	;; [unrolled: 1-line block ×3, first 2 shown]
.LBB14_9:                               ; =>This Inner Loop Header: Depth=1
	v_lshl_add_u64 v[16:17], s[30:31], 0, v[0:1]
	v_lshl_add_u64 v[14:15], s[26:27], 0, v[0:1]
	v_lshl_add_u64 v[6:7], s[16:17], 0, v[0:1]
	v_lshl_add_u64 v[8:9], s[20:21], 0, v[0:1]
	global_load_ushort v20, v[16:17], off
	global_load_ushort v21, v[14:15], off
	;; [unrolled: 1-line block ×4, first 2 shown]
	s_add_u32 s26, s26, s49
	s_addc_u32 s27, s27, 0
	s_add_u32 s30, s30, s49
	s_addc_u32 s31, s31, 0
	s_add_u32 s20, s20, s49
	s_addc_u32 s21, s21, 0
	v_add_u32_e32 v13, s48, v13
	s_add_u32 s16, s16, s49
	v_cmp_le_i32_e32 vcc, s28, v13
	s_addc_u32 s17, s17, 0
	s_or_b64 s[44:45], vcc, s[44:45]
	v_lshl_add_u64 v[14:15], v[4:5], 0, s[34:35]
	s_waitcnt vmcnt(3)
	v_cvt_f32_f16_e32 v22, v20
	s_waitcnt vmcnt(2)
	v_cvt_f32_f16_e32 v23, v21
	s_waitcnt vmcnt(1)
	v_lshlrev_b32_e32 v17, 16, v18
	s_waitcnt vmcnt(0)
	v_lshlrev_b32_e32 v16, 16, v19
	v_bfe_u32 v25, v22, 16, 1
	v_bfe_u32 v24, v23, 16, 1
	v_add3_u32 v22, v22, v25, s15
	v_add3_u32 v23, v23, v24, s15
	v_and_b32_e32 v23, 0xffff0000, v23
	v_and_b32_e32 v22, 0xffff0000, v22
	v_cmp_o_f16_e32 vcc, v21, v21
	v_cmp_o_f16_e64 s[0:1], v20, v20
	v_mov_b32_e32 v18, v17
	v_mov_b32_e32 v19, v16
	v_cndmask_b32_e64 v21, v11, v22, s[0:1]
	v_cndmask_b32_e32 v20, v11, v23, vcc
	v_pk_mul_f32 v[18:19], v[20:21], v[18:19]
	v_pk_mul_f32 v[16:17], v[20:21], v[16:17]
	v_bfe_u32 v20, v18, 16, 1
	v_bfe_u32 v21, v19, 16, 1
	;; [unrolled: 1-line block ×4, first 2 shown]
	v_add3_u32 v21, v19, v21, s15
	v_add3_u32 v20, v18, v20, s15
	;; [unrolled: 1-line block ×4, first 2 shown]
	v_and_b32_e32 v20, 0xffff0000, v20
	v_and_b32_e32 v21, 0xffff0000, v21
	v_cmp_o_f32_e32 vcc, v18, v18
	v_cmp_o_f32_e64 s[8:9], v19, v19
	v_and_b32_e32 v18, 0xffff0000, v22
	v_and_b32_e32 v22, 0xffff0000, v23
	v_cmp_o_f32_e64 s[0:1], v17, v17
	v_cmp_o_f32_e64 s[6:7], v16, v16
	v_cndmask_b32_e64 v16, v11, v21, s[8:9]
	v_cndmask_b32_e32 v17, v11, v20, vcc
	v_cndmask_b32_e64 v19, v11, v22, s[0:1]
	v_cndmask_b32_e64 v18, v11, v18, s[6:7]
	v_sub_f32_e32 v16, v17, v16
	v_add_f32_e32 v17, v18, v19
	v_bfe_u32 v18, v16, 16, 1
	v_bfe_u32 v19, v17, 16, 1
	v_add3_u32 v18, v16, v18, s15
	v_add3_u32 v19, v17, v19, s15
	v_lshrrev_b32_e32 v18, 16, v18
	v_cmp_o_f32_e64 s[0:1], v16, v16
	v_lshrrev_b32_e32 v19, 16, v19
	v_cmp_o_f32_e32 vcc, v17, v17
	v_cndmask_b32_e64 v16, v12, v18, s[0:1]
	s_nop 0
	v_cndmask_b32_e32 v17, v12, v19, vcc
	ds_write_b16 v10, v16
	ds_write_b16 v3, v17
	ds_read_b32 v18, v10
	ds_read_b32 v19, v3
	global_store_short v[6:7], v16, off
	global_store_short v[8:9], v17, off
	s_waitcnt lgkmcnt(1)
	global_store_dword v[4:5], v18, off
	s_waitcnt lgkmcnt(0)
	global_store_dword v[14:15], v19, off
	v_lshl_add_u64 v[4:5], v[4:5], 0, s[42:43]
	s_andn2_b64 exec, exec, s[44:45]
	s_cbranch_execnz .LBB14_9
.LBB14_10:
	s_or_b64 exec, exec, s[40:41]
	v_cmp_gt_i32_e32 vcc, s14, v2
	s_and_saveexec_b64 s[0:1], vcc
	s_cbranch_execz .LBB14_13
; %bb.11:
	s_mul_i32 s0, s4, s19
	s_mul_hi_u32 s1, s4, s18
	s_add_i32 s1, s1, s0
	s_mul_i32 s0, s4, s18
	s_lshl_b64 s[0:1], s[0:1], 1
	s_add_u32 s0, s22, s0
	s_addc_u32 s1, s23, s1
	s_ashr_i32 s4, s12, 31
	s_mul_i32 s4, s10, s4
	s_add_i32 s4, s46, s4
	s_add_i32 s39, s4, s47
	s_lshl_b64 s[6:7], s[38:39], 2
	s_add_u32 s4, s24, s6
	s_addc_u32 s6, s25, s7
	s_ashr_i32 s7, s13, 31
	s_mul_i32 s33, s33, s7
	s_load_dword s8, s[2:3], 0x8c
	s_add_i32 s7, s11, s33
	s_add_i32 s37, s7, s5
	s_lshl_b64 s[2:3], s[36:37], 2
	s_add_u32 s2, s4, s2
	s_addc_u32 s3, s6, s3
	s_waitcnt lgkmcnt(0)
	s_and_b32 s6, s8, 0xffff
	s_mov_b64 s[4:5], 0
.LBB14_12:                              ; =>This Inner Loop Header: Depth=1
	v_ashrrev_i32_e32 v3, 31, v2
	v_lshl_add_u64 v[0:1], v[2:3], 1, s[0:1]
	global_load_dword v4, v[0:1], off
	v_lshl_add_u64 v[0:1], v[2:3], 2, s[2:3]
	v_add_u32_e32 v2, s6, v2
	v_cmp_le_i32_e32 vcc, s14, v2
	s_or_b64 s[4:5], vcc, s[4:5]
	s_waitcnt vmcnt(0)
	global_store_dword v[0:1], v4, off
	s_andn2_b64 exec, exec, s[4:5]
	s_cbranch_execnz .LBB14_12
.LBB14_13:
	s_endpgm
.LBB14_14:
                                        ; implicit-def: $sgpr10_sgpr11
	s_branch .LBB14_6
	.section	.rodata,"a",@progbits
	.p2align	6, 0x0
	.amdhsa_kernel _ZN4vllm38concat_and_cache_mla_rope_fused_kernelIN3c108BFloat16ENS1_4HalfELb1EffLNS_18Fp8KVCacheDataTypeE0EEEvPKlPT_S8_PKS7_PKT0_illlliPT3_S6_iiiiPKf
		.amdhsa_group_segment_fixed_size 4096
		.amdhsa_private_segment_fixed_size 0
		.amdhsa_kernarg_size 384
		.amdhsa_user_sgpr_count 4
		.amdhsa_user_sgpr_dispatch_ptr 1
		.amdhsa_user_sgpr_queue_ptr 0
		.amdhsa_user_sgpr_kernarg_segment_ptr 1
		.amdhsa_user_sgpr_dispatch_id 0
		.amdhsa_user_sgpr_kernarg_preload_length 0
		.amdhsa_user_sgpr_kernarg_preload_offset 0
		.amdhsa_user_sgpr_private_segment_size 0
		.amdhsa_uses_dynamic_stack 0
		.amdhsa_enable_private_segment 0
		.amdhsa_system_sgpr_workgroup_id_x 1
		.amdhsa_system_sgpr_workgroup_id_y 0
		.amdhsa_system_sgpr_workgroup_id_z 0
		.amdhsa_system_sgpr_workgroup_info 0
		.amdhsa_system_vgpr_workitem_id 2
		.amdhsa_next_free_vgpr 26
		.amdhsa_next_free_sgpr 50
		.amdhsa_accum_offset 28
		.amdhsa_reserve_vcc 1
		.amdhsa_float_round_mode_32 0
		.amdhsa_float_round_mode_16_64 0
		.amdhsa_float_denorm_mode_32 3
		.amdhsa_float_denorm_mode_16_64 3
		.amdhsa_dx10_clamp 1
		.amdhsa_ieee_mode 1
		.amdhsa_fp16_overflow 0
		.amdhsa_tg_split 0
		.amdhsa_exception_fp_ieee_invalid_op 0
		.amdhsa_exception_fp_denorm_src 0
		.amdhsa_exception_fp_ieee_div_zero 0
		.amdhsa_exception_fp_ieee_overflow 0
		.amdhsa_exception_fp_ieee_underflow 0
		.amdhsa_exception_fp_ieee_inexact 0
		.amdhsa_exception_int_div_zero 0
	.end_amdhsa_kernel
	.section	.text._ZN4vllm38concat_and_cache_mla_rope_fused_kernelIN3c108BFloat16ENS1_4HalfELb1EffLNS_18Fp8KVCacheDataTypeE0EEEvPKlPT_S8_PKS7_PKT0_illlliPT3_S6_iiiiPKf,"axG",@progbits,_ZN4vllm38concat_and_cache_mla_rope_fused_kernelIN3c108BFloat16ENS1_4HalfELb1EffLNS_18Fp8KVCacheDataTypeE0EEEvPKlPT_S8_PKS7_PKT0_illlliPT3_S6_iiiiPKf,comdat
.Lfunc_end14:
	.size	_ZN4vllm38concat_and_cache_mla_rope_fused_kernelIN3c108BFloat16ENS1_4HalfELb1EffLNS_18Fp8KVCacheDataTypeE0EEEvPKlPT_S8_PKS7_PKT0_illlliPT3_S6_iiiiPKf, .Lfunc_end14-_ZN4vllm38concat_and_cache_mla_rope_fused_kernelIN3c108BFloat16ENS1_4HalfELb1EffLNS_18Fp8KVCacheDataTypeE0EEEvPKlPT_S8_PKS7_PKT0_illlliPT3_S6_iiiiPKf
                                        ; -- End function
	.section	.AMDGPU.csdata,"",@progbits
; Kernel info:
; codeLenInByte = 2748
; NumSgprs: 56
; NumVgprs: 26
; NumAgprs: 0
; TotalNumVgprs: 26
; ScratchSize: 0
; MemoryBound: 0
; FloatMode: 240
; IeeeMode: 1
; LDSByteSize: 4096 bytes/workgroup (compile time only)
; SGPRBlocks: 6
; VGPRBlocks: 3
; NumSGPRsForWavesPerEU: 56
; NumVGPRsForWavesPerEU: 26
; AccumOffset: 28
; Occupancy: 8
; WaveLimiterHint : 1
; COMPUTE_PGM_RSRC2:SCRATCH_EN: 0
; COMPUTE_PGM_RSRC2:USER_SGPR: 4
; COMPUTE_PGM_RSRC2:TRAP_HANDLER: 0
; COMPUTE_PGM_RSRC2:TGID_X_EN: 1
; COMPUTE_PGM_RSRC2:TGID_Y_EN: 0
; COMPUTE_PGM_RSRC2:TGID_Z_EN: 0
; COMPUTE_PGM_RSRC2:TIDIG_COMP_CNT: 2
; COMPUTE_PGM_RSRC3_GFX90A:ACCUM_OFFSET: 6
; COMPUTE_PGM_RSRC3_GFX90A:TG_SPLIT: 0
	.section	.text._ZN4vllm38concat_and_cache_mla_rope_fused_kernelIN3c108BFloat16ENS1_4HalfELb0EffLNS_18Fp8KVCacheDataTypeE0EEEvPKlPT_S8_PKS7_PKT0_illlliPT3_S6_iiiiPKf,"axG",@progbits,_ZN4vllm38concat_and_cache_mla_rope_fused_kernelIN3c108BFloat16ENS1_4HalfELb0EffLNS_18Fp8KVCacheDataTypeE0EEEvPKlPT_S8_PKS7_PKT0_illlliPT3_S6_iiiiPKf,comdat
	.protected	_ZN4vllm38concat_and_cache_mla_rope_fused_kernelIN3c108BFloat16ENS1_4HalfELb0EffLNS_18Fp8KVCacheDataTypeE0EEEvPKlPT_S8_PKS7_PKT0_illlliPT3_S6_iiiiPKf ; -- Begin function _ZN4vllm38concat_and_cache_mla_rope_fused_kernelIN3c108BFloat16ENS1_4HalfELb0EffLNS_18Fp8KVCacheDataTypeE0EEEvPKlPT_S8_PKS7_PKT0_illlliPT3_S6_iiiiPKf
	.globl	_ZN4vllm38concat_and_cache_mla_rope_fused_kernelIN3c108BFloat16ENS1_4HalfELb0EffLNS_18Fp8KVCacheDataTypeE0EEEvPKlPT_S8_PKS7_PKT0_illlliPT3_S6_iiiiPKf
	.p2align	8
	.type	_ZN4vllm38concat_and_cache_mla_rope_fused_kernelIN3c108BFloat16ENS1_4HalfELb0EffLNS_18Fp8KVCacheDataTypeE0EEEvPKlPT_S8_PKS7_PKT0_illlliPT3_S6_iiiiPKf,@function
_ZN4vllm38concat_and_cache_mla_rope_fused_kernelIN3c108BFloat16ENS1_4HalfELb0EffLNS_18Fp8KVCacheDataTypeE0EEEvPKlPT_S8_PKS7_PKT0_illlliPT3_S6_iiiiPKf: ; @_ZN4vllm38concat_and_cache_mla_rope_fused_kernelIN3c108BFloat16ENS1_4HalfELb0EffLNS_18Fp8KVCacheDataTypeE0EEEvPKlPT_S8_PKS7_PKT0_illlliPT3_S6_iiiiPKf
; %bb.0:
	s_load_dwordx2 s[8:9], s[2:3], 0x60
	s_mov_b32 s5, 0
	s_lshl_b64 s[6:7], s[4:5], 3
	s_waitcnt lgkmcnt(0)
	s_add_u32 s8, s8, s6
	s_addc_u32 s9, s9, s7
	s_load_dwordx2 s[28:29], s[8:9], 0x0
	s_waitcnt lgkmcnt(0)
	v_cmp_lt_i64_e64 s[8:9], s[28:29], 0
	s_and_b64 vcc, exec, s[8:9]
	s_cbranch_vccnz .LBB15_13
; %bb.1:
	s_load_dword s5, s[2:3], 0x28
	s_load_dwordx2 s[8:9], s[2:3], 0x0
	s_load_dwordx2 s[24:25], s[2:3], 0x20
	s_load_dwordx4 s[16:19], s[2:3], 0x10
	v_and_b32_e32 v2, 0x3ff, v0
	s_waitcnt lgkmcnt(0)
	s_ashr_i32 s26, s5, 31
	s_add_u32 s6, s8, s6
	s_addc_u32 s7, s9, s7
	s_load_dwordx2 s[22:23], s[6:7], 0x0
	s_load_dwordx8 s[8:15], s[2:3], 0x30
	s_load_dwordx2 s[20:21], s[2:3], 0x58
	s_load_dword s30, s[2:3], 0x50
	v_lshlrev_b32_e32 v4, 1, v2
	s_waitcnt lgkmcnt(0)
	s_mul_i32 s6, s22, s26
	s_mul_hi_u32 s7, s22, s5
	s_add_i32 s6, s7, s6
	s_mul_i32 s7, s23, s5
	s_add_i32 s27, s6, s7
	s_lshr_b32 s6, s5, 31
	s_mul_i32 s26, s22, s5
	s_add_i32 s5, s5, s6
	s_ashr_i32 s22, s5, 1
	s_mul_i32 s5, s22, s30
	v_cmp_gt_i32_e32 vcc, s5, v2
	s_and_saveexec_b64 s[30:31], vcc
	s_cbranch_execz .LBB15_4
; %bb.2:
	s_lshl_b64 s[6:7], s[26:27], 1
	s_add_u32 s34, s24, s6
	s_addc_u32 s35, s25, s7
	s_load_dwordx2 s[6:7], s[2:3], 0x8
	s_load_dword s36, s[2:3], 0x8c
	s_mul_i32 s9, s4, s9
	s_mul_hi_u32 s33, s4, s8
	s_add_i32 s9, s33, s9
	s_mul_i32 s8, s4, s8
	s_ashr_i32 s23, s22, 31
	s_lshl_b64 s[8:9], s[8:9], 1
	s_waitcnt lgkmcnt(0)
	s_add_u32 s8, s6, s8
	s_addc_u32 s9, s7, s9
	s_abs_i32 s33, s22
	v_cvt_f32_u32_e32 v1, s33
	s_sub_i32 s6, 0, s33
	s_and_b32 s38, s36, 0xffff
	s_sub_i32 s39, 0, s22
	v_rcp_iflag_f32_e32 v1, v1
	s_lshl_b32 s41, s38, 1
	s_mov_b64 s[36:37], 0
	s_movk_i32 s42, 0x7fff
	v_mul_f32_e32 v1, 0x4f7ffffe, v1
	v_cvt_u32_f32_e32 v1, v1
	v_mov_b32_e32 v5, 0x7fc0
	s_mov_b32 s43, 0x5040100
	v_mov_b32_e32 v6, v4
	v_mul_lo_u32 v3, s6, v1
	v_mul_hi_u32 v3, v1, v3
	s_lshl_b32 s6, s22, 1
	v_add_u32_e32 v1, v1, v3
	s_sub_i32 s40, 0, s6
	v_mov_b32_e32 v3, 0x7fc00000
	v_mov_b32_e32 v8, v2
.LBB15_3:                               ; =>This Inner Loop Header: Depth=1
	v_sub_u32_e32 v9, 0, v8
	v_max_i32_e32 v9, v8, v9
	v_mul_hi_u32 v10, v9, v1
	v_mul_lo_u32 v11, v10, s33
	v_sub_u32_e32 v9, v9, v11
	v_add_u32_e32 v12, 1, v10
	v_cmp_le_u32_e32 vcc, s33, v9
	v_subrev_u32_e32 v11, s33, v9
	v_ashrrev_i32_e32 v7, 31, v8
	v_cndmask_b32_e32 v10, v10, v12, vcc
	v_cndmask_b32_e32 v9, v9, v11, vcc
	v_add_u32_e32 v11, 1, v10
	v_cmp_le_u32_e32 vcc, s33, v9
	v_xor_b32_e32 v7, s23, v7
	s_nop 0
	v_cndmask_b32_e32 v9, v10, v11, vcc
	v_xor_b32_e32 v9, v9, v7
	v_sub_u32_e32 v7, v9, v7
	v_mad_u64_u32 v[10:11], s[6:7], s39, v7, v[8:9]
	v_ashrrev_i32_e32 v9, 31, v7
	v_ashrrev_i32_e32 v11, 31, v10
	v_mul_lo_u32 v16, v7, s11
	v_mad_u64_u32 v[12:13], s[6:7], v7, s10, 0
	v_mad_u64_u32 v[14:15], s[6:7], s40, v7, v[6:7]
	v_mul_lo_u32 v7, v9, s10
	v_lshl_add_u64 v[10:11], v[10:11], 1, s[34:35]
	v_add3_u32 v13, v13, v16, v7
	v_lshl_add_u64 v[16:17], s[22:23], 1, v[10:11]
	global_load_ushort v7, v[10:11], off
	global_load_ushort v9, v[16:17], off
	v_ashrrev_i32_e32 v15, 31, v14
	v_lshl_add_u64 v[12:13], v[12:13], 1, s[8:9]
	v_lshl_add_u64 v[10:11], v[14:15], 1, v[12:13]
	global_load_dword v12, v[10:11], off
	v_add_u32_e32 v8, s38, v8
	v_cmp_le_i32_e32 vcc, s5, v8
	s_or_b64 s[36:37], vcc, s[36:37]
	v_add_u32_e32 v6, s41, v6
	s_waitcnt vmcnt(2)
	v_cvt_f32_f16_e32 v14, v7
	s_waitcnt vmcnt(1)
	v_cvt_f32_f16_e32 v15, v9
	v_cmp_o_f16_e32 vcc, v7, v7
	v_bfe_u32 v16, v14, 16, 1
	v_add3_u32 v14, v14, v16, s42
	v_bfe_u32 v16, v15, 16, 1
	v_and_b32_e32 v14, 0xffff0000, v14
	v_add3_u32 v15, v15, v16, s42
	s_waitcnt vmcnt(0)
	v_and_b32_e32 v13, 0xffff0000, v12
	v_lshlrev_b32_e32 v12, 16, v12
	v_and_b32_e32 v7, 0xffff0000, v15
	v_cndmask_b32_e32 v14, v3, v14, vcc
	v_cmp_o_f16_e32 vcc, v9, v9
	v_pk_mul_f32 v[14:15], v[14:15], v[12:13] op_sel_hi:[0,1]
	v_bfe_u32 v9, v15, 16, 1
	v_cndmask_b32_e32 v16, v3, v7, vcc
	v_bfe_u32 v7, v14, 16, 1
	v_pk_mul_f32 v[12:13], v[16:17], v[12:13] op_sel_hi:[0,1]
	v_add3_u32 v9, v15, v9, s42
	v_add3_u32 v7, v14, v7, s42
	v_bfe_u32 v16, v13, 16, 1
	v_bfe_u32 v17, v12, 16, 1
	v_and_b32_e32 v7, 0xffff0000, v7
	v_and_b32_e32 v9, 0xffff0000, v9
	v_add3_u32 v17, v12, v17, s42
	v_add3_u32 v16, v13, v16, s42
	v_cmp_o_f32_e32 vcc, v14, v14
	v_cmp_o_f32_e64 s[6:7], v15, v15
	v_and_b32_e32 v16, 0xffff0000, v16
	v_and_b32_e32 v17, 0xffff0000, v17
	v_cndmask_b32_e64 v15, v3, v9, s[6:7]
	v_cndmask_b32_e32 v14, v3, v7, vcc
	v_cmp_o_f32_e32 vcc, v13, v13
	v_cmp_o_f32_e64 s[6:7], v12, v12
	s_nop 0
	v_cndmask_b32_e32 v12, v3, v16, vcc
	v_cndmask_b32_e64 v13, v3, v17, s[6:7]
	v_pk_add_f32 v[16:17], v[14:15], v[12:13] neg_lo:[0,1] neg_hi:[0,1]
	v_pk_add_f32 v[12:13], v[14:15], v[12:13]
	v_bfe_u32 v7, v16, 16, 1
	v_bfe_u32 v9, v13, 16, 1
	v_add3_u32 v9, v13, v9, s42
	v_add3_u32 v7, v16, v7, s42
	v_lshrrev_b32_e32 v7, 16, v7
	v_lshrrev_b32_e32 v9, 16, v9
	v_cmp_o_f32_e32 vcc, v13, v13
	v_cmp_o_f32_e64 s[6:7], v16, v16
	s_nop 0
	v_cndmask_b32_e32 v9, v5, v9, vcc
	v_cndmask_b32_e64 v7, v5, v7, s[6:7]
	v_perm_b32 v7, v9, v7, s43
	global_store_dword v[10:11], v7, off
	s_andn2_b64 exec, exec, s[36:37]
	s_cbranch_execnz .LBB15_3
.LBB15_4:
	s_or_b64 exec, exec, s[30:31]
	s_load_dwordx4 s[8:11], s[2:3], 0x68
	s_waitcnt lgkmcnt(0)
	s_ashr_i32 s31, s11, 31
	s_mov_b32 s30, s11
	s_or_b64 s[6:7], s[28:29], s[30:31]
	s_mov_b32 s6, 0
	s_cmp_lg_u64 s[6:7], 0
	s_cbranch_scc0 .LBB15_14
; %bb.5:
	s_add_u32 s6, s30, s31
	s_mov_b32 s36, s31
	s_mov_b32 s37, s31
	s_addc_u32 s7, s31, s31
	s_xor_b64 s[38:39], s[6:7], s[36:37]
	v_cvt_f32_u32_e32 v1, s38
	v_cvt_f32_u32_e32 v3, s39
	s_sub_u32 s5, 0, s38
	s_subb_u32 s6, 0, s39
	v_fmamk_f32 v1, v3, 0x4f800000, v1
	v_rcp_f32_e32 v1, v1
	s_nop 0
	v_mul_f32_e32 v1, 0x5f7ffffc, v1
	v_mul_f32_e32 v3, 0x2f800000, v1
	v_trunc_f32_e32 v3, v3
	v_fmamk_f32 v1, v3, 0xcf800000, v1
	v_cvt_u32_f32_e32 v3, v3
	v_cvt_u32_f32_e32 v1, v1
	v_readfirstlane_b32 s7, v3
	v_readfirstlane_b32 s11, v1
	s_mul_i32 s23, s5, s7
	s_mul_hi_u32 s40, s5, s11
	s_mul_i32 s33, s6, s11
	s_add_i32 s23, s40, s23
	s_add_i32 s23, s23, s33
	s_mul_i32 s41, s5, s11
	s_mul_hi_u32 s33, s11, s23
	s_mul_i32 s40, s11, s23
	s_mul_hi_u32 s11, s11, s41
	s_add_u32 s11, s11, s40
	s_addc_u32 s33, 0, s33
	s_mul_hi_u32 s42, s7, s41
	s_mul_i32 s41, s7, s41
	s_add_u32 s11, s11, s41
	s_mul_hi_u32 s40, s7, s23
	s_addc_u32 s11, s33, s42
	s_addc_u32 s33, s40, 0
	s_mul_i32 s23, s7, s23
	s_add_u32 s11, s11, s23
	s_addc_u32 s23, 0, s33
	v_add_co_u32_e32 v1, vcc, s11, v1
	s_cmp_lg_u64 vcc, 0
	s_addc_u32 s7, s7, s23
	v_readfirstlane_b32 s23, v1
	s_mul_i32 s11, s5, s7
	s_mul_hi_u32 s33, s5, s23
	s_add_i32 s11, s33, s11
	s_mul_i32 s6, s6, s23
	s_add_i32 s11, s11, s6
	s_mul_i32 s5, s5, s23
	s_mul_hi_u32 s33, s7, s5
	s_mul_i32 s40, s7, s5
	s_mul_i32 s42, s23, s11
	s_mul_hi_u32 s5, s23, s5
	s_mul_hi_u32 s41, s23, s11
	s_add_u32 s5, s5, s42
	s_addc_u32 s23, 0, s41
	s_add_u32 s5, s5, s40
	s_mul_hi_u32 s6, s7, s11
	s_addc_u32 s5, s23, s33
	s_addc_u32 s6, s6, 0
	s_mul_i32 s11, s7, s11
	s_add_u32 s5, s5, s11
	s_addc_u32 s6, 0, s6
	v_add_co_u32_e32 v1, vcc, s5, v1
	s_cmp_lg_u64 vcc, 0
	s_addc_u32 s5, s7, s6
	s_ashr_i32 s40, s29, 31
	s_add_u32 s6, s28, s40
	s_mov_b32 s41, s40
	s_addc_u32 s7, s29, s40
	s_xor_b64 s[42:43], s[6:7], s[40:41]
	v_readfirstlane_b32 s11, v1
	s_mul_i32 s7, s42, s5
	s_mul_hi_u32 s23, s42, s11
	s_mul_hi_u32 s6, s42, s5
	s_add_u32 s7, s23, s7
	s_addc_u32 s6, 0, s6
	s_mul_hi_u32 s33, s43, s11
	s_mul_i32 s11, s43, s11
	s_add_u32 s7, s7, s11
	s_mul_hi_u32 s23, s43, s5
	s_addc_u32 s6, s6, s33
	s_addc_u32 s7, s23, 0
	s_mul_i32 s5, s43, s5
	s_add_u32 s5, s6, s5
	s_addc_u32 s11, 0, s7
	s_mul_i32 s6, s38, s11
	s_mul_hi_u32 s7, s38, s5
	s_add_i32 s6, s7, s6
	s_mul_i32 s7, s39, s5
	s_add_i32 s23, s6, s7
	s_mul_i32 s7, s38, s5
	v_mov_b32_e32 v1, s7
	s_sub_i32 s6, s43, s23
	v_sub_co_u32_e32 v1, vcc, s42, v1
	s_cmp_lg_u64 vcc, 0
	s_subb_u32 s33, s6, s39
	v_subrev_co_u32_e64 v3, s[6:7], s38, v1
	s_cmp_lg_u64 s[6:7], 0
	s_subb_u32 s6, s33, 0
	s_cmp_ge_u32 s6, s39
	v_readfirstlane_b32 s33, v3
	s_cselect_b32 s7, -1, 0
	s_cmp_ge_u32 s33, s38
	s_cselect_b32 s33, -1, 0
	s_cmp_eq_u32 s6, s39
	s_cselect_b32 s6, s33, s7
	s_add_u32 s7, s5, 1
	s_addc_u32 s33, s11, 0
	s_add_u32 s42, s5, 2
	s_addc_u32 s44, s11, 0
	s_cmp_lg_u32 s6, 0
	s_cselect_b32 s6, s42, s7
	s_cselect_b32 s7, s44, s33
	s_cmp_lg_u64 vcc, 0
	s_subb_u32 s23, s43, s23
	s_cmp_ge_u32 s23, s39
	v_readfirstlane_b32 s42, v1
	s_cselect_b32 s33, -1, 0
	s_cmp_ge_u32 s42, s38
	s_cselect_b32 s38, -1, 0
	s_cmp_eq_u32 s23, s39
	s_cselect_b32 s23, s38, s33
	s_cmp_lg_u32 s23, 0
	s_cselect_b32 s7, s7, s11
	s_cselect_b32 s6, s6, s5
	s_xor_b64 s[36:37], s[40:41], s[36:37]
	s_xor_b64 s[6:7], s[6:7], s[36:37]
	s_sub_u32 s6, s6, s36
	s_subb_u32 s7, s7, s37
	s_cbranch_execnz .LBB15_7
.LBB15_6:
	v_cvt_f32_u32_e32 v1, s30
	s_sub_i32 s5, 0, s30
	s_mov_b32 s7, 0
	v_rcp_iflag_f32_e32 v1, v1
	s_nop 0
	v_mul_f32_e32 v1, 0x4f7ffffe, v1
	v_cvt_u32_f32_e32 v1, v1
	s_nop 0
	v_readfirstlane_b32 s6, v1
	s_mul_i32 s5, s5, s6
	s_mul_hi_u32 s5, s6, s5
	s_add_i32 s6, s6, s5
	s_mul_hi_u32 s5, s28, s6
	s_mul_i32 s11, s5, s30
	s_sub_i32 s11, s28, s11
	s_add_i32 s6, s5, 1
	s_sub_i32 s23, s11, s30
	s_cmp_ge_u32 s11, s30
	s_cselect_b32 s5, s6, s5
	s_cselect_b32 s11, s23, s11
	s_add_i32 s6, s5, 1
	s_cmp_ge_u32 s11, s30
	s_cselect_b32 s6, s6, s5
.LBB15_7:
	s_mul_i32 s5, s6, s31
	s_mul_hi_u32 s11, s6, s30
	s_add_i32 s5, s11, s5
	s_mul_i32 s11, s7, s30
	s_add_i32 s5, s5, s11
	s_mul_i32 s11, s6, s30
	s_sub_u32 s33, s28, s11
	s_subb_u32 s5, s29, s5
	v_cmp_gt_i32_e32 vcc, s22, v2
	s_mul_hi_u32 s38, s6, s8
	s_mul_i32 s39, s7, s8
	s_mul_i32 s30, s6, s8
	s_mul_hi_u32 s7, s33, s9
	s_mul_i32 s5, s5, s9
	s_mul_i32 s28, s33, s9
	s_and_saveexec_b64 s[34:35], vcc
	s_cbranch_execz .LBB15_10
; %bb.8:
	s_load_dwordx2 s[0:1], s[0:1], 0x4
	v_bfe_u32 v1, v0, 10, 10
	s_load_dword s29, s[2:3], 0x8c
	s_ashr_i32 s23, s22, 31
	s_ashr_i32 s31, s8, 31
	s_waitcnt lgkmcnt(0)
	s_lshr_b32 s0, s0, 16
	s_mul_i32 s0, s0, s1
	v_mul_lo_u32 v3, s0, v2
	v_mad_u32_u24 v1, v1, s1, v3
	s_ashr_i32 s36, s9, 31
	s_ashr_i32 s11, s10, 31
	s_and_b32 s40, s29, 0xffff
	s_lshl_b64 s[0:1], s[26:27], 1
	s_add_u32 s0, s24, s0
	v_bfe_u32 v0, v0, 20, 10
	v_mov_b32_e32 v5, 0
	s_addc_u32 s1, s25, s1
	v_add_lshl_u32 v3, v1, v0, 1
	v_lshl_add_u64 v[0:1], s[0:1], 0, v[4:5]
	s_mul_i32 s0, s13, s4
	s_mul_hi_u32 s1, s12, s4
	s_add_i32 s1, s1, s0
	s_mul_i32 s0, s12, s4
	s_lshl_b32 s26, s40, 1
	s_lshl_b64 s[24:25], s[22:23], 1
	s_lshl_b64 s[0:1], s[0:1], 1
	s_add_u32 s0, s16, s0
	v_lshlrev_b32_e32 v4, 2, v2
	s_addc_u32 s1, s17, s1
	v_lshl_add_u64 v[6:7], s[0:1], 0, v[4:5]
	s_mul_i32 s0, s6, s31
	s_mul_i32 s16, s33, s36
	s_add_i32 s0, s38, s0
	s_add_i32 s16, s7, s16
	s_add_i32 s31, s0, s39
	s_add_i32 s29, s16, s5
	s_lshl_b32 s12, s40, 2
	s_lshl_b64 s[0:1], s[30:31], 2
	s_lshl_b64 s[16:17], s[28:29], 2
	s_add_u32 s16, s0, s16
	s_addc_u32 s17, s1, s17
	s_lshl_b64 s[0:1], s[10:11], 2
	s_add_u32 s0, s20, s0
	s_addc_u32 s1, s21, s1
	s_add_u32 s0, s0, s16
	s_mov_b32 s27, 0
	v_lshlrev_b32_e32 v4, 3, v2
	s_addc_u32 s1, s1, s17
	v_add_u32_e32 v8, 0x800, v3
	s_mov_b32 s13, s27
	v_lshl_add_u64 v[4:5], s[0:1], 0, v[4:5]
	s_lshl_b32 s16, s40, 3
	s_mov_b32 s17, s27
	s_mov_b64 s[36:37], 0
	s_movk_i32 s11, 0x7fff
	v_mov_b32_e32 v9, 0x7fc00000
	v_mov_b32_e32 v10, 0x7fc0
	s_mov_b32 s23, 0x5040100
	v_mov_b32_e32 v11, v2
.LBB15_9:                               ; =>This Inner Loop Header: Depth=1
	global_load_ushort v14, v[0:1], off
	v_lshl_add_u64 v[12:13], v[0:1], 0, s[24:25]
	global_load_ushort v15, v[12:13], off
	global_load_dword v16, v[6:7], off
	v_add_u32_e32 v11, s40, v11
	v_cmp_le_i32_e32 vcc, s22, v11
	s_or_b64 s[36:37], vcc, s[36:37]
	v_lshl_add_u64 v[0:1], v[0:1], 0, s[26:27]
	s_waitcnt vmcnt(2)
	v_cvt_f32_f16_e32 v17, v14
	v_cmp_o_f16_e32 vcc, v14, v14
	s_waitcnt vmcnt(0)
	v_and_b32_e32 v13, 0xffff0000, v16
	v_lshlrev_b32_e32 v12, 16, v16
	v_cvt_f32_f16_e32 v16, v15
	v_bfe_u32 v18, v17, 16, 1
	v_add3_u32 v17, v17, v18, s11
	v_and_b32_e32 v17, 0xffff0000, v17
	v_bfe_u32 v18, v16, 16, 1
	v_add3_u32 v16, v16, v18, s11
	v_cndmask_b32_e32 v14, v9, v17, vcc
	v_and_b32_e32 v16, 0xffff0000, v16
	v_cmp_o_f16_e32 vcc, v15, v15
	v_pk_mul_f32 v[14:15], v[14:15], v[12:13] op_sel_hi:[0,1]
	v_bfe_u32 v17, v14, 16, 1
	v_cndmask_b32_e32 v16, v9, v16, vcc
	v_bfe_u32 v18, v15, 16, 1
	v_pk_mul_f32 v[12:13], v[16:17], v[12:13] op_sel_hi:[0,1]
	v_add3_u32 v16, v15, v18, s11
	v_add3_u32 v17, v14, v17, s11
	v_bfe_u32 v18, v13, 16, 1
	v_bfe_u32 v19, v12, 16, 1
	v_and_b32_e32 v17, 0xffff0000, v17
	v_and_b32_e32 v16, 0xffff0000, v16
	v_add3_u32 v19, v12, v19, s11
	v_add3_u32 v18, v13, v18, s11
	v_cmp_o_f32_e32 vcc, v14, v14
	v_cmp_o_f32_e64 s[0:1], v15, v15
	v_and_b32_e32 v18, 0xffff0000, v18
	v_and_b32_e32 v19, 0xffff0000, v19
	v_cndmask_b32_e64 v15, v9, v16, s[0:1]
	v_cndmask_b32_e32 v14, v9, v17, vcc
	v_cmp_o_f32_e32 vcc, v13, v13
	v_cmp_o_f32_e64 s[0:1], v12, v12
	s_nop 0
	v_cndmask_b32_e32 v12, v9, v18, vcc
	v_cndmask_b32_e64 v13, v9, v19, s[0:1]
	v_pk_add_f32 v[16:17], v[14:15], v[12:13] neg_lo:[0,1] neg_hi:[0,1]
	v_pk_add_f32 v[12:13], v[14:15], v[12:13]
	v_cmp_o_f32_e64 s[0:1], v16, v16
	v_bfe_u32 v12, v16, 16, 1
	v_bfe_u32 v14, v13, 16, 1
	v_add3_u32 v12, v16, v12, s11
	v_add3_u32 v14, v13, v14, s11
	v_lshrrev_b32_e32 v12, 16, v12
	v_lshrrev_b32_e32 v14, 16, v14
	v_cmp_o_f32_e32 vcc, v13, v13
	v_cndmask_b32_e64 v15, v10, v12, s[0:1]
	s_nop 0
	v_cndmask_b32_e32 v14, v10, v14, vcc
	ds_write_b16 v8, v15
	ds_write_b16 v3, v14
	ds_read_b32 v12, v8
	ds_read_b32 v13, v3
	v_perm_b32 v14, v14, v15, s23
	global_store_dword v[6:7], v14, off
	v_lshl_add_u64 v[6:7], v[6:7], 0, s[12:13]
	s_waitcnt lgkmcnt(0)
	global_store_dwordx2 v[4:5], v[12:13], off
	v_lshl_add_u64 v[4:5], v[4:5], 0, s[16:17]
	s_andn2_b64 exec, exec, s[36:37]
	s_cbranch_execnz .LBB15_9
.LBB15_10:
	s_or_b64 exec, exec, s[34:35]
	v_cmp_gt_i32_e32 vcc, s10, v2
	s_and_saveexec_b64 s[0:1], vcc
	s_cbranch_execz .LBB15_13
; %bb.11:
	s_mul_i32 s0, s4, s15
	s_mul_hi_u32 s1, s4, s14
	s_add_i32 s1, s1, s0
	s_mul_i32 s0, s4, s14
	s_lshl_b64 s[0:1], s[0:1], 1
	s_add_u32 s0, s18, s0
	s_addc_u32 s1, s19, s1
	s_ashr_i32 s4, s8, 31
	s_mul_i32 s4, s6, s4
	s_add_i32 s4, s38, s4
	s_add_i32 s31, s4, s39
	s_lshl_b64 s[12:13], s[30:31], 2
	s_add_u32 s4, s20, s12
	s_addc_u32 s6, s21, s13
	s_ashr_i32 s8, s9, 31
	s_mul_i32 s33, s33, s8
	s_load_dword s8, s[2:3], 0x8c
	s_add_i32 s7, s7, s33
	s_add_i32 s29, s7, s5
	s_lshl_b64 s[2:3], s[28:29], 2
	s_add_u32 s2, s4, s2
	s_addc_u32 s3, s6, s3
	s_waitcnt lgkmcnt(0)
	s_and_b32 s6, s8, 0xffff
	s_mov_b64 s[4:5], 0
.LBB15_12:                              ; =>This Inner Loop Header: Depth=1
	v_ashrrev_i32_e32 v3, 31, v2
	v_lshl_add_u64 v[0:1], v[2:3], 1, s[0:1]
	global_load_dword v4, v[0:1], off
	v_lshl_add_u64 v[0:1], v[2:3], 2, s[2:3]
	v_add_u32_e32 v2, s6, v2
	v_cmp_le_i32_e32 vcc, s10, v2
	s_or_b64 s[4:5], vcc, s[4:5]
	s_waitcnt vmcnt(0)
	global_store_dword v[0:1], v4, off
	s_andn2_b64 exec, exec, s[4:5]
	s_cbranch_execnz .LBB15_12
.LBB15_13:
	s_endpgm
.LBB15_14:
                                        ; implicit-def: $sgpr6_sgpr7
	s_branch .LBB15_6
	.section	.rodata,"a",@progbits
	.p2align	6, 0x0
	.amdhsa_kernel _ZN4vllm38concat_and_cache_mla_rope_fused_kernelIN3c108BFloat16ENS1_4HalfELb0EffLNS_18Fp8KVCacheDataTypeE0EEEvPKlPT_S8_PKS7_PKT0_illlliPT3_S6_iiiiPKf
		.amdhsa_group_segment_fixed_size 4096
		.amdhsa_private_segment_fixed_size 0
		.amdhsa_kernarg_size 384
		.amdhsa_user_sgpr_count 4
		.amdhsa_user_sgpr_dispatch_ptr 1
		.amdhsa_user_sgpr_queue_ptr 0
		.amdhsa_user_sgpr_kernarg_segment_ptr 1
		.amdhsa_user_sgpr_dispatch_id 0
		.amdhsa_user_sgpr_kernarg_preload_length 0
		.amdhsa_user_sgpr_kernarg_preload_offset 0
		.amdhsa_user_sgpr_private_segment_size 0
		.amdhsa_uses_dynamic_stack 0
		.amdhsa_enable_private_segment 0
		.amdhsa_system_sgpr_workgroup_id_x 1
		.amdhsa_system_sgpr_workgroup_id_y 0
		.amdhsa_system_sgpr_workgroup_id_z 0
		.amdhsa_system_sgpr_workgroup_info 0
		.amdhsa_system_vgpr_workitem_id 2
		.amdhsa_next_free_vgpr 20
		.amdhsa_next_free_sgpr 45
		.amdhsa_accum_offset 20
		.amdhsa_reserve_vcc 1
		.amdhsa_float_round_mode_32 0
		.amdhsa_float_round_mode_16_64 0
		.amdhsa_float_denorm_mode_32 3
		.amdhsa_float_denorm_mode_16_64 3
		.amdhsa_dx10_clamp 1
		.amdhsa_ieee_mode 1
		.amdhsa_fp16_overflow 0
		.amdhsa_tg_split 0
		.amdhsa_exception_fp_ieee_invalid_op 0
		.amdhsa_exception_fp_denorm_src 0
		.amdhsa_exception_fp_ieee_div_zero 0
		.amdhsa_exception_fp_ieee_overflow 0
		.amdhsa_exception_fp_ieee_underflow 0
		.amdhsa_exception_fp_ieee_inexact 0
		.amdhsa_exception_int_div_zero 0
	.end_amdhsa_kernel
	.section	.text._ZN4vllm38concat_and_cache_mla_rope_fused_kernelIN3c108BFloat16ENS1_4HalfELb0EffLNS_18Fp8KVCacheDataTypeE0EEEvPKlPT_S8_PKS7_PKT0_illlliPT3_S6_iiiiPKf,"axG",@progbits,_ZN4vllm38concat_and_cache_mla_rope_fused_kernelIN3c108BFloat16ENS1_4HalfELb0EffLNS_18Fp8KVCacheDataTypeE0EEEvPKlPT_S8_PKS7_PKT0_illlliPT3_S6_iiiiPKf,comdat
.Lfunc_end15:
	.size	_ZN4vllm38concat_and_cache_mla_rope_fused_kernelIN3c108BFloat16ENS1_4HalfELb0EffLNS_18Fp8KVCacheDataTypeE0EEEvPKlPT_S8_PKS7_PKT0_illlliPT3_S6_iiiiPKf, .Lfunc_end15-_ZN4vllm38concat_and_cache_mla_rope_fused_kernelIN3c108BFloat16ENS1_4HalfELb0EffLNS_18Fp8KVCacheDataTypeE0EEEvPKlPT_S8_PKS7_PKT0_illlliPT3_S6_iiiiPKf
                                        ; -- End function
	.section	.AMDGPU.csdata,"",@progbits
; Kernel info:
; codeLenInByte = 2680
; NumSgprs: 51
; NumVgprs: 20
; NumAgprs: 0
; TotalNumVgprs: 20
; ScratchSize: 0
; MemoryBound: 0
; FloatMode: 240
; IeeeMode: 1
; LDSByteSize: 4096 bytes/workgroup (compile time only)
; SGPRBlocks: 6
; VGPRBlocks: 2
; NumSGPRsForWavesPerEU: 51
; NumVGPRsForWavesPerEU: 20
; AccumOffset: 20
; Occupancy: 8
; WaveLimiterHint : 1
; COMPUTE_PGM_RSRC2:SCRATCH_EN: 0
; COMPUTE_PGM_RSRC2:USER_SGPR: 4
; COMPUTE_PGM_RSRC2:TRAP_HANDLER: 0
; COMPUTE_PGM_RSRC2:TGID_X_EN: 1
; COMPUTE_PGM_RSRC2:TGID_Y_EN: 0
; COMPUTE_PGM_RSRC2:TGID_Z_EN: 0
; COMPUTE_PGM_RSRC2:TIDIG_COMP_CNT: 2
; COMPUTE_PGM_RSRC3_GFX90A:ACCUM_OFFSET: 4
; COMPUTE_PGM_RSRC3_GFX90A:TG_SPLIT: 0
	.section	.text._ZN4vllm38concat_and_cache_mla_rope_fused_kernelIN3c108BFloat16ES2_Lb1EffLNS_18Fp8KVCacheDataTypeE0EEEvPKlPT_S7_PKS6_PKT0_illlliPT3_S5_iiiiPKf,"axG",@progbits,_ZN4vllm38concat_and_cache_mla_rope_fused_kernelIN3c108BFloat16ES2_Lb1EffLNS_18Fp8KVCacheDataTypeE0EEEvPKlPT_S7_PKS6_PKT0_illlliPT3_S5_iiiiPKf,comdat
	.protected	_ZN4vllm38concat_and_cache_mla_rope_fused_kernelIN3c108BFloat16ES2_Lb1EffLNS_18Fp8KVCacheDataTypeE0EEEvPKlPT_S7_PKS6_PKT0_illlliPT3_S5_iiiiPKf ; -- Begin function _ZN4vllm38concat_and_cache_mla_rope_fused_kernelIN3c108BFloat16ES2_Lb1EffLNS_18Fp8KVCacheDataTypeE0EEEvPKlPT_S7_PKS6_PKT0_illlliPT3_S5_iiiiPKf
	.globl	_ZN4vllm38concat_and_cache_mla_rope_fused_kernelIN3c108BFloat16ES2_Lb1EffLNS_18Fp8KVCacheDataTypeE0EEEvPKlPT_S7_PKS6_PKT0_illlliPT3_S5_iiiiPKf
	.p2align	8
	.type	_ZN4vllm38concat_and_cache_mla_rope_fused_kernelIN3c108BFloat16ES2_Lb1EffLNS_18Fp8KVCacheDataTypeE0EEEvPKlPT_S7_PKS6_PKT0_illlliPT3_S5_iiiiPKf,@function
_ZN4vllm38concat_and_cache_mla_rope_fused_kernelIN3c108BFloat16ES2_Lb1EffLNS_18Fp8KVCacheDataTypeE0EEEvPKlPT_S7_PKS6_PKT0_illlliPT3_S5_iiiiPKf: ; @_ZN4vllm38concat_and_cache_mla_rope_fused_kernelIN3c108BFloat16ES2_Lb1EffLNS_18Fp8KVCacheDataTypeE0EEEvPKlPT_S7_PKS6_PKT0_illlliPT3_S5_iiiiPKf
; %bb.0:
	s_load_dwordx2 s[8:9], s[2:3], 0x60
	s_mov_b32 s5, 0
	s_lshl_b64 s[6:7], s[4:5], 3
	s_waitcnt lgkmcnt(0)
	s_add_u32 s8, s8, s6
	s_addc_u32 s9, s9, s7
	s_load_dwordx2 s[36:37], s[8:9], 0x0
	s_waitcnt lgkmcnt(0)
	v_cmp_lt_i64_e64 s[8:9], s[36:37], 0
	s_and_b64 vcc, exec, s[8:9]
	s_cbranch_vccnz .LBB16_13
; %bb.1:
	s_load_dword s5, s[2:3], 0x28
	s_load_dwordx2 s[8:9], s[2:3], 0x0
	s_load_dwordx2 s[30:31], s[2:3], 0x20
	s_load_dwordx4 s[20:23], s[2:3], 0x10
	v_and_b32_e32 v2, 0x3ff, v0
	s_waitcnt lgkmcnt(0)
	s_ashr_i32 s10, s5, 31
	s_add_u32 s6, s8, s6
	s_addc_u32 s7, s9, s7
	s_load_dwordx2 s[8:9], s[6:7], 0x0
	s_load_dwordx8 s[12:19], s[2:3], 0x30
	s_load_dwordx2 s[24:25], s[2:3], 0x58
	s_load_dword s11, s[2:3], 0x50
	s_waitcnt lgkmcnt(0)
	s_mul_i32 s6, s8, s10
	s_mul_hi_u32 s7, s8, s5
	s_add_i32 s6, s7, s6
	s_mul_i32 s7, s9, s5
	s_add_i32 s7, s6, s7
	s_mul_i32 s6, s8, s5
	s_lshl_b64 s[34:35], s[6:7], 1
	s_add_u32 s26, s30, s34
	s_addc_u32 s27, s31, s35
	s_lshr_b32 s6, s5, 31
	s_add_i32 s5, s5, s6
	s_ashr_i32 s28, s5, 1
	s_mul_i32 s5, s28, s11
	v_cmp_gt_i32_e32 vcc, s5, v2
	s_and_saveexec_b64 s[38:39], vcc
	s_cbranch_execz .LBB16_4
; %bb.2:
	s_load_dwordx2 s[6:7], s[2:3], 0x8
	s_load_dword s10, s[2:3], 0x8c
	s_mul_i32 s8, s4, s13
	s_mul_hi_u32 s9, s4, s12
	s_add_i32 s9, s9, s8
	s_mul_i32 s8, s4, s12
	s_ashr_i32 s29, s28, 31
	s_lshl_b64 s[8:9], s[8:9], 1
	s_waitcnt lgkmcnt(0)
	s_add_u32 s12, s6, s8
	s_addc_u32 s13, s7, s9
	s_abs_i32 s33, s28
	v_cvt_f32_u32_e32 v1, s33
	s_sub_i32 s6, 0, s33
	s_mov_b64 s[40:41], 0
	s_and_b32 s44, s10, 0xffff
	v_rcp_iflag_f32_e32 v1, v1
	s_sub_i32 s45, 0, s28
	s_lshl_b64 s[42:43], s[28:29], 1
	s_movk_i32 s46, 0x7fff
	v_mul_f32_e32 v1, 0x4f7ffffe, v1
	v_cvt_u32_f32_e32 v1, v1
	v_mov_b32_e32 v5, 0x7fc0
	v_mov_b32_e32 v4, v2
	v_mul_lo_u32 v3, s6, v1
	v_mul_hi_u32 v3, v1, v3
	v_add_u32_e32 v1, v1, v3
	v_mov_b32_e32 v3, 0x7fc00000
.LBB16_3:                               ; =>This Inner Loop Header: Depth=1
	v_sub_u32_e32 v7, 0, v4
	v_max_i32_e32 v7, v4, v7
	v_mul_hi_u32 v8, v7, v1
	v_mul_lo_u32 v9, v8, s33
	v_sub_u32_e32 v7, v7, v9
	v_add_u32_e32 v10, 1, v8
	v_cmp_le_u32_e32 vcc, s33, v7
	v_subrev_u32_e32 v9, s33, v7
	v_ashrrev_i32_e32 v6, 31, v4
	v_cndmask_b32_e32 v8, v8, v10, vcc
	v_cndmask_b32_e32 v7, v7, v9, vcc
	v_add_u32_e32 v9, 1, v8
	v_cmp_le_u32_e32 vcc, s33, v7
	v_xor_b32_e32 v6, s29, v6
	s_nop 0
	v_cndmask_b32_e32 v7, v8, v9, vcc
	v_xor_b32_e32 v7, v7, v6
	v_sub_u32_e32 v8, v7, v6
	v_mad_u64_u32 v[6:7], s[6:7], s45, v8, v[4:5]
	v_ashrrev_i32_e32 v10, 31, v8
	v_ashrrev_i32_e32 v7, 31, v6
	v_mul_lo_u32 v11, v8, s15
	v_mad_u64_u32 v[8:9], s[6:7], v8, s14, 0
	v_mul_lo_u32 v10, v10, s14
	v_lshlrev_b64 v[6:7], 1, v[6:7]
	v_add3_u32 v9, v9, v11, v10
	v_lshl_add_u64 v[10:11], s[26:27], 0, v[6:7]
	v_lshl_add_u64 v[8:9], v[8:9], 1, s[12:13]
	;; [unrolled: 1-line block ×4, first 2 shown]
	global_load_ushort v14, v[12:13], off
	global_load_ushort v15, v[10:11], off
	v_lshl_add_u64 v[8:9], v[6:7], 0, s[42:43]
	global_load_ushort v12, v[6:7], off
	global_load_ushort v13, v[8:9], off
	v_add_u32_e32 v4, s44, v4
	v_cmp_le_i32_e32 vcc, s5, v4
	s_or_b64 s[40:41], vcc, s[40:41]
	s_waitcnt vmcnt(3)
	v_lshlrev_b32_e32 v10, 16, v14
	s_waitcnt vmcnt(2)
	v_lshlrev_b32_e32 v11, 16, v15
	s_waitcnt vmcnt(1)
	v_lshlrev_b32_e32 v12, 16, v12
	s_waitcnt vmcnt(0)
	v_lshlrev_b32_e32 v13, 16, v13
	v_mov_b32_e32 v14, v11
	v_mov_b32_e32 v15, v10
	v_pk_mul_f32 v[14:15], v[14:15], v[12:13]
	v_pk_mul_f32 v[10:11], v[10:11], v[12:13]
	v_bfe_u32 v12, v14, 16, 1
	v_bfe_u32 v13, v15, 16, 1
	;; [unrolled: 1-line block ×4, first 2 shown]
	v_add3_u32 v13, v15, v13, s46
	v_add3_u32 v12, v14, v12, s46
	;; [unrolled: 1-line block ×4, first 2 shown]
	v_and_b32_e32 v12, 0xffff0000, v12
	v_and_b32_e32 v13, 0xffff0000, v13
	v_cmp_o_f32_e32 vcc, v14, v14
	v_cmp_o_f32_e64 s[10:11], v15, v15
	v_and_b32_e32 v14, 0xffff0000, v16
	v_and_b32_e32 v16, 0xffff0000, v17
	v_cmp_o_f32_e64 s[6:7], v11, v11
	v_cmp_o_f32_e64 s[8:9], v10, v10
	v_cndmask_b32_e64 v10, v3, v13, s[10:11]
	v_cndmask_b32_e32 v11, v3, v12, vcc
	v_cndmask_b32_e64 v12, v3, v16, s[6:7]
	v_cndmask_b32_e64 v13, v3, v14, s[8:9]
	v_sub_f32_e32 v10, v11, v10
	v_add_f32_e32 v11, v13, v12
	v_bfe_u32 v12, v10, 16, 1
	v_bfe_u32 v13, v11, 16, 1
	v_add3_u32 v12, v10, v12, s46
	v_add3_u32 v13, v11, v13, s46
	v_lshrrev_b32_e32 v12, 16, v12
	v_cmp_o_f32_e64 s[6:7], v10, v10
	v_lshrrev_b32_e32 v13, 16, v13
	v_cmp_o_f32_e32 vcc, v11, v11
	v_cndmask_b32_e64 v10, v5, v12, s[6:7]
	s_nop 0
	v_cndmask_b32_e32 v11, v5, v13, vcc
	global_store_short v[6:7], v10, off
	global_store_short v[8:9], v11, off
	s_andn2_b64 exec, exec, s[40:41]
	s_cbranch_execnz .LBB16_3
.LBB16_4:
	s_or_b64 exec, exec, s[38:39]
	s_load_dwordx4 s[8:11], s[2:3], 0x68
	s_waitcnt lgkmcnt(0)
	s_ashr_i32 s15, s11, 31
	s_mov_b32 s14, s11
	s_or_b64 s[6:7], s[36:37], s[14:15]
	s_mov_b32 s6, 0
	s_cmp_lg_u64 s[6:7], 0
	s_cbranch_scc0 .LBB16_14
; %bb.5:
	s_add_u32 s6, s14, s15
	s_mov_b32 s12, s15
	s_mov_b32 s13, s15
	s_addc_u32 s7, s15, s15
	s_xor_b64 s[40:41], s[6:7], s[12:13]
	v_cvt_f32_u32_e32 v1, s40
	v_cvt_f32_u32_e32 v3, s41
	s_sub_u32 s5, 0, s40
	s_subb_u32 s6, 0, s41
	v_fmamk_f32 v1, v3, 0x4f800000, v1
	v_rcp_f32_e32 v1, v1
	s_nop 0
	v_mul_f32_e32 v1, 0x5f7ffffc, v1
	v_mul_f32_e32 v3, 0x2f800000, v1
	v_trunc_f32_e32 v3, v3
	v_fmamk_f32 v1, v3, 0xcf800000, v1
	v_cvt_u32_f32_e32 v3, v3
	v_cvt_u32_f32_e32 v1, v1
	v_readfirstlane_b32 s7, v3
	v_readfirstlane_b32 s11, v1
	s_mul_i32 s29, s5, s7
	s_mul_hi_u32 s42, s5, s11
	s_mul_i32 s33, s6, s11
	s_add_i32 s29, s42, s29
	s_add_i32 s29, s29, s33
	s_mul_i32 s43, s5, s11
	s_mul_hi_u32 s33, s11, s29
	s_mul_i32 s42, s11, s29
	s_mul_hi_u32 s11, s11, s43
	s_add_u32 s11, s11, s42
	s_addc_u32 s33, 0, s33
	s_mul_hi_u32 s44, s7, s43
	s_mul_i32 s43, s7, s43
	s_add_u32 s11, s11, s43
	s_mul_hi_u32 s42, s7, s29
	s_addc_u32 s11, s33, s44
	s_addc_u32 s33, s42, 0
	s_mul_i32 s29, s7, s29
	s_add_u32 s11, s11, s29
	s_addc_u32 s29, 0, s33
	v_add_co_u32_e32 v1, vcc, s11, v1
	s_cmp_lg_u64 vcc, 0
	s_addc_u32 s7, s7, s29
	v_readfirstlane_b32 s29, v1
	s_mul_i32 s11, s5, s7
	s_mul_hi_u32 s33, s5, s29
	s_add_i32 s11, s33, s11
	s_mul_i32 s6, s6, s29
	s_add_i32 s11, s11, s6
	s_mul_i32 s5, s5, s29
	s_mul_hi_u32 s33, s7, s5
	s_mul_i32 s42, s7, s5
	s_mul_i32 s44, s29, s11
	s_mul_hi_u32 s5, s29, s5
	s_mul_hi_u32 s43, s29, s11
	s_add_u32 s5, s5, s44
	s_addc_u32 s29, 0, s43
	s_add_u32 s5, s5, s42
	s_mul_hi_u32 s6, s7, s11
	s_addc_u32 s5, s29, s33
	s_addc_u32 s6, s6, 0
	s_mul_i32 s11, s7, s11
	s_add_u32 s5, s5, s11
	s_addc_u32 s6, 0, s6
	v_add_co_u32_e32 v1, vcc, s5, v1
	s_cmp_lg_u64 vcc, 0
	s_addc_u32 s5, s7, s6
	s_ashr_i32 s42, s37, 31
	s_add_u32 s6, s36, s42
	s_mov_b32 s43, s42
	s_addc_u32 s7, s37, s42
	s_xor_b64 s[44:45], s[6:7], s[42:43]
	v_readfirstlane_b32 s11, v1
	s_mul_i32 s7, s44, s5
	s_mul_hi_u32 s29, s44, s11
	s_mul_hi_u32 s6, s44, s5
	s_add_u32 s7, s29, s7
	s_addc_u32 s6, 0, s6
	s_mul_hi_u32 s33, s45, s11
	s_mul_i32 s11, s45, s11
	s_add_u32 s7, s7, s11
	s_mul_hi_u32 s29, s45, s5
	s_addc_u32 s6, s6, s33
	s_addc_u32 s7, s29, 0
	s_mul_i32 s5, s45, s5
	s_add_u32 s5, s6, s5
	s_addc_u32 s11, 0, s7
	s_mul_i32 s6, s40, s11
	s_mul_hi_u32 s7, s40, s5
	s_add_i32 s6, s7, s6
	s_mul_i32 s7, s41, s5
	s_add_i32 s29, s6, s7
	s_mul_i32 s7, s40, s5
	v_mov_b32_e32 v1, s7
	s_sub_i32 s6, s45, s29
	v_sub_co_u32_e32 v1, vcc, s44, v1
	s_cmp_lg_u64 vcc, 0
	s_subb_u32 s33, s6, s41
	v_subrev_co_u32_e64 v3, s[6:7], s40, v1
	s_cmp_lg_u64 s[6:7], 0
	s_subb_u32 s6, s33, 0
	s_cmp_ge_u32 s6, s41
	v_readfirstlane_b32 s33, v3
	s_cselect_b32 s7, -1, 0
	s_cmp_ge_u32 s33, s40
	s_cselect_b32 s33, -1, 0
	s_cmp_eq_u32 s6, s41
	s_cselect_b32 s6, s33, s7
	s_add_u32 s7, s5, 1
	s_addc_u32 s33, s11, 0
	s_add_u32 s44, s5, 2
	s_addc_u32 s46, s11, 0
	s_cmp_lg_u32 s6, 0
	s_cselect_b32 s6, s44, s7
	s_cselect_b32 s7, s46, s33
	s_cmp_lg_u64 vcc, 0
	s_subb_u32 s29, s45, s29
	s_cmp_ge_u32 s29, s41
	v_readfirstlane_b32 s44, v1
	s_cselect_b32 s33, -1, 0
	s_cmp_ge_u32 s44, s40
	s_cselect_b32 s40, -1, 0
	s_cmp_eq_u32 s29, s41
	s_cselect_b32 s29, s40, s33
	s_cmp_lg_u32 s29, 0
	s_cselect_b32 s7, s7, s11
	s_cselect_b32 s6, s6, s5
	s_xor_b64 s[12:13], s[42:43], s[12:13]
	s_xor_b64 s[6:7], s[6:7], s[12:13]
	s_sub_u32 s12, s6, s12
	s_subb_u32 s13, s7, s13
	s_cbranch_execnz .LBB16_7
.LBB16_6:
	v_cvt_f32_u32_e32 v1, s14
	s_sub_i32 s5, 0, s14
	s_mov_b32 s13, 0
	v_rcp_iflag_f32_e32 v1, v1
	s_nop 0
	v_mul_f32_e32 v1, 0x4f7ffffe, v1
	v_cvt_u32_f32_e32 v1, v1
	s_nop 0
	v_readfirstlane_b32 s6, v1
	s_mul_i32 s5, s5, s6
	s_mul_hi_u32 s5, s6, s5
	s_add_i32 s6, s6, s5
	s_mul_hi_u32 s5, s36, s6
	s_mul_i32 s7, s5, s14
	s_sub_i32 s7, s36, s7
	s_add_i32 s6, s5, 1
	s_sub_i32 s11, s7, s14
	s_cmp_ge_u32 s7, s14
	s_cselect_b32 s5, s6, s5
	s_cselect_b32 s7, s11, s7
	s_add_i32 s6, s5, 1
	s_cmp_ge_u32 s7, s14
	s_cselect_b32 s12, s6, s5
.LBB16_7:
	s_mul_i32 s5, s12, s15
	s_mul_hi_u32 s6, s12, s14
	s_add_i32 s5, s6, s5
	s_mul_i32 s6, s13, s14
	s_add_i32 s5, s5, s6
	s_mul_i32 s6, s12, s14
	s_sub_u32 s33, s36, s6
	s_subb_u32 s5, s37, s5
	v_cmp_gt_i32_e32 vcc, s28, v2
	s_mul_hi_u32 s44, s12, s8
	s_mul_i32 s45, s13, s8
	s_mul_i32 s36, s12, s8
	s_mul_hi_u32 s13, s33, s9
	s_mul_i32 s5, s5, s9
	s_mul_i32 s14, s33, s9
	s_and_saveexec_b64 s[38:39], vcc
	s_cbranch_execz .LBB16_10
; %bb.8:
	s_load_dwordx2 s[0:1], s[0:1], 0x4
	v_bfe_u32 v1, v0, 10, 10
	s_mul_i32 s6, s4, s17
	s_ashr_i32 s29, s28, 31
	v_bfe_u32 v0, v0, 20, 10
	s_waitcnt lgkmcnt(0)
	s_lshr_b32 s0, s0, 16
	s_mul_i32 s0, s0, s1
	v_mul_lo_u32 v3, s0, v2
	s_mul_hi_u32 s0, s4, s16
	v_mad_u32_u24 v1, v1, s1, v3
	s_add_i32 s1, s0, s6
	s_load_dword s6, s[2:3], 0x8c
	s_mul_i32 s0, s4, s16
	s_lshl_b64 s[0:1], s[0:1], 1
	s_add_u32 s16, s20, s0
	s_addc_u32 s17, s21, s1
	s_waitcnt lgkmcnt(0)
	s_and_b32 s46, s6, 0xffff
	s_ashr_i32 s15, s8, 31
	s_ashr_i32 s40, s9, 31
	;; [unrolled: 1-line block ×3, first 2 shown]
	s_lshl_b32 s47, s46, 1
	s_lshl_b64 s[6:7], s[28:29], 1
	s_add_u32 s34, s34, s6
	s_addc_u32 s35, s35, s7
	s_add_u32 s30, s30, s34
	s_addc_u32 s31, s31, s35
	;; [unrolled: 2-line block ×3, first 2 shown]
	s_add_u32 s20, s20, s0
	s_mul_i32 s0, s12, s15
	s_mul_i32 s6, s33, s40
	s_addc_u32 s21, s21, s1
	s_add_i32 s0, s44, s0
	s_add_i32 s6, s13, s6
	;; [unrolled: 1-line block ×4, first 2 shown]
	s_lshl_b64 s[34:35], s[28:29], 2
	s_lshl_b64 s[0:1], s[36:37], 2
	;; [unrolled: 1-line block ×3, first 2 shown]
	s_add_u32 s6, s0, s6
	s_addc_u32 s7, s1, s7
	s_lshl_b64 s[0:1], s[10:11], 2
	s_add_u32 s0, s6, s0
	s_addc_u32 s1, s7, s1
	v_add_lshl_u32 v3, v1, v0, 1
	v_mov_b32_e32 v1, 0
	s_add_u32 s0, s24, s0
	v_lshlrev_b32_e32 v4, 2, v2
	v_mov_b32_e32 v5, v1
	s_addc_u32 s1, s25, s1
	v_add_u32_e32 v10, 0x800, v3
	v_lshlrev_b32_e32 v0, 1, v2
	s_mov_b32 s41, 0
	v_lshl_add_u64 v[4:5], s[0:1], 0, v[4:5]
	s_lshl_b32 s40, s46, 2
	s_mov_b64 s[42:43], 0
	s_movk_i32 s11, 0x7fff
	v_mov_b32_e32 v11, 0x7fc00000
	v_mov_b32_e32 v12, 0x7fc0
	v_mov_b32_e32 v13, v2
.LBB16_9:                               ; =>This Inner Loop Header: Depth=1
	v_lshl_add_u64 v[8:9], s[20:21], 0, v[0:1]
	v_lshl_add_u64 v[14:15], s[26:27], 0, v[0:1]
	;; [unrolled: 1-line block ×4, first 2 shown]
	global_load_ushort v18, v[8:9], off
	global_load_ushort v20, v[16:17], off
	;; [unrolled: 1-line block ×4, first 2 shown]
	s_add_u32 s26, s26, s47
	s_addc_u32 s27, s27, 0
	s_add_u32 s30, s30, s47
	s_addc_u32 s31, s31, 0
	;; [unrolled: 2-line block ×3, first 2 shown]
	v_add_u32_e32 v13, s46, v13
	s_add_u32 s16, s16, s47
	v_cmp_le_i32_e32 vcc, s28, v13
	s_addc_u32 s17, s17, 0
	s_or_b64 s[42:43], vcc, s[42:43]
	v_lshl_add_u64 v[14:15], v[4:5], 0, s[34:35]
	s_waitcnt vmcnt(3)
	v_lshlrev_b32_e32 v17, 16, v18
	s_waitcnt vmcnt(2)
	v_lshlrev_b32_e32 v18, 16, v20
	;; [unrolled: 2-line block ×4, first 2 shown]
	v_mov_b32_e32 v20, v19
	v_mov_b32_e32 v21, v18
	v_pk_mul_f32 v[18:19], v[18:19], v[16:17]
	v_pk_mul_f32 v[16:17], v[20:21], v[16:17]
	v_bfe_u32 v20, v18, 16, 1
	v_bfe_u32 v21, v19, 16, 1
	;; [unrolled: 1-line block ×4, first 2 shown]
	v_add3_u32 v21, v19, v21, s11
	v_add3_u32 v20, v18, v20, s11
	;; [unrolled: 1-line block ×4, first 2 shown]
	v_and_b32_e32 v20, 0xffff0000, v20
	v_and_b32_e32 v21, 0xffff0000, v21
	v_cmp_o_f32_e32 vcc, v18, v18
	v_cmp_o_f32_e64 s[0:1], v19, v19
	v_and_b32_e32 v18, 0xffff0000, v22
	v_and_b32_e32 v19, 0xffff0000, v23
	v_cmp_o_f32_e64 s[6:7], v16, v16
	v_cndmask_b32_e64 v16, v11, v21, s[0:1]
	v_cndmask_b32_e32 v20, v11, v20, vcc
	v_cmp_o_f32_e32 vcc, v17, v17
	v_cndmask_b32_e64 v18, v11, v18, s[6:7]
	v_add_f32_e32 v16, v20, v16
	v_cndmask_b32_e32 v17, v11, v19, vcc
	v_sub_f32_e32 v17, v18, v17
	v_bfe_u32 v18, v16, 16, 1
	v_bfe_u32 v19, v17, 16, 1
	v_add3_u32 v18, v16, v18, s11
	v_add3_u32 v19, v17, v19, s11
	v_lshrrev_b32_e32 v18, 16, v18
	v_cmp_o_f32_e32 vcc, v16, v16
	v_lshrrev_b32_e32 v16, 16, v19
	s_nop 0
	v_cndmask_b32_e32 v18, v12, v18, vcc
	v_cmp_o_f32_e32 vcc, v17, v17
	s_nop 1
	v_cndmask_b32_e32 v16, v12, v16, vcc
	ds_write_b16 v3, v18
	ds_write_b16 v10, v16
	ds_read_b32 v17, v3
	ds_read_b32 v19, v10
	global_store_short v[6:7], v16, off
	global_store_short v[8:9], v18, off
	s_waitcnt lgkmcnt(0)
	global_store_dword v[4:5], v19, off
	global_store_dword v[14:15], v17, off
	v_lshl_add_u64 v[4:5], v[4:5], 0, s[40:41]
	s_andn2_b64 exec, exec, s[42:43]
	s_cbranch_execnz .LBB16_9
.LBB16_10:
	s_or_b64 exec, exec, s[38:39]
	v_cmp_gt_i32_e32 vcc, s10, v2
	s_and_saveexec_b64 s[0:1], vcc
	s_cbranch_execz .LBB16_13
; %bb.11:
	s_mul_i32 s0, s4, s19
	s_mul_hi_u32 s1, s4, s18
	s_add_i32 s1, s1, s0
	s_mul_i32 s0, s4, s18
	s_lshl_b64 s[0:1], s[0:1], 1
	s_add_u32 s0, s22, s0
	s_addc_u32 s1, s23, s1
	s_ashr_i32 s4, s8, 31
	s_mul_i32 s4, s12, s4
	s_add_i32 s4, s44, s4
	s_add_i32 s37, s4, s45
	s_lshl_b64 s[6:7], s[36:37], 2
	s_add_u32 s4, s24, s6
	s_addc_u32 s6, s25, s7
	s_ashr_i32 s7, s9, 31
	s_mul_i32 s33, s33, s7
	s_load_dword s8, s[2:3], 0x8c
	s_add_i32 s7, s13, s33
	s_add_i32 s15, s7, s5
	s_lshl_b64 s[2:3], s[14:15], 2
	s_add_u32 s2, s4, s2
	s_addc_u32 s3, s6, s3
	s_waitcnt lgkmcnt(0)
	s_and_b32 s6, s8, 0xffff
	s_mov_b64 s[4:5], 0
.LBB16_12:                              ; =>This Inner Loop Header: Depth=1
	v_ashrrev_i32_e32 v3, 31, v2
	v_lshl_add_u64 v[0:1], v[2:3], 1, s[0:1]
	global_load_dword v4, v[0:1], off
	v_lshl_add_u64 v[0:1], v[2:3], 2, s[2:3]
	v_add_u32_e32 v2, s6, v2
	v_cmp_le_i32_e32 vcc, s10, v2
	s_or_b64 s[4:5], vcc, s[4:5]
	s_waitcnt vmcnt(0)
	global_store_dword v[0:1], v4, off
	s_andn2_b64 exec, exec, s[4:5]
	s_cbranch_execnz .LBB16_12
.LBB16_13:
	s_endpgm
.LBB16_14:
                                        ; implicit-def: $sgpr12_sgpr13
	s_branch .LBB16_6
	.section	.rodata,"a",@progbits
	.p2align	6, 0x0
	.amdhsa_kernel _ZN4vllm38concat_and_cache_mla_rope_fused_kernelIN3c108BFloat16ES2_Lb1EffLNS_18Fp8KVCacheDataTypeE0EEEvPKlPT_S7_PKS6_PKT0_illlliPT3_S5_iiiiPKf
		.amdhsa_group_segment_fixed_size 4096
		.amdhsa_private_segment_fixed_size 0
		.amdhsa_kernarg_size 384
		.amdhsa_user_sgpr_count 4
		.amdhsa_user_sgpr_dispatch_ptr 1
		.amdhsa_user_sgpr_queue_ptr 0
		.amdhsa_user_sgpr_kernarg_segment_ptr 1
		.amdhsa_user_sgpr_dispatch_id 0
		.amdhsa_user_sgpr_kernarg_preload_length 0
		.amdhsa_user_sgpr_kernarg_preload_offset 0
		.amdhsa_user_sgpr_private_segment_size 0
		.amdhsa_uses_dynamic_stack 0
		.amdhsa_enable_private_segment 0
		.amdhsa_system_sgpr_workgroup_id_x 1
		.amdhsa_system_sgpr_workgroup_id_y 0
		.amdhsa_system_sgpr_workgroup_id_z 0
		.amdhsa_system_sgpr_workgroup_info 0
		.amdhsa_system_vgpr_workitem_id 2
		.amdhsa_next_free_vgpr 24
		.amdhsa_next_free_sgpr 48
		.amdhsa_accum_offset 24
		.amdhsa_reserve_vcc 1
		.amdhsa_float_round_mode_32 0
		.amdhsa_float_round_mode_16_64 0
		.amdhsa_float_denorm_mode_32 3
		.amdhsa_float_denorm_mode_16_64 3
		.amdhsa_dx10_clamp 1
		.amdhsa_ieee_mode 1
		.amdhsa_fp16_overflow 0
		.amdhsa_tg_split 0
		.amdhsa_exception_fp_ieee_invalid_op 0
		.amdhsa_exception_fp_denorm_src 0
		.amdhsa_exception_fp_ieee_div_zero 0
		.amdhsa_exception_fp_ieee_overflow 0
		.amdhsa_exception_fp_ieee_underflow 0
		.amdhsa_exception_fp_ieee_inexact 0
		.amdhsa_exception_int_div_zero 0
	.end_amdhsa_kernel
	.section	.text._ZN4vllm38concat_and_cache_mla_rope_fused_kernelIN3c108BFloat16ES2_Lb1EffLNS_18Fp8KVCacheDataTypeE0EEEvPKlPT_S7_PKS6_PKT0_illlliPT3_S5_iiiiPKf,"axG",@progbits,_ZN4vllm38concat_and_cache_mla_rope_fused_kernelIN3c108BFloat16ES2_Lb1EffLNS_18Fp8KVCacheDataTypeE0EEEvPKlPT_S7_PKS6_PKT0_illlliPT3_S5_iiiiPKf,comdat
.Lfunc_end16:
	.size	_ZN4vllm38concat_and_cache_mla_rope_fused_kernelIN3c108BFloat16ES2_Lb1EffLNS_18Fp8KVCacheDataTypeE0EEEvPKlPT_S7_PKS6_PKT0_illlliPT3_S5_iiiiPKf, .Lfunc_end16-_ZN4vllm38concat_and_cache_mla_rope_fused_kernelIN3c108BFloat16ES2_Lb1EffLNS_18Fp8KVCacheDataTypeE0EEEvPKlPT_S7_PKS6_PKT0_illlliPT3_S5_iiiiPKf
                                        ; -- End function
	.section	.AMDGPU.csdata,"",@progbits
; Kernel info:
; codeLenInByte = 2596
; NumSgprs: 54
; NumVgprs: 24
; NumAgprs: 0
; TotalNumVgprs: 24
; ScratchSize: 0
; MemoryBound: 0
; FloatMode: 240
; IeeeMode: 1
; LDSByteSize: 4096 bytes/workgroup (compile time only)
; SGPRBlocks: 6
; VGPRBlocks: 2
; NumSGPRsForWavesPerEU: 54
; NumVGPRsForWavesPerEU: 24
; AccumOffset: 24
; Occupancy: 8
; WaveLimiterHint : 1
; COMPUTE_PGM_RSRC2:SCRATCH_EN: 0
; COMPUTE_PGM_RSRC2:USER_SGPR: 4
; COMPUTE_PGM_RSRC2:TRAP_HANDLER: 0
; COMPUTE_PGM_RSRC2:TGID_X_EN: 1
; COMPUTE_PGM_RSRC2:TGID_Y_EN: 0
; COMPUTE_PGM_RSRC2:TGID_Z_EN: 0
; COMPUTE_PGM_RSRC2:TIDIG_COMP_CNT: 2
; COMPUTE_PGM_RSRC3_GFX90A:ACCUM_OFFSET: 5
; COMPUTE_PGM_RSRC3_GFX90A:TG_SPLIT: 0
	.section	.text._ZN4vllm38concat_and_cache_mla_rope_fused_kernelIN3c108BFloat16ES2_Lb0EffLNS_18Fp8KVCacheDataTypeE0EEEvPKlPT_S7_PKS6_PKT0_illlliPT3_S5_iiiiPKf,"axG",@progbits,_ZN4vllm38concat_and_cache_mla_rope_fused_kernelIN3c108BFloat16ES2_Lb0EffLNS_18Fp8KVCacheDataTypeE0EEEvPKlPT_S7_PKS6_PKT0_illlliPT3_S5_iiiiPKf,comdat
	.protected	_ZN4vllm38concat_and_cache_mla_rope_fused_kernelIN3c108BFloat16ES2_Lb0EffLNS_18Fp8KVCacheDataTypeE0EEEvPKlPT_S7_PKS6_PKT0_illlliPT3_S5_iiiiPKf ; -- Begin function _ZN4vllm38concat_and_cache_mla_rope_fused_kernelIN3c108BFloat16ES2_Lb0EffLNS_18Fp8KVCacheDataTypeE0EEEvPKlPT_S7_PKS6_PKT0_illlliPT3_S5_iiiiPKf
	.globl	_ZN4vllm38concat_and_cache_mla_rope_fused_kernelIN3c108BFloat16ES2_Lb0EffLNS_18Fp8KVCacheDataTypeE0EEEvPKlPT_S7_PKS6_PKT0_illlliPT3_S5_iiiiPKf
	.p2align	8
	.type	_ZN4vllm38concat_and_cache_mla_rope_fused_kernelIN3c108BFloat16ES2_Lb0EffLNS_18Fp8KVCacheDataTypeE0EEEvPKlPT_S7_PKS6_PKT0_illlliPT3_S5_iiiiPKf,@function
_ZN4vllm38concat_and_cache_mla_rope_fused_kernelIN3c108BFloat16ES2_Lb0EffLNS_18Fp8KVCacheDataTypeE0EEEvPKlPT_S7_PKS6_PKT0_illlliPT3_S5_iiiiPKf: ; @_ZN4vllm38concat_and_cache_mla_rope_fused_kernelIN3c108BFloat16ES2_Lb0EffLNS_18Fp8KVCacheDataTypeE0EEEvPKlPT_S7_PKS6_PKT0_illlliPT3_S5_iiiiPKf
; %bb.0:
	s_load_dwordx2 s[8:9], s[2:3], 0x60
	s_mov_b32 s5, 0
	s_lshl_b64 s[6:7], s[4:5], 3
	s_waitcnt lgkmcnt(0)
	s_add_u32 s8, s8, s6
	s_addc_u32 s9, s9, s7
	s_load_dwordx2 s[28:29], s[8:9], 0x0
	s_waitcnt lgkmcnt(0)
	v_cmp_lt_i64_e64 s[8:9], s[28:29], 0
	s_and_b64 vcc, exec, s[8:9]
	s_cbranch_vccnz .LBB17_13
; %bb.1:
	s_load_dword s5, s[2:3], 0x28
	s_load_dwordx2 s[8:9], s[2:3], 0x0
	s_load_dwordx2 s[24:25], s[2:3], 0x20
	s_load_dwordx4 s[16:19], s[2:3], 0x10
	v_and_b32_e32 v2, 0x3ff, v0
	s_waitcnt lgkmcnt(0)
	s_ashr_i32 s26, s5, 31
	s_add_u32 s6, s8, s6
	s_addc_u32 s7, s9, s7
	s_load_dwordx2 s[22:23], s[6:7], 0x0
	s_load_dwordx8 s[8:15], s[2:3], 0x30
	s_load_dwordx2 s[20:21], s[2:3], 0x58
	s_load_dword s30, s[2:3], 0x50
	v_lshlrev_b32_e32 v4, 1, v2
	s_waitcnt lgkmcnt(0)
	s_mul_i32 s6, s22, s26
	s_mul_hi_u32 s7, s22, s5
	s_add_i32 s6, s7, s6
	s_mul_i32 s7, s23, s5
	s_add_i32 s27, s6, s7
	s_lshr_b32 s6, s5, 31
	s_mul_i32 s26, s22, s5
	s_add_i32 s5, s5, s6
	s_ashr_i32 s22, s5, 1
	s_mul_i32 s5, s22, s30
	v_cmp_gt_i32_e32 vcc, s5, v2
	s_and_saveexec_b64 s[30:31], vcc
	s_cbranch_execz .LBB17_4
; %bb.2:
	s_lshl_b64 s[6:7], s[26:27], 1
	s_add_u32 s34, s24, s6
	s_addc_u32 s35, s25, s7
	s_load_dwordx2 s[6:7], s[2:3], 0x8
	s_load_dword s36, s[2:3], 0x8c
	s_mul_i32 s9, s4, s9
	s_mul_hi_u32 s33, s4, s8
	s_add_i32 s9, s33, s9
	s_mul_i32 s8, s4, s8
	s_ashr_i32 s23, s22, 31
	s_lshl_b64 s[8:9], s[8:9], 1
	s_waitcnt lgkmcnt(0)
	s_add_u32 s8, s6, s8
	s_addc_u32 s9, s7, s9
	s_abs_i32 s33, s22
	v_cvt_f32_u32_e32 v1, s33
	s_sub_i32 s6, 0, s33
	s_and_b32 s38, s36, 0xffff
	s_sub_i32 s39, 0, s22
	v_rcp_iflag_f32_e32 v1, v1
	s_lshl_b32 s41, s38, 1
	s_mov_b64 s[36:37], 0
	s_movk_i32 s42, 0x7fff
	v_mul_f32_e32 v1, 0x4f7ffffe, v1
	v_cvt_u32_f32_e32 v1, v1
	v_mov_b32_e32 v5, 0x7fc0
	s_mov_b32 s43, 0x5040100
	v_mov_b32_e32 v6, v4
	v_mul_lo_u32 v3, s6, v1
	v_mul_hi_u32 v3, v1, v3
	s_lshl_b32 s6, s22, 1
	v_add_u32_e32 v1, v1, v3
	s_sub_i32 s40, 0, s6
	v_mov_b32_e32 v3, 0x7fc00000
	v_mov_b32_e32 v8, v2
.LBB17_3:                               ; =>This Inner Loop Header: Depth=1
	v_sub_u32_e32 v9, 0, v8
	v_max_i32_e32 v9, v8, v9
	v_mul_hi_u32 v10, v9, v1
	v_mul_lo_u32 v11, v10, s33
	v_sub_u32_e32 v9, v9, v11
	v_add_u32_e32 v12, 1, v10
	v_cmp_le_u32_e32 vcc, s33, v9
	v_subrev_u32_e32 v11, s33, v9
	v_ashrrev_i32_e32 v7, 31, v8
	v_cndmask_b32_e32 v10, v10, v12, vcc
	v_cndmask_b32_e32 v9, v9, v11, vcc
	v_add_u32_e32 v11, 1, v10
	v_cmp_le_u32_e32 vcc, s33, v9
	v_xor_b32_e32 v7, s23, v7
	s_nop 0
	v_cndmask_b32_e32 v9, v10, v11, vcc
	v_xor_b32_e32 v9, v9, v7
	v_sub_u32_e32 v7, v9, v7
	v_mad_u64_u32 v[10:11], s[6:7], s39, v7, v[8:9]
	v_ashrrev_i32_e32 v9, 31, v7
	v_mul_lo_u32 v16, v7, s11
	v_mad_u64_u32 v[12:13], s[6:7], v7, s10, 0
	v_mad_u64_u32 v[14:15], s[6:7], s40, v7, v[6:7]
	v_mul_lo_u32 v7, v9, s10
	v_ashrrev_i32_e32 v11, 31, v10
	v_add3_u32 v13, v13, v16, v7
	v_ashrrev_i32_e32 v15, 31, v14
	v_lshl_add_u64 v[10:11], v[10:11], 1, s[34:35]
	v_lshl_add_u64 v[12:13], v[12:13], 1, s[8:9]
	;; [unrolled: 1-line block ×3, first 2 shown]
	global_load_ushort v7, v[10:11], off
	global_load_ushort v9, v[16:17], off
	v_lshl_add_u64 v[10:11], v[14:15], 1, v[12:13]
	global_load_dword v12, v[10:11], off
	v_add_u32_e32 v8, s38, v8
	v_cmp_le_i32_e32 vcc, s5, v8
	s_or_b64 s[36:37], vcc, s[36:37]
	v_add_u32_e32 v6, s41, v6
	s_waitcnt vmcnt(2)
	v_lshlrev_b32_e32 v13, 16, v7
	s_waitcnt vmcnt(1)
	v_lshlrev_b32_e32 v15, 16, v9
	v_mov_b32_e32 v16, v13
	s_waitcnt vmcnt(0)
	v_and_b32_e32 v18, 0xffff0000, v12
	v_lshlrev_b32_e32 v14, 16, v12
	v_mov_b32_e32 v12, v15
	v_pk_mul_f32 v[12:13], v[12:13], v[18:19] op_sel_hi:[1,0]
	v_mov_b32_e32 v17, v14
	v_bfe_u32 v7, v12, 16, 1
	v_bfe_u32 v9, v13, 16, 1
	v_pk_mul_f32 v[14:15], v[16:17], v[14:15]
	v_add3_u32 v9, v13, v9, s42
	v_add3_u32 v7, v12, v7, s42
	v_bfe_u32 v16, v14, 16, 1
	v_bfe_u32 v17, v15, 16, 1
	v_and_b32_e32 v7, 0xffff0000, v7
	v_and_b32_e32 v9, 0xffff0000, v9
	v_add3_u32 v17, v15, v17, s42
	v_add3_u32 v16, v14, v16, s42
	v_cmp_o_f32_e32 vcc, v12, v12
	v_cmp_o_f32_e64 s[6:7], v13, v13
	v_and_b32_e32 v16, 0xffff0000, v16
	v_and_b32_e32 v17, 0xffff0000, v17
	v_cndmask_b32_e64 v13, v3, v9, s[6:7]
	v_cndmask_b32_e32 v12, v3, v7, vcc
	v_cmp_o_f32_e32 vcc, v14, v14
	v_cmp_o_f32_e64 s[6:7], v15, v15
	s_nop 0
	v_cndmask_b32_e32 v14, v3, v16, vcc
	v_cndmask_b32_e64 v15, v3, v17, s[6:7]
	v_pk_add_f32 v[16:17], v[14:15], v[12:13] neg_lo:[0,1] neg_hi:[0,1]
	v_pk_add_f32 v[12:13], v[14:15], v[12:13]
	v_bfe_u32 v7, v16, 16, 1
	v_bfe_u32 v9, v13, 16, 1
	v_add3_u32 v9, v13, v9, s42
	v_add3_u32 v7, v16, v7, s42
	v_lshrrev_b32_e32 v7, 16, v7
	v_lshrrev_b32_e32 v9, 16, v9
	v_cmp_o_f32_e32 vcc, v13, v13
	v_cmp_o_f32_e64 s[6:7], v16, v16
	s_nop 0
	v_cndmask_b32_e32 v9, v5, v9, vcc
	v_cndmask_b32_e64 v7, v5, v7, s[6:7]
	v_perm_b32 v7, v9, v7, s43
	global_store_dword v[10:11], v7, off
	s_andn2_b64 exec, exec, s[36:37]
	s_cbranch_execnz .LBB17_3
.LBB17_4:
	s_or_b64 exec, exec, s[30:31]
	s_load_dwordx4 s[8:11], s[2:3], 0x68
	s_waitcnt lgkmcnt(0)
	s_ashr_i32 s35, s11, 31
	s_mov_b32 s34, s11
	s_or_b64 s[6:7], s[28:29], s[34:35]
	s_mov_b32 s6, 0
	s_cmp_lg_u64 s[6:7], 0
	s_cbranch_scc0 .LBB17_14
; %bb.5:
	s_add_u32 s6, s34, s35
	s_mov_b32 s30, s35
	s_mov_b32 s31, s35
	s_addc_u32 s7, s35, s35
	s_xor_b64 s[38:39], s[6:7], s[30:31]
	v_cvt_f32_u32_e32 v1, s38
	v_cvt_f32_u32_e32 v3, s39
	s_sub_u32 s5, 0, s38
	s_subb_u32 s6, 0, s39
	v_fmamk_f32 v1, v3, 0x4f800000, v1
	v_rcp_f32_e32 v1, v1
	s_nop 0
	v_mul_f32_e32 v1, 0x5f7ffffc, v1
	v_mul_f32_e32 v3, 0x2f800000, v1
	v_trunc_f32_e32 v3, v3
	v_fmamk_f32 v1, v3, 0xcf800000, v1
	v_cvt_u32_f32_e32 v3, v3
	v_cvt_u32_f32_e32 v1, v1
	v_readfirstlane_b32 s7, v3
	v_readfirstlane_b32 s11, v1
	s_mul_i32 s23, s5, s7
	s_mul_hi_u32 s40, s5, s11
	s_mul_i32 s33, s6, s11
	s_add_i32 s23, s40, s23
	s_add_i32 s23, s23, s33
	s_mul_i32 s41, s5, s11
	s_mul_hi_u32 s33, s11, s23
	s_mul_i32 s40, s11, s23
	s_mul_hi_u32 s11, s11, s41
	s_add_u32 s11, s11, s40
	s_addc_u32 s33, 0, s33
	s_mul_hi_u32 s42, s7, s41
	s_mul_i32 s41, s7, s41
	s_add_u32 s11, s11, s41
	s_mul_hi_u32 s40, s7, s23
	s_addc_u32 s11, s33, s42
	s_addc_u32 s33, s40, 0
	s_mul_i32 s23, s7, s23
	s_add_u32 s11, s11, s23
	s_addc_u32 s23, 0, s33
	v_add_co_u32_e32 v1, vcc, s11, v1
	s_cmp_lg_u64 vcc, 0
	s_addc_u32 s7, s7, s23
	v_readfirstlane_b32 s23, v1
	s_mul_i32 s11, s5, s7
	s_mul_hi_u32 s33, s5, s23
	s_add_i32 s11, s33, s11
	s_mul_i32 s6, s6, s23
	s_add_i32 s11, s11, s6
	s_mul_i32 s5, s5, s23
	s_mul_hi_u32 s33, s7, s5
	s_mul_i32 s40, s7, s5
	s_mul_i32 s42, s23, s11
	s_mul_hi_u32 s5, s23, s5
	s_mul_hi_u32 s41, s23, s11
	s_add_u32 s5, s5, s42
	s_addc_u32 s23, 0, s41
	s_add_u32 s5, s5, s40
	s_mul_hi_u32 s6, s7, s11
	s_addc_u32 s5, s23, s33
	s_addc_u32 s6, s6, 0
	s_mul_i32 s11, s7, s11
	s_add_u32 s5, s5, s11
	s_addc_u32 s6, 0, s6
	v_add_co_u32_e32 v1, vcc, s5, v1
	s_cmp_lg_u64 vcc, 0
	s_addc_u32 s5, s7, s6
	s_ashr_i32 s40, s29, 31
	s_add_u32 s6, s28, s40
	s_mov_b32 s41, s40
	s_addc_u32 s7, s29, s40
	s_xor_b64 s[42:43], s[6:7], s[40:41]
	v_readfirstlane_b32 s11, v1
	s_mul_i32 s7, s42, s5
	s_mul_hi_u32 s23, s42, s11
	s_mul_hi_u32 s6, s42, s5
	s_add_u32 s7, s23, s7
	s_addc_u32 s6, 0, s6
	s_mul_hi_u32 s33, s43, s11
	s_mul_i32 s11, s43, s11
	s_add_u32 s7, s7, s11
	s_mul_hi_u32 s23, s43, s5
	s_addc_u32 s6, s6, s33
	s_addc_u32 s7, s23, 0
	s_mul_i32 s5, s43, s5
	s_add_u32 s5, s6, s5
	s_addc_u32 s11, 0, s7
	s_mul_i32 s6, s38, s11
	s_mul_hi_u32 s7, s38, s5
	s_add_i32 s6, s7, s6
	s_mul_i32 s7, s39, s5
	s_add_i32 s23, s6, s7
	s_mul_i32 s7, s38, s5
	v_mov_b32_e32 v1, s7
	s_sub_i32 s6, s43, s23
	v_sub_co_u32_e32 v1, vcc, s42, v1
	s_cmp_lg_u64 vcc, 0
	s_subb_u32 s33, s6, s39
	v_subrev_co_u32_e64 v3, s[6:7], s38, v1
	s_cmp_lg_u64 s[6:7], 0
	s_subb_u32 s6, s33, 0
	s_cmp_ge_u32 s6, s39
	v_readfirstlane_b32 s33, v3
	s_cselect_b32 s7, -1, 0
	s_cmp_ge_u32 s33, s38
	s_cselect_b32 s33, -1, 0
	s_cmp_eq_u32 s6, s39
	s_cselect_b32 s6, s33, s7
	s_add_u32 s7, s5, 1
	s_addc_u32 s33, s11, 0
	s_add_u32 s42, s5, 2
	s_addc_u32 s44, s11, 0
	s_cmp_lg_u32 s6, 0
	s_cselect_b32 s6, s42, s7
	s_cselect_b32 s7, s44, s33
	s_cmp_lg_u64 vcc, 0
	s_subb_u32 s23, s43, s23
	s_cmp_ge_u32 s23, s39
	v_readfirstlane_b32 s42, v1
	s_cselect_b32 s33, -1, 0
	s_cmp_ge_u32 s42, s38
	s_cselect_b32 s38, -1, 0
	s_cmp_eq_u32 s23, s39
	s_cselect_b32 s23, s38, s33
	s_cmp_lg_u32 s23, 0
	s_cselect_b32 s7, s7, s11
	s_cselect_b32 s6, s6, s5
	s_xor_b64 s[30:31], s[40:41], s[30:31]
	s_xor_b64 s[6:7], s[6:7], s[30:31]
	s_sub_u32 s30, s6, s30
	s_subb_u32 s31, s7, s31
	s_cbranch_execnz .LBB17_7
.LBB17_6:
	v_cvt_f32_u32_e32 v1, s34
	s_sub_i32 s5, 0, s34
	s_mov_b32 s31, 0
	v_rcp_iflag_f32_e32 v1, v1
	s_nop 0
	v_mul_f32_e32 v1, 0x4f7ffffe, v1
	v_cvt_u32_f32_e32 v1, v1
	s_nop 0
	v_readfirstlane_b32 s6, v1
	s_mul_i32 s5, s5, s6
	s_mul_hi_u32 s5, s6, s5
	s_add_i32 s6, s6, s5
	s_mul_hi_u32 s5, s28, s6
	s_mul_i32 s7, s5, s34
	s_sub_i32 s7, s28, s7
	s_add_i32 s6, s5, 1
	s_sub_i32 s11, s7, s34
	s_cmp_ge_u32 s7, s34
	s_cselect_b32 s5, s6, s5
	s_cselect_b32 s7, s11, s7
	s_add_i32 s6, s5, 1
	s_cmp_ge_u32 s7, s34
	s_cselect_b32 s30, s6, s5
.LBB17_7:
	s_mul_i32 s5, s30, s35
	s_mul_hi_u32 s6, s30, s34
	s_add_i32 s5, s6, s5
	s_mul_i32 s6, s31, s34
	s_add_i32 s5, s5, s6
	s_mul_i32 s6, s30, s34
	s_sub_u32 s33, s28, s6
	s_subb_u32 s5, s29, s5
	v_cmp_gt_i32_e32 vcc, s22, v2
	s_mul_hi_u32 s40, s30, s8
	s_mul_i32 s41, s31, s8
	s_mul_i32 s34, s30, s8
	s_mul_hi_u32 s31, s33, s9
	s_mul_i32 s5, s5, s9
	s_mul_i32 s28, s33, s9
	s_and_saveexec_b64 s[36:37], vcc
	s_cbranch_execz .LBB17_10
; %bb.8:
	s_load_dwordx2 s[0:1], s[0:1], 0x4
	v_bfe_u32 v1, v0, 10, 10
	s_load_dword s6, s[2:3], 0x8c
	s_ashr_i32 s23, s22, 31
	s_ashr_i32 s7, s8, 31
	s_waitcnt lgkmcnt(0)
	s_lshr_b32 s0, s0, 16
	s_mul_i32 s0, s0, s1
	v_mul_lo_u32 v3, s0, v2
	v_mad_u32_u24 v1, v1, s1, v3
	s_ashr_i32 s29, s9, 31
	s_ashr_i32 s11, s10, 31
	s_and_b32 s42, s6, 0xffff
	s_lshl_b64 s[0:1], s[26:27], 1
	s_add_u32 s0, s24, s0
	v_bfe_u32 v0, v0, 20, 10
	v_mov_b32_e32 v5, 0
	s_addc_u32 s1, s25, s1
	v_add_lshl_u32 v3, v1, v0, 1
	v_lshl_add_u64 v[0:1], s[0:1], 0, v[4:5]
	s_mul_i32 s0, s13, s4
	s_mul_hi_u32 s1, s12, s4
	s_add_i32 s1, s1, s0
	s_mul_i32 s0, s12, s4
	s_lshl_b32 s26, s42, 1
	s_lshl_b64 s[24:25], s[22:23], 1
	s_lshl_b64 s[0:1], s[0:1], 1
	s_add_u32 s0, s16, s0
	v_lshlrev_b32_e32 v4, 2, v2
	s_addc_u32 s1, s17, s1
	v_lshl_add_u64 v[6:7], s[0:1], 0, v[4:5]
	s_mul_i32 s0, s30, s7
	s_mul_i32 s6, s33, s29
	s_add_i32 s0, s40, s0
	s_add_i32 s6, s31, s6
	;; [unrolled: 1-line block ×4, first 2 shown]
	s_lshl_b32 s12, s42, 2
	s_lshl_b64 s[0:1], s[34:35], 2
	s_lshl_b64 s[6:7], s[28:29], 2
	s_add_u32 s6, s0, s6
	s_addc_u32 s7, s1, s7
	s_lshl_b64 s[0:1], s[10:11], 2
	s_add_u32 s0, s20, s0
	s_addc_u32 s1, s21, s1
	s_add_u32 s0, s0, s6
	s_mov_b32 s27, 0
	v_lshlrev_b32_e32 v4, 3, v2
	s_addc_u32 s1, s1, s7
	v_add_u32_e32 v8, 0x800, v3
	v_lshl_add_u64 v[6:7], v[6:7], 0, 2
	s_mov_b32 s13, s27
	v_lshl_add_u64 v[4:5], s[0:1], 0, v[4:5]
	s_lshl_b32 s16, s42, 3
	s_mov_b32 s17, s27
	s_mov_b64 s[38:39], 0
	s_movk_i32 s11, 0x7fff
	v_mov_b32_e32 v9, 0x7fc00000
	v_mov_b32_e32 v10, 0x7fc0
	s_mov_b32 s23, 0x5040100
	v_mov_b32_e32 v11, v2
.LBB17_9:                               ; =>This Inner Loop Header: Depth=1
	global_load_ushort v14, v[0:1], off
	global_load_dword v15, v[6:7], off offset:-2
	v_lshl_add_u64 v[12:13], v[0:1], 0, s[24:25]
	global_load_ushort v12, v[12:13], off
	v_add_u32_e32 v11, s42, v11
	v_cmp_le_i32_e32 vcc, s22, v11
	s_or_b64 s[38:39], vcc, s[38:39]
	v_lshl_add_u64 v[0:1], v[0:1], 0, s[26:27]
	s_waitcnt vmcnt(2)
	v_lshlrev_b32_e32 v13, 16, v14
	s_waitcnt vmcnt(1)
	v_lshlrev_b32_e32 v16, 16, v15
	v_mov_b32_e32 v18, v13
	s_waitcnt vmcnt(0)
	v_lshlrev_b32_e32 v17, 16, v12
	v_mov_b32_e32 v19, v16
	v_and_b32_e32 v14, 0xffff0000, v15
	v_mov_b32_e32 v12, v17
	v_pk_mul_f32 v[16:17], v[18:19], v[16:17]
	v_pk_mul_f32 v[12:13], v[12:13], v[14:15] op_sel_hi:[1,0]
	v_bfe_u32 v14, v16, 16, 1
	v_bfe_u32 v15, v17, 16, 1
	;; [unrolled: 1-line block ×4, first 2 shown]
	v_add3_u32 v14, v16, v14, s11
	v_add3_u32 v15, v17, v15, s11
	;; [unrolled: 1-line block ×4, first 2 shown]
	v_and_b32_e32 v14, 0xffff0000, v14
	v_cmp_o_f32_e32 vcc, v16, v16
	v_and_b32_e32 v15, 0xffff0000, v15
	v_cmp_o_f32_e64 s[0:1], v17, v17
	v_and_b32_e32 v16, 0xffff0000, v18
	v_and_b32_e32 v17, 0xffff0000, v19
	v_cmp_o_f32_e64 s[6:7], v12, v12
	v_cndmask_b32_e32 v14, v9, v14, vcc
	v_cmp_o_f32_e32 vcc, v13, v13
	v_cndmask_b32_e64 v15, v9, v15, s[0:1]
	v_cndmask_b32_e64 v12, v9, v16, s[6:7]
	v_cndmask_b32_e32 v13, v9, v17, vcc
	v_pk_add_f32 v[16:17], v[14:15], v[12:13] neg_lo:[0,1] neg_hi:[0,1]
	v_pk_add_f32 v[12:13], v[14:15], v[12:13]
	v_cmp_o_f32_e64 s[0:1], v16, v16
	v_bfe_u32 v12, v16, 16, 1
	v_bfe_u32 v14, v13, 16, 1
	v_add3_u32 v12, v16, v12, s11
	v_add3_u32 v14, v13, v14, s11
	v_lshrrev_b32_e32 v12, 16, v12
	v_lshrrev_b32_e32 v14, 16, v14
	v_cmp_o_f32_e32 vcc, v13, v13
	v_cndmask_b32_e64 v15, v10, v12, s[0:1]
	s_nop 0
	v_cndmask_b32_e32 v14, v10, v14, vcc
	ds_write_b16 v8, v15
	ds_write_b16 v3, v14
	ds_read_b32 v12, v8
	ds_read_b32 v13, v3
	v_perm_b32 v14, v14, v15, s23
	global_store_dword v[6:7], v14, off offset:-2
	v_lshl_add_u64 v[6:7], v[6:7], 0, s[12:13]
	s_waitcnt lgkmcnt(0)
	global_store_dwordx2 v[4:5], v[12:13], off
	v_lshl_add_u64 v[4:5], v[4:5], 0, s[16:17]
	s_andn2_b64 exec, exec, s[38:39]
	s_cbranch_execnz .LBB17_9
.LBB17_10:
	s_or_b64 exec, exec, s[36:37]
	v_cmp_gt_i32_e32 vcc, s10, v2
	s_and_saveexec_b64 s[0:1], vcc
	s_cbranch_execz .LBB17_13
; %bb.11:
	s_mul_i32 s0, s4, s15
	s_mul_hi_u32 s1, s4, s14
	s_add_i32 s1, s1, s0
	s_mul_i32 s0, s4, s14
	s_lshl_b64 s[0:1], s[0:1], 1
	s_add_u32 s0, s18, s0
	s_addc_u32 s1, s19, s1
	s_ashr_i32 s4, s8, 31
	s_mul_i32 s4, s30, s4
	s_add_i32 s4, s40, s4
	s_add_i32 s35, s4, s41
	s_lshl_b64 s[6:7], s[34:35], 2
	s_add_u32 s4, s20, s6
	s_addc_u32 s6, s21, s7
	s_ashr_i32 s7, s9, 31
	s_mul_i32 s33, s33, s7
	s_load_dword s8, s[2:3], 0x8c
	s_add_i32 s7, s31, s33
	s_add_i32 s29, s7, s5
	s_lshl_b64 s[2:3], s[28:29], 2
	s_add_u32 s2, s4, s2
	s_addc_u32 s3, s6, s3
	s_waitcnt lgkmcnt(0)
	s_and_b32 s6, s8, 0xffff
	s_mov_b64 s[4:5], 0
.LBB17_12:                              ; =>This Inner Loop Header: Depth=1
	v_ashrrev_i32_e32 v3, 31, v2
	v_lshl_add_u64 v[0:1], v[2:3], 1, s[0:1]
	global_load_dword v4, v[0:1], off
	v_lshl_add_u64 v[0:1], v[2:3], 2, s[2:3]
	v_add_u32_e32 v2, s6, v2
	v_cmp_le_i32_e32 vcc, s10, v2
	s_or_b64 s[4:5], vcc, s[4:5]
	s_waitcnt vmcnt(0)
	global_store_dword v[0:1], v4, off
	s_andn2_b64 exec, exec, s[4:5]
	s_cbranch_execnz .LBB17_12
.LBB17_13:
	s_endpgm
.LBB17_14:
                                        ; implicit-def: $sgpr30_sgpr31
	s_branch .LBB17_6
	.section	.rodata,"a",@progbits
	.p2align	6, 0x0
	.amdhsa_kernel _ZN4vllm38concat_and_cache_mla_rope_fused_kernelIN3c108BFloat16ES2_Lb0EffLNS_18Fp8KVCacheDataTypeE0EEEvPKlPT_S7_PKS6_PKT0_illlliPT3_S5_iiiiPKf
		.amdhsa_group_segment_fixed_size 4096
		.amdhsa_private_segment_fixed_size 0
		.amdhsa_kernarg_size 384
		.amdhsa_user_sgpr_count 4
		.amdhsa_user_sgpr_dispatch_ptr 1
		.amdhsa_user_sgpr_queue_ptr 0
		.amdhsa_user_sgpr_kernarg_segment_ptr 1
		.amdhsa_user_sgpr_dispatch_id 0
		.amdhsa_user_sgpr_kernarg_preload_length 0
		.amdhsa_user_sgpr_kernarg_preload_offset 0
		.amdhsa_user_sgpr_private_segment_size 0
		.amdhsa_uses_dynamic_stack 0
		.amdhsa_enable_private_segment 0
		.amdhsa_system_sgpr_workgroup_id_x 1
		.amdhsa_system_sgpr_workgroup_id_y 0
		.amdhsa_system_sgpr_workgroup_id_z 0
		.amdhsa_system_sgpr_workgroup_info 0
		.amdhsa_system_vgpr_workitem_id 2
		.amdhsa_next_free_vgpr 20
		.amdhsa_next_free_sgpr 45
		.amdhsa_accum_offset 20
		.amdhsa_reserve_vcc 1
		.amdhsa_float_round_mode_32 0
		.amdhsa_float_round_mode_16_64 0
		.amdhsa_float_denorm_mode_32 3
		.amdhsa_float_denorm_mode_16_64 3
		.amdhsa_dx10_clamp 1
		.amdhsa_ieee_mode 1
		.amdhsa_fp16_overflow 0
		.amdhsa_tg_split 0
		.amdhsa_exception_fp_ieee_invalid_op 0
		.amdhsa_exception_fp_denorm_src 0
		.amdhsa_exception_fp_ieee_div_zero 0
		.amdhsa_exception_fp_ieee_overflow 0
		.amdhsa_exception_fp_ieee_underflow 0
		.amdhsa_exception_fp_ieee_inexact 0
		.amdhsa_exception_int_div_zero 0
	.end_amdhsa_kernel
	.section	.text._ZN4vllm38concat_and_cache_mla_rope_fused_kernelIN3c108BFloat16ES2_Lb0EffLNS_18Fp8KVCacheDataTypeE0EEEvPKlPT_S7_PKS6_PKT0_illlliPT3_S5_iiiiPKf,"axG",@progbits,_ZN4vllm38concat_and_cache_mla_rope_fused_kernelIN3c108BFloat16ES2_Lb0EffLNS_18Fp8KVCacheDataTypeE0EEEvPKlPT_S7_PKS6_PKT0_illlliPT3_S5_iiiiPKf,comdat
.Lfunc_end17:
	.size	_ZN4vllm38concat_and_cache_mla_rope_fused_kernelIN3c108BFloat16ES2_Lb0EffLNS_18Fp8KVCacheDataTypeE0EEEvPKlPT_S7_PKS6_PKT0_illlliPT3_S5_iiiiPKf, .Lfunc_end17-_ZN4vllm38concat_and_cache_mla_rope_fused_kernelIN3c108BFloat16ES2_Lb0EffLNS_18Fp8KVCacheDataTypeE0EEEvPKlPT_S7_PKS6_PKT0_illlliPT3_S5_iiiiPKf
                                        ; -- End function
	.section	.AMDGPU.csdata,"",@progbits
; Kernel info:
; codeLenInByte = 2584
; NumSgprs: 51
; NumVgprs: 20
; NumAgprs: 0
; TotalNumVgprs: 20
; ScratchSize: 0
; MemoryBound: 0
; FloatMode: 240
; IeeeMode: 1
; LDSByteSize: 4096 bytes/workgroup (compile time only)
; SGPRBlocks: 6
; VGPRBlocks: 2
; NumSGPRsForWavesPerEU: 51
; NumVGPRsForWavesPerEU: 20
; AccumOffset: 20
; Occupancy: 8
; WaveLimiterHint : 1
; COMPUTE_PGM_RSRC2:SCRATCH_EN: 0
; COMPUTE_PGM_RSRC2:USER_SGPR: 4
; COMPUTE_PGM_RSRC2:TRAP_HANDLER: 0
; COMPUTE_PGM_RSRC2:TGID_X_EN: 1
; COMPUTE_PGM_RSRC2:TGID_Y_EN: 0
; COMPUTE_PGM_RSRC2:TGID_Z_EN: 0
; COMPUTE_PGM_RSRC2:TIDIG_COMP_CNT: 2
; COMPUTE_PGM_RSRC3_GFX90A:ACCUM_OFFSET: 4
; COMPUTE_PGM_RSRC3_GFX90A:TG_SPLIT: 0
	.section	.text._ZN4vllm38concat_and_cache_mla_rope_fused_kernelIffLb1EttLNS_18Fp8KVCacheDataTypeE0EEEvPKlPT_S5_PKS4_PKT0_illlliPT3_S3_iiiiPKf,"axG",@progbits,_ZN4vllm38concat_and_cache_mla_rope_fused_kernelIffLb1EttLNS_18Fp8KVCacheDataTypeE0EEEvPKlPT_S5_PKS4_PKT0_illlliPT3_S3_iiiiPKf,comdat
	.protected	_ZN4vllm38concat_and_cache_mla_rope_fused_kernelIffLb1EttLNS_18Fp8KVCacheDataTypeE0EEEvPKlPT_S5_PKS4_PKT0_illlliPT3_S3_iiiiPKf ; -- Begin function _ZN4vllm38concat_and_cache_mla_rope_fused_kernelIffLb1EttLNS_18Fp8KVCacheDataTypeE0EEEvPKlPT_S5_PKS4_PKT0_illlliPT3_S3_iiiiPKf
	.globl	_ZN4vllm38concat_and_cache_mla_rope_fused_kernelIffLb1EttLNS_18Fp8KVCacheDataTypeE0EEEvPKlPT_S5_PKS4_PKT0_illlliPT3_S3_iiiiPKf
	.p2align	8
	.type	_ZN4vllm38concat_and_cache_mla_rope_fused_kernelIffLb1EttLNS_18Fp8KVCacheDataTypeE0EEEvPKlPT_S5_PKS4_PKT0_illlliPT3_S3_iiiiPKf,@function
_ZN4vllm38concat_and_cache_mla_rope_fused_kernelIffLb1EttLNS_18Fp8KVCacheDataTypeE0EEEvPKlPT_S5_PKS4_PKT0_illlliPT3_S3_iiiiPKf: ; @_ZN4vllm38concat_and_cache_mla_rope_fused_kernelIffLb1EttLNS_18Fp8KVCacheDataTypeE0EEEvPKlPT_S5_PKS4_PKT0_illlliPT3_S3_iiiiPKf
; %bb.0:
	s_load_dwordx2 s[6:7], s[0:1], 0x60
	s_mov_b32 s3, 0
	s_lshl_b64 s[4:5], s[2:3], 3
	s_waitcnt lgkmcnt(0)
	s_add_u32 s6, s6, s4
	s_addc_u32 s7, s7, s5
	s_load_dwordx2 s[30:31], s[6:7], 0x0
	s_waitcnt lgkmcnt(0)
	v_cmp_lt_i64_e64 s[6:7], s[30:31], 0
	s_and_b64 vcc, exec, s[6:7]
	s_cbranch_vccnz .LBB18_13
; %bb.1:
	s_load_dword s3, s[0:1], 0x28
	s_load_dwordx2 s[6:7], s[0:1], 0x0
	s_load_dwordx4 s[12:15], s[0:1], 0x10
	s_waitcnt lgkmcnt(0)
	s_ashr_i32 s22, s3, 31
	s_add_u32 s16, s6, s4
	s_addc_u32 s17, s7, s5
	s_load_dwordx2 s[18:19], s[16:17], 0x0
	s_load_dwordx2 s[26:27], s[0:1], 0x20
	s_load_dwordx8 s[4:11], s[0:1], 0x30
	s_load_dwordx2 s[20:21], s[0:1], 0x58
	s_load_dword s25, s[0:1], 0x50
	s_waitcnt lgkmcnt(0)
	s_mul_i32 s16, s18, s22
	s_mul_hi_u32 s17, s18, s3
	s_mul_i32 s19, s19, s3
	s_add_i32 s16, s17, s16
	s_add_i32 s17, s16, s19
	s_mul_i32 s16, s18, s3
	s_lshl_b64 s[28:29], s[16:17], 2
	s_add_u32 s22, s26, s28
	s_addc_u32 s23, s27, s29
	s_lshr_b32 s16, s3, 31
	s_add_i32 s3, s3, s16
	s_ashr_i32 s24, s3, 1
	s_mul_i32 s3, s24, s25
	v_cmp_gt_i32_e32 vcc, s3, v0
	s_and_saveexec_b64 s[16:17], vcc
	s_cbranch_execz .LBB18_4
; %bb.2:
	s_load_dwordx2 s[18:19], s[0:1], 0x8
	s_load_dword s34, s[0:1], 0x8c
	s_mul_i32 s5, s2, s5
	s_mul_hi_u32 s33, s2, s4
	s_add_i32 s5, s33, s5
	s_mul_i32 s4, s2, s4
	s_ashr_i32 s25, s24, 31
	s_lshl_b64 s[4:5], s[4:5], 2
	s_waitcnt lgkmcnt(0)
	s_add_u32 s4, s18, s4
	s_addc_u32 s5, s19, s5
	s_abs_i32 s33, s24
	v_cvt_f32_u32_e32 v1, s33
	s_sub_i32 s38, 0, s33
	s_mov_b64 s[18:19], 0
	s_and_b32 s36, s34, 0xffff
	v_rcp_iflag_f32_e32 v1, v1
	s_sub_i32 s37, 0, s24
	s_lshl_b64 s[34:35], s[24:25], 2
	v_mul_f32_e32 v1, 0x4f7ffffe, v1
	v_cvt_u32_f32_e32 v1, v1
	v_mul_lo_u32 v2, s38, v1
	v_mul_hi_u32 v2, v1, v2
	v_add_u32_e32 v1, v1, v2
	v_mov_b32_e32 v2, v0
.LBB18_3:                               ; =>This Inner Loop Header: Depth=1
	v_sub_u32_e32 v4, 0, v2
	v_max_i32_e32 v4, v2, v4
	v_mul_hi_u32 v5, v4, v1
	v_mul_lo_u32 v6, v5, s33
	v_sub_u32_e32 v4, v4, v6
	v_add_u32_e32 v7, 1, v5
	v_cmp_le_u32_e32 vcc, s33, v4
	v_subrev_u32_e32 v6, s33, v4
	v_ashrrev_i32_e32 v3, 31, v2
	v_cndmask_b32_e32 v5, v5, v7, vcc
	v_cndmask_b32_e32 v4, v4, v6, vcc
	v_add_u32_e32 v6, 1, v5
	v_cmp_le_u32_e32 vcc, s33, v4
	v_xor_b32_e32 v3, s25, v3
	s_nop 0
	v_cndmask_b32_e32 v4, v5, v6, vcc
	v_xor_b32_e32 v4, v4, v3
	v_sub_u32_e32 v3, v4, v3
	v_ashrrev_i32_e32 v8, 31, v3
	v_mad_u64_u32 v[4:5], s[38:39], s37, v3, v[2:3]
	v_mul_lo_u32 v9, v3, s7
	v_mad_u64_u32 v[6:7], s[38:39], v3, s6, 0
	v_mul_lo_u32 v3, v8, s6
	v_ashrrev_i32_e32 v5, 31, v4
	v_add3_u32 v7, v7, v9, v3
	v_lshlrev_b64 v[4:5], 2, v[4:5]
	v_lshl_add_u64 v[6:7], v[6:7], 2, s[4:5]
	v_lshl_add_u64 v[8:9], s[22:23], 0, v[4:5]
	;; [unrolled: 1-line block ×4, first 2 shown]
	global_load_dword v3, v[8:9], off
	global_load_dword v12, v[10:11], off
	v_lshl_add_u64 v[6:7], v[4:5], 0, s[34:35]
	global_load_dword v8, v[4:5], off
	global_load_dword v9, v[6:7], off
	v_add_u32_e32 v2, s36, v2
	v_cmp_le_i32_e32 vcc, s3, v2
	s_or_b64 s[18:19], vcc, s[18:19]
	s_waitcnt vmcnt(0)
	v_mul_f32_e32 v10, v12, v9
	v_mul_f32_e32 v9, v3, v9
	v_fma_f32 v3, v3, v8, -v10
	v_fmac_f32_e32 v9, v12, v8
	global_store_dword v[4:5], v3, off
	global_store_dword v[6:7], v9, off
	s_andn2_b64 exec, exec, s[18:19]
	s_cbranch_execnz .LBB18_3
.LBB18_4:
	s_or_b64 exec, exec, s[16:17]
	s_load_dwordx4 s[16:19], s[0:1], 0x68
	s_waitcnt lgkmcnt(0)
	s_ashr_i32 s7, s19, 31
	s_mov_b32 s6, s19
	s_or_b64 s[4:5], s[30:31], s[6:7]
	s_mov_b32 s4, 0
	s_cmp_lg_u64 s[4:5], 0
	s_cbranch_scc0 .LBB18_14
; %bb.5:
	s_add_u32 s4, s6, s7
	s_mov_b32 s36, s7
	s_mov_b32 s37, s7
	s_addc_u32 s5, s7, s7
	s_xor_b64 s[38:39], s[4:5], s[36:37]
	v_cvt_f32_u32_e32 v1, s38
	v_cvt_f32_u32_e32 v2, s39
	s_sub_u32 s3, 0, s38
	s_subb_u32 s4, 0, s39
	v_fmamk_f32 v1, v2, 0x4f800000, v1
	v_rcp_f32_e32 v1, v1
	s_nop 0
	v_mul_f32_e32 v1, 0x5f7ffffc, v1
	v_mul_f32_e32 v2, 0x2f800000, v1
	v_trunc_f32_e32 v2, v2
	v_fmamk_f32 v1, v2, 0xcf800000, v1
	v_cvt_u32_f32_e32 v2, v2
	v_cvt_u32_f32_e32 v1, v1
	v_readfirstlane_b32 s5, v2
	v_readfirstlane_b32 s19, v1
	s_mul_i32 s25, s3, s5
	s_mul_hi_u32 s40, s3, s19
	s_mul_i32 s33, s4, s19
	s_add_i32 s25, s40, s25
	s_add_i32 s25, s25, s33
	s_mul_i32 s41, s3, s19
	s_mul_hi_u32 s33, s19, s25
	s_mul_i32 s40, s19, s25
	s_mul_hi_u32 s19, s19, s41
	s_add_u32 s19, s19, s40
	s_addc_u32 s33, 0, s33
	s_mul_hi_u32 s42, s5, s41
	s_mul_i32 s41, s5, s41
	s_add_u32 s19, s19, s41
	s_mul_hi_u32 s40, s5, s25
	s_addc_u32 s19, s33, s42
	s_addc_u32 s33, s40, 0
	s_mul_i32 s25, s5, s25
	s_add_u32 s19, s19, s25
	s_addc_u32 s25, 0, s33
	v_add_co_u32_e32 v1, vcc, s19, v1
	s_cmp_lg_u64 vcc, 0
	s_addc_u32 s5, s5, s25
	v_readfirstlane_b32 s25, v1
	s_mul_i32 s19, s3, s5
	s_mul_hi_u32 s33, s3, s25
	s_add_i32 s19, s33, s19
	s_mul_i32 s4, s4, s25
	s_add_i32 s19, s19, s4
	s_mul_i32 s3, s3, s25
	s_mul_hi_u32 s33, s5, s3
	s_mul_i32 s40, s5, s3
	s_mul_i32 s42, s25, s19
	s_mul_hi_u32 s3, s25, s3
	s_mul_hi_u32 s41, s25, s19
	s_add_u32 s3, s3, s42
	s_addc_u32 s25, 0, s41
	s_add_u32 s3, s3, s40
	s_mul_hi_u32 s4, s5, s19
	s_addc_u32 s3, s25, s33
	s_addc_u32 s4, s4, 0
	s_mul_i32 s19, s5, s19
	s_add_u32 s3, s3, s19
	s_addc_u32 s4, 0, s4
	v_add_co_u32_e32 v1, vcc, s3, v1
	s_cmp_lg_u64 vcc, 0
	s_addc_u32 s3, s5, s4
	s_ashr_i32 s40, s31, 31
	s_add_u32 s4, s30, s40
	s_mov_b32 s41, s40
	s_addc_u32 s5, s31, s40
	s_xor_b64 s[42:43], s[4:5], s[40:41]
	v_readfirstlane_b32 s19, v1
	s_mul_i32 s5, s42, s3
	s_mul_hi_u32 s25, s42, s19
	s_mul_hi_u32 s4, s42, s3
	s_add_u32 s5, s25, s5
	s_addc_u32 s4, 0, s4
	s_mul_hi_u32 s33, s43, s19
	s_mul_i32 s19, s43, s19
	s_add_u32 s5, s5, s19
	s_mul_hi_u32 s25, s43, s3
	s_addc_u32 s4, s4, s33
	s_addc_u32 s5, s25, 0
	s_mul_i32 s3, s43, s3
	s_add_u32 s3, s4, s3
	s_addc_u32 s19, 0, s5
	s_mul_i32 s4, s38, s19
	s_mul_hi_u32 s5, s38, s3
	s_add_i32 s4, s5, s4
	s_mul_i32 s5, s39, s3
	s_add_i32 s25, s4, s5
	s_mul_i32 s5, s38, s3
	v_mov_b32_e32 v1, s5
	s_sub_i32 s4, s43, s25
	v_sub_co_u32_e32 v1, vcc, s42, v1
	s_cmp_lg_u64 vcc, 0
	s_subb_u32 s33, s4, s39
	v_subrev_co_u32_e64 v2, s[4:5], s38, v1
	s_cmp_lg_u64 s[4:5], 0
	s_subb_u32 s4, s33, 0
	s_cmp_ge_u32 s4, s39
	v_readfirstlane_b32 s33, v2
	s_cselect_b32 s5, -1, 0
	s_cmp_ge_u32 s33, s38
	s_cselect_b32 s33, -1, 0
	s_cmp_eq_u32 s4, s39
	s_cselect_b32 s4, s33, s5
	s_add_u32 s5, s3, 1
	s_addc_u32 s33, s19, 0
	s_add_u32 s42, s3, 2
	s_addc_u32 s44, s19, 0
	s_cmp_lg_u32 s4, 0
	s_cselect_b32 s4, s42, s5
	s_cselect_b32 s5, s44, s33
	s_cmp_lg_u64 vcc, 0
	s_subb_u32 s25, s43, s25
	s_cmp_ge_u32 s25, s39
	v_readfirstlane_b32 s42, v1
	s_cselect_b32 s33, -1, 0
	s_cmp_ge_u32 s42, s38
	s_cselect_b32 s38, -1, 0
	s_cmp_eq_u32 s25, s39
	s_cselect_b32 s25, s38, s33
	s_cmp_lg_u32 s25, 0
	s_cselect_b32 s5, s5, s19
	s_cselect_b32 s4, s4, s3
	s_xor_b64 s[36:37], s[40:41], s[36:37]
	s_xor_b64 s[4:5], s[4:5], s[36:37]
	s_sub_u32 s4, s4, s36
	s_subb_u32 s5, s5, s37
	s_cbranch_execnz .LBB18_7
.LBB18_6:
	v_cvt_f32_u32_e32 v1, s6
	s_sub_i32 s3, 0, s6
	s_mov_b32 s5, 0
	v_rcp_iflag_f32_e32 v1, v1
	s_nop 0
	v_mul_f32_e32 v1, 0x4f7ffffe, v1
	v_cvt_u32_f32_e32 v1, v1
	s_nop 0
	v_readfirstlane_b32 s4, v1
	s_mul_i32 s3, s3, s4
	s_mul_hi_u32 s3, s4, s3
	s_add_i32 s4, s4, s3
	s_mul_hi_u32 s3, s30, s4
	s_mul_i32 s19, s3, s6
	s_sub_i32 s19, s30, s19
	s_add_i32 s4, s3, 1
	s_sub_i32 s25, s19, s6
	s_cmp_ge_u32 s19, s6
	s_cselect_b32 s3, s4, s3
	s_cselect_b32 s19, s25, s19
	s_add_i32 s4, s3, 1
	s_cmp_ge_u32 s19, s6
	s_cselect_b32 s4, s4, s3
.LBB18_7:
	s_mul_i32 s3, s4, s7
	s_mul_hi_u32 s7, s4, s6
	s_add_i32 s3, s7, s3
	s_mul_i32 s7, s5, s6
	s_add_i32 s3, s3, s7
	s_mul_i32 s6, s4, s6
	s_sub_u32 s33, s30, s6
	s_subb_u32 s3, s31, s3
	v_cmp_gt_i32_e32 vcc, s24, v0
	s_mul_hi_u32 s41, s4, s16
	s_mul_i32 s42, s5, s16
	s_mul_i32 s30, s4, s16
	s_mul_hi_u32 s40, s33, s17
	s_mul_i32 s5, s3, s17
	s_mul_i32 s6, s33, s17
	s_and_saveexec_b64 s[34:35], vcc
	s_cbranch_execz .LBB18_10
; %bb.8:
	s_mul_i32 s3, s2, s9
	s_mul_hi_u32 s7, s2, s8
	s_add_i32 s9, s7, s3
	s_load_dword s3, s[0:1], 0x8c
	s_mul_i32 s8, s2, s8
	s_ashr_i32 s25, s24, 31
	s_lshl_b64 s[38:39], s[8:9], 2
	s_add_u32 s8, s12, s38
	s_addc_u32 s9, s13, s39
	s_waitcnt lgkmcnt(0)
	s_and_b32 s3, s3, 0xffff
	s_ashr_i32 s7, s16, 31
	s_ashr_i32 s36, s17, 31
	;; [unrolled: 1-line block ×3, first 2 shown]
	s_lshl_b32 s43, s3, 2
	s_lshl_b64 s[44:45], s[24:25], 2
	s_add_u32 s28, s28, s44
	s_addc_u32 s29, s29, s45
	s_add_u32 s26, s26, s28
	s_addc_u32 s27, s27, s29
	;; [unrolled: 2-line block ×3, first 2 shown]
	s_add_u32 s12, s12, s28
	s_mul_i32 s7, s4, s7
	s_addc_u32 s13, s13, s29
	s_add_i32 s7, s41, s7
	s_add_i32 s31, s7, s42
	s_mul_i32 s7, s33, s36
	s_add_i32 s7, s40, s7
	s_add_i32 s7, s7, s5
	s_lshl_b64 s[28:29], s[24:25], 1
	s_lshl_b64 s[38:39], s[30:31], 1
	;; [unrolled: 1-line block ×3, first 2 shown]
	s_add_u32 s7, s38, s44
	s_addc_u32 s25, s39, s45
	s_lshl_b64 s[38:39], s[18:19], 1
	s_add_u32 s7, s7, s38
	s_addc_u32 s19, s25, s39
	v_mov_b32_e32 v3, 0
	s_add_u32 s38, s20, s7
	v_lshlrev_b32_e32 v4, 1, v0
	v_mov_b32_e32 v5, v3
	s_addc_u32 s39, s21, s19
	v_lshlrev_b32_e32 v2, 2, v0
	s_mov_b32 s37, 0
	v_lshl_add_u64 v[4:5], s[38:39], 0, v[4:5]
	s_lshl_b32 s36, s3, 1
	s_mov_b64 s[38:39], 0
	v_mov_b32_e32 v1, v0
.LBB18_9:                               ; =>This Inner Loop Header: Depth=1
	v_lshl_add_u64 v[8:9], s[26:27], 0, v[2:3]
	v_lshl_add_u64 v[6:7], s[22:23], 0, v[2:3]
	;; [unrolled: 1-line block ×4, first 2 shown]
	global_load_dword v14, v[8:9], off
	global_load_dword v15, v[12:13], off
	;; [unrolled: 1-line block ×4, first 2 shown]
	s_add_u32 s22, s22, s43
	s_addc_u32 s23, s23, 0
	s_add_u32 s26, s26, s43
	s_addc_u32 s27, s27, 0
	;; [unrolled: 2-line block ×3, first 2 shown]
	v_add_u32_e32 v1, s3, v1
	s_add_u32 s8, s8, s43
	v_cmp_le_i32_e32 vcc, s24, v1
	s_addc_u32 s9, s9, 0
	v_lshl_add_u64 v[6:7], v[4:5], 0, s[28:29]
	s_or_b64 s[38:39], vcc, s[38:39]
	s_waitcnt vmcnt(2)
	v_mul_f32_e32 v8, v14, v15
	s_waitcnt vmcnt(1)
	v_mul_f32_e32 v9, v16, v15
	s_waitcnt vmcnt(0)
	v_fma_f32 v8, v16, v17, -v8
	v_fmac_f32_e32 v9, v14, v17
	global_store_dword v[10:11], v8, off
	global_store_dword v[12:13], v9, off
	global_store_short v[4:5], v8, off
	global_store_short v[6:7], v9, off
	v_lshl_add_u64 v[4:5], v[4:5], 0, s[36:37]
	s_andn2_b64 exec, exec, s[38:39]
	s_cbranch_execnz .LBB18_9
.LBB18_10:
	s_or_b64 exec, exec, s[34:35]
	v_cmp_gt_i32_e32 vcc, s18, v0
	s_and_saveexec_b64 s[8:9], vcc
	s_cbranch_execz .LBB18_13
; %bb.11:
	s_mul_i32 s3, s2, s11
	s_mul_hi_u32 s7, s2, s10
	s_add_i32 s3, s7, s3
	s_mul_i32 s2, s2, s10
	s_lshl_b64 s[2:3], s[2:3], 2
	s_add_u32 s2, s14, s2
	s_addc_u32 s3, s15, s3
	s_ashr_i32 s7, s16, 31
	s_mul_i32 s4, s4, s7
	s_add_i32 s4, s41, s4
	s_add_i32 s31, s4, s42
	s_lshl_b64 s[8:9], s[30:31], 1
	s_add_u32 s4, s20, s8
	s_addc_u32 s8, s21, s9
	s_ashr_i32 s7, s17, 31
	s_mul_i32 s33, s33, s7
	s_load_dword s9, s[0:1], 0x8c
	s_add_i32 s7, s40, s33
	s_add_i32 s7, s7, s5
	s_lshl_b64 s[0:1], s[6:7], 1
	s_add_u32 s0, s4, s0
	s_addc_u32 s1, s8, s1
	s_waitcnt lgkmcnt(0)
	s_and_b32 s6, s9, 0xffff
	s_mov_b64 s[4:5], 0
.LBB18_12:                              ; =>This Inner Loop Header: Depth=1
	v_ashrrev_i32_e32 v1, 31, v0
	v_lshl_add_u64 v[2:3], v[0:1], 2, s[2:3]
	global_load_ushort v4, v[2:3], off
	v_lshl_add_u64 v[2:3], v[0:1], 1, s[0:1]
	v_add_u32_e32 v0, s6, v0
	v_cmp_le_i32_e32 vcc, s18, v0
	s_or_b64 s[4:5], vcc, s[4:5]
	s_waitcnt vmcnt(0)
	global_store_short v[2:3], v4, off
	s_andn2_b64 exec, exec, s[4:5]
	s_cbranch_execnz .LBB18_12
.LBB18_13:
	s_endpgm
.LBB18_14:
                                        ; implicit-def: $sgpr4_sgpr5
	s_branch .LBB18_6
	.section	.rodata,"a",@progbits
	.p2align	6, 0x0
	.amdhsa_kernel _ZN4vllm38concat_and_cache_mla_rope_fused_kernelIffLb1EttLNS_18Fp8KVCacheDataTypeE0EEEvPKlPT_S5_PKS4_PKT0_illlliPT3_S3_iiiiPKf
		.amdhsa_group_segment_fixed_size 0
		.amdhsa_private_segment_fixed_size 0
		.amdhsa_kernarg_size 384
		.amdhsa_user_sgpr_count 2
		.amdhsa_user_sgpr_dispatch_ptr 0
		.amdhsa_user_sgpr_queue_ptr 0
		.amdhsa_user_sgpr_kernarg_segment_ptr 1
		.amdhsa_user_sgpr_dispatch_id 0
		.amdhsa_user_sgpr_kernarg_preload_length 0
		.amdhsa_user_sgpr_kernarg_preload_offset 0
		.amdhsa_user_sgpr_private_segment_size 0
		.amdhsa_uses_dynamic_stack 0
		.amdhsa_enable_private_segment 0
		.amdhsa_system_sgpr_workgroup_id_x 1
		.amdhsa_system_sgpr_workgroup_id_y 0
		.amdhsa_system_sgpr_workgroup_id_z 0
		.amdhsa_system_sgpr_workgroup_info 0
		.amdhsa_system_vgpr_workitem_id 0
		.amdhsa_next_free_vgpr 18
		.amdhsa_next_free_sgpr 46
		.amdhsa_accum_offset 20
		.amdhsa_reserve_vcc 1
		.amdhsa_float_round_mode_32 0
		.amdhsa_float_round_mode_16_64 0
		.amdhsa_float_denorm_mode_32 3
		.amdhsa_float_denorm_mode_16_64 3
		.amdhsa_dx10_clamp 1
		.amdhsa_ieee_mode 1
		.amdhsa_fp16_overflow 0
		.amdhsa_tg_split 0
		.amdhsa_exception_fp_ieee_invalid_op 0
		.amdhsa_exception_fp_denorm_src 0
		.amdhsa_exception_fp_ieee_div_zero 0
		.amdhsa_exception_fp_ieee_overflow 0
		.amdhsa_exception_fp_ieee_underflow 0
		.amdhsa_exception_fp_ieee_inexact 0
		.amdhsa_exception_int_div_zero 0
	.end_amdhsa_kernel
	.section	.text._ZN4vllm38concat_and_cache_mla_rope_fused_kernelIffLb1EttLNS_18Fp8KVCacheDataTypeE0EEEvPKlPT_S5_PKS4_PKT0_illlliPT3_S3_iiiiPKf,"axG",@progbits,_ZN4vllm38concat_and_cache_mla_rope_fused_kernelIffLb1EttLNS_18Fp8KVCacheDataTypeE0EEEvPKlPT_S5_PKS4_PKT0_illlliPT3_S3_iiiiPKf,comdat
.Lfunc_end18:
	.size	_ZN4vllm38concat_and_cache_mla_rope_fused_kernelIffLb1EttLNS_18Fp8KVCacheDataTypeE0EEEvPKlPT_S5_PKS4_PKT0_illlliPT3_S3_iiiiPKf, .Lfunc_end18-_ZN4vllm38concat_and_cache_mla_rope_fused_kernelIffLb1EttLNS_18Fp8KVCacheDataTypeE0EEEvPKlPT_S5_PKS4_PKT0_illlliPT3_S3_iiiiPKf
                                        ; -- End function
	.section	.AMDGPU.csdata,"",@progbits
; Kernel info:
; codeLenInByte = 1944
; NumSgprs: 52
; NumVgprs: 18
; NumAgprs: 0
; TotalNumVgprs: 18
; ScratchSize: 0
; MemoryBound: 0
; FloatMode: 240
; IeeeMode: 1
; LDSByteSize: 0 bytes/workgroup (compile time only)
; SGPRBlocks: 6
; VGPRBlocks: 2
; NumSGPRsForWavesPerEU: 52
; NumVGPRsForWavesPerEU: 18
; AccumOffset: 20
; Occupancy: 8
; WaveLimiterHint : 1
; COMPUTE_PGM_RSRC2:SCRATCH_EN: 0
; COMPUTE_PGM_RSRC2:USER_SGPR: 2
; COMPUTE_PGM_RSRC2:TRAP_HANDLER: 0
; COMPUTE_PGM_RSRC2:TGID_X_EN: 1
; COMPUTE_PGM_RSRC2:TGID_Y_EN: 0
; COMPUTE_PGM_RSRC2:TGID_Z_EN: 0
; COMPUTE_PGM_RSRC2:TIDIG_COMP_CNT: 0
; COMPUTE_PGM_RSRC3_GFX90A:ACCUM_OFFSET: 4
; COMPUTE_PGM_RSRC3_GFX90A:TG_SPLIT: 0
	.section	.text._ZN4vllm38concat_and_cache_mla_rope_fused_kernelIffLb0EttLNS_18Fp8KVCacheDataTypeE0EEEvPKlPT_S5_PKS4_PKT0_illlliPT3_S3_iiiiPKf,"axG",@progbits,_ZN4vllm38concat_and_cache_mla_rope_fused_kernelIffLb0EttLNS_18Fp8KVCacheDataTypeE0EEEvPKlPT_S5_PKS4_PKT0_illlliPT3_S3_iiiiPKf,comdat
	.protected	_ZN4vllm38concat_and_cache_mla_rope_fused_kernelIffLb0EttLNS_18Fp8KVCacheDataTypeE0EEEvPKlPT_S5_PKS4_PKT0_illlliPT3_S3_iiiiPKf ; -- Begin function _ZN4vllm38concat_and_cache_mla_rope_fused_kernelIffLb0EttLNS_18Fp8KVCacheDataTypeE0EEEvPKlPT_S5_PKS4_PKT0_illlliPT3_S3_iiiiPKf
	.globl	_ZN4vllm38concat_and_cache_mla_rope_fused_kernelIffLb0EttLNS_18Fp8KVCacheDataTypeE0EEEvPKlPT_S5_PKS4_PKT0_illlliPT3_S3_iiiiPKf
	.p2align	8
	.type	_ZN4vllm38concat_and_cache_mla_rope_fused_kernelIffLb0EttLNS_18Fp8KVCacheDataTypeE0EEEvPKlPT_S5_PKS4_PKT0_illlliPT3_S3_iiiiPKf,@function
_ZN4vllm38concat_and_cache_mla_rope_fused_kernelIffLb0EttLNS_18Fp8KVCacheDataTypeE0EEEvPKlPT_S5_PKS4_PKT0_illlliPT3_S3_iiiiPKf: ; @_ZN4vllm38concat_and_cache_mla_rope_fused_kernelIffLb0EttLNS_18Fp8KVCacheDataTypeE0EEEvPKlPT_S5_PKS4_PKT0_illlliPT3_S3_iiiiPKf
; %bb.0:
	s_load_dwordx2 s[6:7], s[0:1], 0x60
	s_mov_b32 s3, 0
	s_lshl_b64 s[4:5], s[2:3], 3
	s_waitcnt lgkmcnt(0)
	s_add_u32 s6, s6, s4
	s_addc_u32 s7, s7, s5
	s_load_dwordx2 s[26:27], s[6:7], 0x0
	s_waitcnt lgkmcnt(0)
	v_cmp_lt_i64_e64 s[6:7], s[26:27], 0
	s_and_b64 vcc, exec, s[6:7]
	s_cbranch_vccnz .LBB19_13
; %bb.1:
	s_load_dword s3, s[0:1], 0x28
	s_load_dwordx2 s[6:7], s[0:1], 0x0
	s_load_dwordx4 s[12:15], s[0:1], 0x10
	s_waitcnt lgkmcnt(0)
	s_ashr_i32 s22, s3, 31
	s_add_u32 s16, s6, s4
	s_addc_u32 s17, s7, s5
	s_load_dwordx2 s[18:19], s[16:17], 0x0
	s_load_dwordx2 s[24:25], s[0:1], 0x20
	s_load_dwordx8 s[4:11], s[0:1], 0x30
	s_load_dwordx2 s[20:21], s[0:1], 0x58
	s_load_dword s23, s[0:1], 0x50
	s_waitcnt lgkmcnt(0)
	s_mul_i32 s16, s18, s22
	s_mul_hi_u32 s17, s18, s3
	s_mul_i32 s19, s19, s3
	s_add_i32 s16, s17, s16
	s_add_i32 s29, s16, s19
	s_lshr_b32 s16, s3, 31
	s_mul_i32 s28, s18, s3
	s_add_i32 s3, s3, s16
	s_ashr_i32 s22, s3, 1
	s_mul_i32 s3, s22, s23
	v_cmp_gt_i32_e32 vcc, s3, v0
	s_and_saveexec_b64 s[16:17], vcc
	s_cbranch_execz .LBB19_4
; %bb.2:
	s_load_dwordx2 s[30:31], s[0:1], 0x8
	s_load_dword s34, s[0:1], 0x8c
	s_lshl_b64 s[18:19], s[28:29], 2
	s_add_u32 s18, s24, s18
	s_mul_i32 s5, s2, s5
	s_mul_hi_u32 s33, s2, s4
	s_addc_u32 s19, s25, s19
	s_add_i32 s5, s33, s5
	s_mul_i32 s4, s2, s4
	s_ashr_i32 s23, s22, 31
	s_lshl_b64 s[4:5], s[4:5], 2
	s_waitcnt lgkmcnt(0)
	s_add_u32 s4, s30, s4
	s_addc_u32 s5, s31, s5
	s_abs_i32 s33, s22
	v_cvt_f32_u32_e32 v1, s33
	s_sub_i32 s30, 0, s33
	s_and_b32 s34, s34, 0xffff
	s_sub_i32 s35, 0, s22
	v_rcp_iflag_f32_e32 v1, v1
	s_lshl_b32 s37, s34, 1
	v_mov_b32_e32 v4, v0
	v_mul_f32_e32 v1, 0x4f7ffffe, v1
	v_cvt_u32_f32_e32 v1, v1
	v_mul_lo_u32 v2, s30, v1
	v_mul_hi_u32 v2, v1, v2
	s_lshl_b32 s30, s22, 1
	v_add_u32_e32 v1, v1, v2
	s_sub_i32 s36, 0, s30
	v_lshlrev_b32_e32 v2, 1, v0
	s_mov_b64 s[30:31], 0
.LBB19_3:                               ; =>This Inner Loop Header: Depth=1
	v_sub_u32_e32 v5, 0, v4
	v_max_i32_e32 v5, v4, v5
	v_mul_hi_u32 v6, v5, v1
	v_mul_lo_u32 v7, v6, s33
	v_sub_u32_e32 v5, v5, v7
	v_add_u32_e32 v8, 1, v6
	v_cmp_le_u32_e32 vcc, s33, v5
	v_subrev_u32_e32 v7, s33, v5
	v_ashrrev_i32_e32 v3, 31, v4
	v_cndmask_b32_e32 v6, v6, v8, vcc
	v_cndmask_b32_e32 v5, v5, v7, vcc
	v_add_u32_e32 v7, 1, v6
	v_cmp_le_u32_e32 vcc, s33, v5
	v_xor_b32_e32 v3, s23, v3
	s_nop 0
	v_cndmask_b32_e32 v5, v6, v7, vcc
	v_xor_b32_e32 v5, v5, v3
	v_sub_u32_e32 v3, v5, v3
	v_mad_u64_u32 v[6:7], s[38:39], s35, v3, v[4:5]
	v_ashrrev_i32_e32 v5, 31, v3
	v_mul_lo_u32 v12, v3, s7
	v_mad_u64_u32 v[8:9], s[38:39], v3, s6, 0
	v_mad_u64_u32 v[10:11], s[38:39], s36, v3, v[2:3]
	v_mul_lo_u32 v3, v5, s6
	v_ashrrev_i32_e32 v7, 31, v6
	v_add3_u32 v9, v9, v12, v3
	v_ashrrev_i32_e32 v11, 31, v10
	v_lshl_add_u64 v[6:7], v[6:7], 2, s[18:19]
	v_lshl_add_u64 v[8:9], v[8:9], 2, s[4:5]
	;; [unrolled: 1-line block ×3, first 2 shown]
	global_load_dword v3, v[6:7], off
	global_load_dword v5, v[12:13], off
	v_lshl_add_u64 v[6:7], v[10:11], 2, v[8:9]
	global_load_dwordx2 v[8:9], v[6:7], off
	v_add_u32_e32 v4, s34, v4
	v_cmp_le_i32_e32 vcc, s3, v4
	v_add_u32_e32 v2, s37, v2
	s_or_b64 s[30:31], vcc, s[30:31]
	s_waitcnt vmcnt(0)
	v_mul_f32_e32 v10, v5, v9
	v_mul_f32_e32 v11, v3, v9
	v_fma_f32 v10, v3, v8, -v10
	v_fmac_f32_e32 v11, v5, v8
	global_store_dwordx2 v[6:7], v[10:11], off
	s_andn2_b64 exec, exec, s[30:31]
	s_cbranch_execnz .LBB19_3
.LBB19_4:
	s_or_b64 exec, exec, s[16:17]
	s_load_dwordx4 s[16:19], s[0:1], 0x68
	s_waitcnt lgkmcnt(0)
	s_ashr_i32 s7, s19, 31
	s_mov_b32 s6, s19
	s_or_b64 s[4:5], s[26:27], s[6:7]
	s_mov_b32 s4, 0
	s_cmp_lg_u64 s[4:5], 0
	s_cbranch_scc0 .LBB19_14
; %bb.5:
	s_add_u32 s4, s6, s7
	s_mov_b32 s34, s7
	s_mov_b32 s35, s7
	s_addc_u32 s5, s7, s7
	s_xor_b64 s[36:37], s[4:5], s[34:35]
	v_cvt_f32_u32_e32 v1, s36
	v_cvt_f32_u32_e32 v2, s37
	s_sub_u32 s3, 0, s36
	s_subb_u32 s4, 0, s37
	v_fmamk_f32 v1, v2, 0x4f800000, v1
	v_rcp_f32_e32 v1, v1
	s_nop 0
	v_mul_f32_e32 v1, 0x5f7ffffc, v1
	v_mul_f32_e32 v2, 0x2f800000, v1
	v_trunc_f32_e32 v2, v2
	v_fmamk_f32 v1, v2, 0xcf800000, v1
	v_cvt_u32_f32_e32 v2, v2
	v_cvt_u32_f32_e32 v1, v1
	v_readfirstlane_b32 s5, v2
	v_readfirstlane_b32 s19, v1
	s_mul_i32 s23, s3, s5
	s_mul_hi_u32 s38, s3, s19
	s_mul_i32 s33, s4, s19
	s_add_i32 s23, s38, s23
	s_add_i32 s23, s23, s33
	s_mul_i32 s39, s3, s19
	s_mul_hi_u32 s33, s19, s23
	s_mul_i32 s38, s19, s23
	s_mul_hi_u32 s19, s19, s39
	s_add_u32 s19, s19, s38
	s_addc_u32 s33, 0, s33
	s_mul_hi_u32 s40, s5, s39
	s_mul_i32 s39, s5, s39
	s_add_u32 s19, s19, s39
	s_mul_hi_u32 s38, s5, s23
	s_addc_u32 s19, s33, s40
	s_addc_u32 s33, s38, 0
	s_mul_i32 s23, s5, s23
	s_add_u32 s19, s19, s23
	s_addc_u32 s23, 0, s33
	v_add_co_u32_e32 v1, vcc, s19, v1
	s_cmp_lg_u64 vcc, 0
	s_addc_u32 s5, s5, s23
	v_readfirstlane_b32 s23, v1
	s_mul_i32 s19, s3, s5
	s_mul_hi_u32 s33, s3, s23
	s_add_i32 s19, s33, s19
	s_mul_i32 s4, s4, s23
	s_add_i32 s19, s19, s4
	s_mul_i32 s3, s3, s23
	s_mul_hi_u32 s33, s5, s3
	s_mul_i32 s38, s5, s3
	s_mul_i32 s40, s23, s19
	s_mul_hi_u32 s3, s23, s3
	s_mul_hi_u32 s39, s23, s19
	s_add_u32 s3, s3, s40
	s_addc_u32 s23, 0, s39
	s_add_u32 s3, s3, s38
	s_mul_hi_u32 s4, s5, s19
	s_addc_u32 s3, s23, s33
	s_addc_u32 s4, s4, 0
	s_mul_i32 s19, s5, s19
	s_add_u32 s3, s3, s19
	s_addc_u32 s4, 0, s4
	v_add_co_u32_e32 v1, vcc, s3, v1
	s_cmp_lg_u64 vcc, 0
	s_addc_u32 s3, s5, s4
	s_ashr_i32 s38, s27, 31
	s_add_u32 s4, s26, s38
	s_mov_b32 s39, s38
	s_addc_u32 s5, s27, s38
	s_xor_b64 s[40:41], s[4:5], s[38:39]
	v_readfirstlane_b32 s19, v1
	s_mul_i32 s5, s40, s3
	s_mul_hi_u32 s23, s40, s19
	s_mul_hi_u32 s4, s40, s3
	s_add_u32 s5, s23, s5
	s_addc_u32 s4, 0, s4
	s_mul_hi_u32 s33, s41, s19
	s_mul_i32 s19, s41, s19
	s_add_u32 s5, s5, s19
	s_mul_hi_u32 s23, s41, s3
	s_addc_u32 s4, s4, s33
	s_addc_u32 s5, s23, 0
	s_mul_i32 s3, s41, s3
	s_add_u32 s3, s4, s3
	s_addc_u32 s19, 0, s5
	s_mul_i32 s4, s36, s19
	s_mul_hi_u32 s5, s36, s3
	s_add_i32 s4, s5, s4
	s_mul_i32 s5, s37, s3
	s_add_i32 s23, s4, s5
	s_mul_i32 s5, s36, s3
	v_mov_b32_e32 v1, s5
	s_sub_i32 s4, s41, s23
	v_sub_co_u32_e32 v1, vcc, s40, v1
	s_cmp_lg_u64 vcc, 0
	s_subb_u32 s33, s4, s37
	v_subrev_co_u32_e64 v2, s[4:5], s36, v1
	s_cmp_lg_u64 s[4:5], 0
	s_subb_u32 s4, s33, 0
	s_cmp_ge_u32 s4, s37
	v_readfirstlane_b32 s33, v2
	s_cselect_b32 s5, -1, 0
	s_cmp_ge_u32 s33, s36
	s_cselect_b32 s33, -1, 0
	s_cmp_eq_u32 s4, s37
	s_cselect_b32 s4, s33, s5
	s_add_u32 s5, s3, 1
	s_addc_u32 s33, s19, 0
	s_add_u32 s40, s3, 2
	s_addc_u32 s42, s19, 0
	s_cmp_lg_u32 s4, 0
	s_cselect_b32 s4, s40, s5
	s_cselect_b32 s5, s42, s33
	s_cmp_lg_u64 vcc, 0
	s_subb_u32 s23, s41, s23
	s_cmp_ge_u32 s23, s37
	v_readfirstlane_b32 s40, v1
	s_cselect_b32 s33, -1, 0
	s_cmp_ge_u32 s40, s36
	s_cselect_b32 s36, -1, 0
	s_cmp_eq_u32 s23, s37
	s_cselect_b32 s23, s36, s33
	s_cmp_lg_u32 s23, 0
	s_cselect_b32 s5, s5, s19
	s_cselect_b32 s4, s4, s3
	s_xor_b64 s[34:35], s[38:39], s[34:35]
	s_xor_b64 s[4:5], s[4:5], s[34:35]
	s_sub_u32 s4, s4, s34
	s_subb_u32 s5, s5, s35
	s_cbranch_execnz .LBB19_7
.LBB19_6:
	v_cvt_f32_u32_e32 v1, s6
	s_sub_i32 s3, 0, s6
	s_mov_b32 s5, 0
	v_rcp_iflag_f32_e32 v1, v1
	s_nop 0
	v_mul_f32_e32 v1, 0x4f7ffffe, v1
	v_cvt_u32_f32_e32 v1, v1
	s_nop 0
	v_readfirstlane_b32 s4, v1
	s_mul_i32 s3, s3, s4
	s_mul_hi_u32 s3, s4, s3
	s_add_i32 s4, s4, s3
	s_mul_hi_u32 s3, s26, s4
	s_mul_i32 s19, s3, s6
	s_sub_i32 s19, s26, s19
	s_add_i32 s4, s3, 1
	s_sub_i32 s23, s19, s6
	s_cmp_ge_u32 s19, s6
	s_cselect_b32 s3, s4, s3
	s_cselect_b32 s19, s23, s19
	s_add_i32 s4, s3, 1
	s_cmp_ge_u32 s19, s6
	s_cselect_b32 s4, s4, s3
.LBB19_7:
	s_mul_i32 s3, s4, s7
	s_mul_hi_u32 s7, s4, s6
	s_add_i32 s3, s7, s3
	s_mul_i32 s7, s5, s6
	s_add_i32 s3, s3, s7
	s_mul_i32 s6, s4, s6
	s_sub_u32 s33, s26, s6
	s_subb_u32 s3, s27, s3
	v_cmp_gt_i32_e32 vcc, s22, v0
	s_mul_hi_u32 s35, s4, s16
	s_mul_i32 s36, s5, s16
	s_mul_i32 s26, s4, s16
	s_mul_hi_u32 s34, s33, s17
	s_mul_i32 s5, s3, s17
	s_mul_i32 s6, s33, s17
	s_and_saveexec_b64 s[30:31], vcc
	s_cbranch_execz .LBB19_10
; %bb.8:
	s_load_dword s3, s[0:1], 0x8c
	s_ashr_i32 s23, s22, 31
	s_ashr_i32 s7, s16, 31
	;; [unrolled: 1-line block ×4, first 2 shown]
	s_waitcnt lgkmcnt(0)
	s_and_b32 s3, s3, 0xffff
	s_lshl_b64 s[38:39], s[28:29], 2
	s_add_u32 s24, s24, s38
	v_lshlrev_b32_e32 v6, 2, v0
	v_mov_b32_e32 v7, 0
	s_addc_u32 s25, s25, s39
	v_lshl_add_u64 v[2:3], s[24:25], 0, v[6:7]
	s_lshl_b64 s[24:25], s[22:23], 2
	s_mul_i32 s9, s9, s2
	s_mul_hi_u32 s23, s8, s2
	s_add_i32 s9, s23, s9
	s_mul_i32 s8, s8, s2
	s_lshl_b32 s28, s3, 2
	s_lshl_b64 s[8:9], s[8:9], 2
	s_add_u32 s8, s12, s8
	s_mul_i32 s7, s4, s7
	s_addc_u32 s9, s13, s9
	s_add_i32 s7, s35, s7
	s_add_i32 s27, s7, s36
	s_mul_i32 s7, s33, s37
	s_add_i32 s7, s34, s7
	v_lshlrev_b32_e32 v4, 3, v0
	v_mov_b32_e32 v5, v7
	s_add_i32 s7, s7, s5
	v_lshl_add_u64 v[4:5], s[8:9], 0, v[4:5]
	s_lshl_b32 s8, s3, 3
	s_lshl_b64 s[12:13], s[26:27], 1
	s_lshl_b64 s[38:39], s[6:7], 1
	s_add_u32 s7, s12, s38
	s_addc_u32 s23, s13, s39
	s_lshl_b64 s[12:13], s[18:19], 1
	s_add_u32 s12, s20, s12
	s_addc_u32 s13, s21, s13
	s_add_u32 s12, s12, s7
	s_mov_b32 s29, 0
	s_addc_u32 s13, s13, s23
	v_lshl_add_u64 v[4:5], v[4:5], 0, 4
	s_mov_b32 s9, s29
	v_lshl_add_u64 v[6:7], s[12:13], 0, v[6:7]
	s_mov_b64 s[12:13], 0
	s_mov_b32 s7, 0x5040100
	v_mov_b32_e32 v1, v0
.LBB19_9:                               ; =>This Inner Loop Header: Depth=1
	v_lshl_add_u64 v[8:9], v[2:3], 0, s[24:25]
	global_load_dword v10, v[8:9], off
	global_load_dwordx2 v[12:13], v[4:5], off offset:-4
	global_load_dword v14, v[2:3], off
	v_add_u32_e32 v1, s3, v1
	v_cmp_le_i32_e32 vcc, s22, v1
	v_lshl_add_u64 v[2:3], v[2:3], 0, s[28:29]
	s_or_b64 s[12:13], vcc, s[12:13]
	s_waitcnt vmcnt(1)
	v_pk_mul_f32 v[8:9], v[10:11], v[12:13] op_sel_hi:[0,1]
	s_waitcnt vmcnt(0)
	v_pk_fma_f32 v[10:11], v[14:15], v[12:13], v[8:9] op_sel:[0,0,1] op_sel_hi:[1,1,0] neg_lo:[0,0,1] neg_hi:[0,0,1]
	v_pk_fma_f32 v[8:9], v[14:15], v[12:13], v[8:9] op_sel:[0,0,1] op_sel_hi:[0,1,0]
	v_mov_b32_e32 v11, v9
	v_perm_b32 v8, v9, v10, s7
	global_store_dwordx2 v[4:5], v[10:11], off offset:-4
	global_store_dword v[6:7], v8, off
	v_lshl_add_u64 v[4:5], v[4:5], 0, s[8:9]
	v_lshl_add_u64 v[6:7], v[6:7], 0, s[28:29]
	s_andn2_b64 exec, exec, s[12:13]
	s_cbranch_execnz .LBB19_9
.LBB19_10:
	s_or_b64 exec, exec, s[30:31]
	v_cmp_gt_i32_e32 vcc, s18, v0
	s_and_saveexec_b64 s[8:9], vcc
	s_cbranch_execz .LBB19_13
; %bb.11:
	s_mul_i32 s3, s2, s11
	s_mul_hi_u32 s7, s2, s10
	s_add_i32 s3, s7, s3
	s_mul_i32 s2, s2, s10
	s_lshl_b64 s[2:3], s[2:3], 2
	s_add_u32 s2, s14, s2
	s_addc_u32 s3, s15, s3
	s_ashr_i32 s7, s16, 31
	s_mul_i32 s4, s4, s7
	s_add_i32 s4, s35, s4
	s_add_i32 s27, s4, s36
	s_lshl_b64 s[8:9], s[26:27], 1
	s_add_u32 s4, s20, s8
	s_addc_u32 s8, s21, s9
	s_ashr_i32 s7, s17, 31
	s_mul_i32 s33, s33, s7
	s_load_dword s9, s[0:1], 0x8c
	s_add_i32 s7, s34, s33
	s_add_i32 s7, s7, s5
	s_lshl_b64 s[0:1], s[6:7], 1
	s_add_u32 s0, s4, s0
	s_addc_u32 s1, s8, s1
	s_waitcnt lgkmcnt(0)
	s_and_b32 s6, s9, 0xffff
	s_mov_b64 s[4:5], 0
.LBB19_12:                              ; =>This Inner Loop Header: Depth=1
	v_ashrrev_i32_e32 v1, 31, v0
	v_lshl_add_u64 v[2:3], v[0:1], 2, s[2:3]
	global_load_ushort v4, v[2:3], off
	v_lshl_add_u64 v[2:3], v[0:1], 1, s[0:1]
	v_add_u32_e32 v0, s6, v0
	v_cmp_le_i32_e32 vcc, s18, v0
	s_or_b64 s[4:5], vcc, s[4:5]
	s_waitcnt vmcnt(0)
	global_store_short v[2:3], v4, off
	s_andn2_b64 exec, exec, s[4:5]
	s_cbranch_execnz .LBB19_12
.LBB19_13:
	s_endpgm
.LBB19_14:
                                        ; implicit-def: $sgpr4_sgpr5
	s_branch .LBB19_6
	.section	.rodata,"a",@progbits
	.p2align	6, 0x0
	.amdhsa_kernel _ZN4vllm38concat_and_cache_mla_rope_fused_kernelIffLb0EttLNS_18Fp8KVCacheDataTypeE0EEEvPKlPT_S5_PKS4_PKT0_illlliPT3_S3_iiiiPKf
		.amdhsa_group_segment_fixed_size 0
		.amdhsa_private_segment_fixed_size 0
		.amdhsa_kernarg_size 384
		.amdhsa_user_sgpr_count 2
		.amdhsa_user_sgpr_dispatch_ptr 0
		.amdhsa_user_sgpr_queue_ptr 0
		.amdhsa_user_sgpr_kernarg_segment_ptr 1
		.amdhsa_user_sgpr_dispatch_id 0
		.amdhsa_user_sgpr_kernarg_preload_length 0
		.amdhsa_user_sgpr_kernarg_preload_offset 0
		.amdhsa_user_sgpr_private_segment_size 0
		.amdhsa_uses_dynamic_stack 0
		.amdhsa_enable_private_segment 0
		.amdhsa_system_sgpr_workgroup_id_x 1
		.amdhsa_system_sgpr_workgroup_id_y 0
		.amdhsa_system_sgpr_workgroup_id_z 0
		.amdhsa_system_sgpr_workgroup_info 0
		.amdhsa_system_vgpr_workitem_id 0
		.amdhsa_next_free_vgpr 16
		.amdhsa_next_free_sgpr 43
		.amdhsa_accum_offset 16
		.amdhsa_reserve_vcc 1
		.amdhsa_float_round_mode_32 0
		.amdhsa_float_round_mode_16_64 0
		.amdhsa_float_denorm_mode_32 3
		.amdhsa_float_denorm_mode_16_64 3
		.amdhsa_dx10_clamp 1
		.amdhsa_ieee_mode 1
		.amdhsa_fp16_overflow 0
		.amdhsa_tg_split 0
		.amdhsa_exception_fp_ieee_invalid_op 0
		.amdhsa_exception_fp_denorm_src 0
		.amdhsa_exception_fp_ieee_div_zero 0
		.amdhsa_exception_fp_ieee_overflow 0
		.amdhsa_exception_fp_ieee_underflow 0
		.amdhsa_exception_fp_ieee_inexact 0
		.amdhsa_exception_int_div_zero 0
	.end_amdhsa_kernel
	.section	.text._ZN4vllm38concat_and_cache_mla_rope_fused_kernelIffLb0EttLNS_18Fp8KVCacheDataTypeE0EEEvPKlPT_S5_PKS4_PKT0_illlliPT3_S3_iiiiPKf,"axG",@progbits,_ZN4vllm38concat_and_cache_mla_rope_fused_kernelIffLb0EttLNS_18Fp8KVCacheDataTypeE0EEEvPKlPT_S5_PKS4_PKT0_illlliPT3_S3_iiiiPKf,comdat
.Lfunc_end19:
	.size	_ZN4vllm38concat_and_cache_mla_rope_fused_kernelIffLb0EttLNS_18Fp8KVCacheDataTypeE0EEEvPKlPT_S5_PKS4_PKT0_illlliPT3_S3_iiiiPKf, .Lfunc_end19-_ZN4vllm38concat_and_cache_mla_rope_fused_kernelIffLb0EttLNS_18Fp8KVCacheDataTypeE0EEEvPKlPT_S5_PKS4_PKT0_illlliPT3_S3_iiiiPKf
                                        ; -- End function
	.section	.AMDGPU.csdata,"",@progbits
; Kernel info:
; codeLenInByte = 1892
; NumSgprs: 49
; NumVgprs: 16
; NumAgprs: 0
; TotalNumVgprs: 16
; ScratchSize: 0
; MemoryBound: 0
; FloatMode: 240
; IeeeMode: 1
; LDSByteSize: 0 bytes/workgroup (compile time only)
; SGPRBlocks: 6
; VGPRBlocks: 1
; NumSGPRsForWavesPerEU: 49
; NumVGPRsForWavesPerEU: 16
; AccumOffset: 16
; Occupancy: 8
; WaveLimiterHint : 1
; COMPUTE_PGM_RSRC2:SCRATCH_EN: 0
; COMPUTE_PGM_RSRC2:USER_SGPR: 2
; COMPUTE_PGM_RSRC2:TRAP_HANDLER: 0
; COMPUTE_PGM_RSRC2:TGID_X_EN: 1
; COMPUTE_PGM_RSRC2:TGID_Y_EN: 0
; COMPUTE_PGM_RSRC2:TGID_Z_EN: 0
; COMPUTE_PGM_RSRC2:TIDIG_COMP_CNT: 0
; COMPUTE_PGM_RSRC3_GFX90A:ACCUM_OFFSET: 3
; COMPUTE_PGM_RSRC3_GFX90A:TG_SPLIT: 0
	.section	.text._ZN4vllm38concat_and_cache_mla_rope_fused_kernelIfN3c104HalfELb1EttLNS_18Fp8KVCacheDataTypeE0EEEvPKlPT_S7_PKS6_PKT0_illlliPT3_S5_iiiiPKf,"axG",@progbits,_ZN4vllm38concat_and_cache_mla_rope_fused_kernelIfN3c104HalfELb1EttLNS_18Fp8KVCacheDataTypeE0EEEvPKlPT_S7_PKS6_PKT0_illlliPT3_S5_iiiiPKf,comdat
	.protected	_ZN4vllm38concat_and_cache_mla_rope_fused_kernelIfN3c104HalfELb1EttLNS_18Fp8KVCacheDataTypeE0EEEvPKlPT_S7_PKS6_PKT0_illlliPT3_S5_iiiiPKf ; -- Begin function _ZN4vllm38concat_and_cache_mla_rope_fused_kernelIfN3c104HalfELb1EttLNS_18Fp8KVCacheDataTypeE0EEEvPKlPT_S7_PKS6_PKT0_illlliPT3_S5_iiiiPKf
	.globl	_ZN4vllm38concat_and_cache_mla_rope_fused_kernelIfN3c104HalfELb1EttLNS_18Fp8KVCacheDataTypeE0EEEvPKlPT_S7_PKS6_PKT0_illlliPT3_S5_iiiiPKf
	.p2align	8
	.type	_ZN4vllm38concat_and_cache_mla_rope_fused_kernelIfN3c104HalfELb1EttLNS_18Fp8KVCacheDataTypeE0EEEvPKlPT_S7_PKS6_PKT0_illlliPT3_S5_iiiiPKf,@function
_ZN4vllm38concat_and_cache_mla_rope_fused_kernelIfN3c104HalfELb1EttLNS_18Fp8KVCacheDataTypeE0EEEvPKlPT_S7_PKS6_PKT0_illlliPT3_S5_iiiiPKf: ; @_ZN4vllm38concat_and_cache_mla_rope_fused_kernelIfN3c104HalfELb1EttLNS_18Fp8KVCacheDataTypeE0EEEvPKlPT_S7_PKS6_PKT0_illlliPT3_S5_iiiiPKf
; %bb.0:
	s_load_dwordx2 s[6:7], s[0:1], 0x60
	s_mov_b32 s3, 0
	s_lshl_b64 s[4:5], s[2:3], 3
	s_waitcnt lgkmcnt(0)
	s_add_u32 s6, s6, s4
	s_addc_u32 s7, s7, s5
	s_load_dwordx2 s[30:31], s[6:7], 0x0
	s_waitcnt lgkmcnt(0)
	v_cmp_lt_i64_e64 s[6:7], s[30:31], 0
	s_and_b64 vcc, exec, s[6:7]
	s_cbranch_vccnz .LBB20_13
; %bb.1:
	s_load_dword s3, s[0:1], 0x28
	s_load_dwordx2 s[6:7], s[0:1], 0x0
	s_load_dwordx4 s[12:15], s[0:1], 0x10
	s_waitcnt lgkmcnt(0)
	s_ashr_i32 s22, s3, 31
	s_add_u32 s16, s6, s4
	s_addc_u32 s17, s7, s5
	s_load_dwordx2 s[18:19], s[16:17], 0x0
	s_load_dwordx2 s[26:27], s[0:1], 0x20
	s_load_dwordx8 s[4:11], s[0:1], 0x30
	s_load_dwordx2 s[20:21], s[0:1], 0x58
	s_load_dword s25, s[0:1], 0x50
	s_waitcnt lgkmcnt(0)
	s_mul_i32 s16, s18, s22
	s_mul_hi_u32 s17, s18, s3
	s_mul_i32 s19, s19, s3
	s_add_i32 s16, s17, s16
	s_add_i32 s17, s16, s19
	s_mul_i32 s16, s18, s3
	s_lshl_b64 s[28:29], s[16:17], 1
	s_add_u32 s22, s26, s28
	s_addc_u32 s23, s27, s29
	s_lshr_b32 s16, s3, 31
	s_add_i32 s3, s3, s16
	s_ashr_i32 s24, s3, 1
	s_mul_i32 s3, s24, s25
	v_cmp_gt_i32_e32 vcc, s3, v0
	s_and_saveexec_b64 s[16:17], vcc
	s_cbranch_execz .LBB20_4
; %bb.2:
	s_load_dwordx2 s[18:19], s[0:1], 0x8
	s_load_dword s34, s[0:1], 0x8c
	s_mul_i32 s5, s2, s5
	s_mul_hi_u32 s33, s2, s4
	s_add_i32 s5, s33, s5
	s_mul_i32 s4, s2, s4
	s_ashr_i32 s25, s24, 31
	s_lshl_b64 s[4:5], s[4:5], 2
	s_waitcnt lgkmcnt(0)
	s_add_u32 s4, s18, s4
	s_addc_u32 s5, s19, s5
	s_abs_i32 s33, s24
	v_cvt_f32_u32_e32 v1, s33
	s_sub_i32 s36, 0, s33
	s_mov_b64 s[18:19], 0
	s_and_b32 s34, s34, 0xffff
	v_rcp_iflag_f32_e32 v1, v1
	s_sub_i32 s35, 0, s24
	v_mul_f32_e32 v1, 0x4f7ffffe, v1
	v_cvt_u32_f32_e32 v1, v1
	v_mul_lo_u32 v2, s36, v1
	v_mul_hi_u32 v2, v1, v2
	v_add_u32_e32 v1, v1, v2
	v_mov_b32_e32 v2, v0
.LBB20_3:                               ; =>This Inner Loop Header: Depth=1
	v_sub_u32_e32 v4, 0, v2
	v_max_i32_e32 v4, v2, v4
	v_mul_hi_u32 v5, v4, v1
	v_mul_lo_u32 v6, v5, s33
	v_sub_u32_e32 v4, v4, v6
	v_add_u32_e32 v7, 1, v5
	v_cmp_le_u32_e32 vcc, s33, v4
	v_subrev_u32_e32 v6, s33, v4
	v_ashrrev_i32_e32 v3, 31, v2
	v_cndmask_b32_e32 v5, v5, v7, vcc
	v_cndmask_b32_e32 v4, v4, v6, vcc
	v_add_u32_e32 v6, 1, v5
	v_cmp_le_u32_e32 vcc, s33, v4
	v_xor_b32_e32 v3, s25, v3
	s_nop 0
	v_cndmask_b32_e32 v4, v5, v6, vcc
	v_xor_b32_e32 v4, v4, v3
	v_sub_u32_e32 v3, v4, v3
	v_mad_u64_u32 v[4:5], s[36:37], s35, v3, v[2:3]
	v_ashrrev_i32_e32 v8, 31, v3
	v_ashrrev_i32_e32 v5, 31, v4
	v_mul_lo_u32 v10, v3, s7
	v_mad_u64_u32 v[6:7], s[36:37], v3, s6, 0
	v_mul_lo_u32 v3, v8, s6
	v_lshl_add_u64 v[8:9], v[4:5], 1, s[22:23]
	v_add3_u32 v7, v7, v10, v3
	v_lshl_add_u64 v[10:11], s[24:25], 1, v[8:9]
	global_load_ushort v3, v[8:9], off
	global_load_ushort v12, v[10:11], off
	v_lshl_add_u64 v[6:7], v[6:7], 2, s[4:5]
	v_lshl_add_u64 v[4:5], v[4:5], 2, v[6:7]
	;; [unrolled: 1-line block ×3, first 2 shown]
	global_load_dword v8, v[4:5], off
	global_load_dword v9, v[6:7], off
	v_add_u32_e32 v2, s34, v2
	v_cmp_le_i32_e32 vcc, s3, v2
	s_or_b64 s[18:19], vcc, s[18:19]
	s_waitcnt vmcnt(3)
	v_cvt_f32_f16_e32 v10, v3
	s_waitcnt vmcnt(2)
	v_cvt_f32_f16_e32 v11, v12
	s_waitcnt vmcnt(0)
	v_mul_f32_e32 v10, v9, v10
	v_mul_f32_e32 v9, v9, v11
	v_fma_mix_f32 v3, v8, v3, -v9 op_sel_hi:[0,1,0]
	v_fma_mix_f32 v10, v8, v12, v10 op_sel_hi:[0,1,0]
	global_store_dword v[4:5], v3, off
	global_store_dword v[6:7], v10, off
	s_andn2_b64 exec, exec, s[18:19]
	s_cbranch_execnz .LBB20_3
.LBB20_4:
	s_or_b64 exec, exec, s[16:17]
	s_load_dwordx4 s[16:19], s[0:1], 0x68
	s_waitcnt lgkmcnt(0)
	s_ashr_i32 s7, s19, 31
	s_mov_b32 s6, s19
	s_or_b64 s[4:5], s[30:31], s[6:7]
	s_mov_b32 s4, 0
	s_cmp_lg_u64 s[4:5], 0
	s_cbranch_scc0 .LBB20_14
; %bb.5:
	s_add_u32 s4, s6, s7
	s_mov_b32 s36, s7
	s_mov_b32 s37, s7
	s_addc_u32 s5, s7, s7
	s_xor_b64 s[38:39], s[4:5], s[36:37]
	v_cvt_f32_u32_e32 v1, s38
	v_cvt_f32_u32_e32 v2, s39
	s_sub_u32 s3, 0, s38
	s_subb_u32 s4, 0, s39
	v_fmamk_f32 v1, v2, 0x4f800000, v1
	v_rcp_f32_e32 v1, v1
	s_nop 0
	v_mul_f32_e32 v1, 0x5f7ffffc, v1
	v_mul_f32_e32 v2, 0x2f800000, v1
	v_trunc_f32_e32 v2, v2
	v_fmamk_f32 v1, v2, 0xcf800000, v1
	v_cvt_u32_f32_e32 v2, v2
	v_cvt_u32_f32_e32 v1, v1
	v_readfirstlane_b32 s5, v2
	v_readfirstlane_b32 s19, v1
	s_mul_i32 s25, s3, s5
	s_mul_hi_u32 s40, s3, s19
	s_mul_i32 s33, s4, s19
	s_add_i32 s25, s40, s25
	s_add_i32 s25, s25, s33
	s_mul_i32 s41, s3, s19
	s_mul_hi_u32 s33, s19, s25
	s_mul_i32 s40, s19, s25
	s_mul_hi_u32 s19, s19, s41
	s_add_u32 s19, s19, s40
	s_addc_u32 s33, 0, s33
	s_mul_hi_u32 s42, s5, s41
	s_mul_i32 s41, s5, s41
	s_add_u32 s19, s19, s41
	s_mul_hi_u32 s40, s5, s25
	s_addc_u32 s19, s33, s42
	s_addc_u32 s33, s40, 0
	s_mul_i32 s25, s5, s25
	s_add_u32 s19, s19, s25
	s_addc_u32 s25, 0, s33
	v_add_co_u32_e32 v1, vcc, s19, v1
	s_cmp_lg_u64 vcc, 0
	s_addc_u32 s5, s5, s25
	v_readfirstlane_b32 s25, v1
	s_mul_i32 s19, s3, s5
	s_mul_hi_u32 s33, s3, s25
	s_add_i32 s19, s33, s19
	s_mul_i32 s4, s4, s25
	s_add_i32 s19, s19, s4
	s_mul_i32 s3, s3, s25
	s_mul_hi_u32 s33, s5, s3
	s_mul_i32 s40, s5, s3
	s_mul_i32 s42, s25, s19
	s_mul_hi_u32 s3, s25, s3
	s_mul_hi_u32 s41, s25, s19
	s_add_u32 s3, s3, s42
	s_addc_u32 s25, 0, s41
	s_add_u32 s3, s3, s40
	s_mul_hi_u32 s4, s5, s19
	s_addc_u32 s3, s25, s33
	s_addc_u32 s4, s4, 0
	s_mul_i32 s19, s5, s19
	s_add_u32 s3, s3, s19
	s_addc_u32 s4, 0, s4
	v_add_co_u32_e32 v1, vcc, s3, v1
	s_cmp_lg_u64 vcc, 0
	s_addc_u32 s3, s5, s4
	s_ashr_i32 s40, s31, 31
	s_add_u32 s4, s30, s40
	s_mov_b32 s41, s40
	s_addc_u32 s5, s31, s40
	s_xor_b64 s[42:43], s[4:5], s[40:41]
	v_readfirstlane_b32 s19, v1
	s_mul_i32 s5, s42, s3
	s_mul_hi_u32 s25, s42, s19
	s_mul_hi_u32 s4, s42, s3
	s_add_u32 s5, s25, s5
	s_addc_u32 s4, 0, s4
	s_mul_hi_u32 s33, s43, s19
	s_mul_i32 s19, s43, s19
	s_add_u32 s5, s5, s19
	s_mul_hi_u32 s25, s43, s3
	s_addc_u32 s4, s4, s33
	s_addc_u32 s5, s25, 0
	s_mul_i32 s3, s43, s3
	s_add_u32 s3, s4, s3
	s_addc_u32 s19, 0, s5
	s_mul_i32 s4, s38, s19
	s_mul_hi_u32 s5, s38, s3
	s_add_i32 s4, s5, s4
	s_mul_i32 s5, s39, s3
	s_add_i32 s25, s4, s5
	s_mul_i32 s5, s38, s3
	v_mov_b32_e32 v1, s5
	s_sub_i32 s4, s43, s25
	v_sub_co_u32_e32 v1, vcc, s42, v1
	s_cmp_lg_u64 vcc, 0
	s_subb_u32 s33, s4, s39
	v_subrev_co_u32_e64 v2, s[4:5], s38, v1
	s_cmp_lg_u64 s[4:5], 0
	s_subb_u32 s4, s33, 0
	s_cmp_ge_u32 s4, s39
	v_readfirstlane_b32 s33, v2
	s_cselect_b32 s5, -1, 0
	s_cmp_ge_u32 s33, s38
	s_cselect_b32 s33, -1, 0
	s_cmp_eq_u32 s4, s39
	s_cselect_b32 s4, s33, s5
	s_add_u32 s5, s3, 1
	s_addc_u32 s33, s19, 0
	s_add_u32 s42, s3, 2
	s_addc_u32 s44, s19, 0
	s_cmp_lg_u32 s4, 0
	s_cselect_b32 s4, s42, s5
	s_cselect_b32 s5, s44, s33
	s_cmp_lg_u64 vcc, 0
	s_subb_u32 s25, s43, s25
	s_cmp_ge_u32 s25, s39
	v_readfirstlane_b32 s42, v1
	s_cselect_b32 s33, -1, 0
	s_cmp_ge_u32 s42, s38
	s_cselect_b32 s38, -1, 0
	s_cmp_eq_u32 s25, s39
	s_cselect_b32 s25, s38, s33
	s_cmp_lg_u32 s25, 0
	s_cselect_b32 s5, s5, s19
	s_cselect_b32 s4, s4, s3
	s_xor_b64 s[36:37], s[40:41], s[36:37]
	s_xor_b64 s[4:5], s[4:5], s[36:37]
	s_sub_u32 s4, s4, s36
	s_subb_u32 s5, s5, s37
	s_cbranch_execnz .LBB20_7
.LBB20_6:
	v_cvt_f32_u32_e32 v1, s6
	s_sub_i32 s3, 0, s6
	s_mov_b32 s5, 0
	v_rcp_iflag_f32_e32 v1, v1
	s_nop 0
	v_mul_f32_e32 v1, 0x4f7ffffe, v1
	v_cvt_u32_f32_e32 v1, v1
	s_nop 0
	v_readfirstlane_b32 s4, v1
	s_mul_i32 s3, s3, s4
	s_mul_hi_u32 s3, s4, s3
	s_add_i32 s4, s4, s3
	s_mul_hi_u32 s3, s30, s4
	s_mul_i32 s19, s3, s6
	s_sub_i32 s19, s30, s19
	s_add_i32 s4, s3, 1
	s_sub_i32 s25, s19, s6
	s_cmp_ge_u32 s19, s6
	s_cselect_b32 s3, s4, s3
	s_cselect_b32 s19, s25, s19
	s_add_i32 s4, s3, 1
	s_cmp_ge_u32 s19, s6
	s_cselect_b32 s4, s4, s3
.LBB20_7:
	s_mul_i32 s3, s4, s7
	s_mul_hi_u32 s7, s4, s6
	s_add_i32 s3, s7, s3
	s_mul_i32 s7, s5, s6
	s_add_i32 s3, s3, s7
	s_mul_i32 s6, s4, s6
	s_sub_u32 s33, s30, s6
	s_subb_u32 s3, s31, s3
	v_cmp_gt_i32_e32 vcc, s24, v0
	s_mul_hi_u32 s41, s4, s16
	s_mul_i32 s42, s5, s16
	s_mul_i32 s30, s4, s16
	s_mul_hi_u32 s40, s33, s17
	s_mul_i32 s5, s3, s17
	s_mul_i32 s6, s33, s17
	s_and_saveexec_b64 s[34:35], vcc
	s_cbranch_execz .LBB20_10
; %bb.8:
	s_ashr_i32 s3, s16, 31
	s_mul_i32 s3, s4, s3
	s_add_i32 s3, s41, s3
	s_add_i32 s31, s3, s42
	s_ashr_i32 s3, s17, 31
	s_mul_i32 s3, s33, s3
	s_add_i32 s3, s40, s3
	s_add_i32 s7, s3, s5
	s_ashr_i32 s25, s24, 31
	s_lshl_b64 s[36:37], s[30:31], 1
	s_lshl_b64 s[38:39], s[6:7], 1
	s_add_u32 s31, s36, s38
	s_addc_u32 s43, s37, s39
	s_load_dword s38, s[0:1], 0x8c
	s_add_u32 s3, s31, s20
	s_addc_u32 s7, s43, s21
	s_ashr_i32 s19, s18, 31
	s_lshl_b64 s[44:45], s[18:19], 1
	s_add_u32 s36, s3, s44
	s_addc_u32 s37, s7, s45
	s_waitcnt lgkmcnt(0)
	s_and_b32 s3, s38, 0xffff
	s_lshl_b32 s7, s3, 1
	s_lshl_b64 s[46:47], s[24:25], 1
	s_add_u32 s19, s28, s46
	s_addc_u32 s28, s29, s47
	s_add_u32 s26, s26, s19
	s_mul_i32 s9, s9, s2
	s_mul_hi_u32 s19, s8, s2
	s_addc_u32 s27, s27, s28
	s_add_i32 s9, s19, s9
	s_mul_i32 s8, s8, s2
	s_lshl_b64 s[28:29], s[24:25], 2
	s_lshl_b64 s[8:9], s[8:9], 2
	v_mov_b32_e32 v3, 0
	s_add_u32 s8, s12, s8
	v_lshlrev_b32_e32 v4, 2, v0
	v_mov_b32_e32 v5, v3
	s_addc_u32 s9, s13, s9
	s_lshl_b32 s38, s3, 2
	v_lshl_add_u64 v[4:5], s[8:9], 0, v[4:5]
	s_add_u32 s8, s31, s46
	s_addc_u32 s9, s43, s47
	s_add_u32 s8, s8, s44
	s_addc_u32 s9, s9, s45
	s_add_u32 s8, s20, s8
	v_lshlrev_b32_e32 v2, 1, v0
	s_mov_b32 s39, 0
	s_addc_u32 s9, s21, s9
	s_mov_b64 s[12:13], 0
	v_mov_b32_e32 v1, v0
.LBB20_9:                               ; =>This Inner Loop Header: Depth=1
	v_lshl_add_u64 v[6:7], s[22:23], 0, v[2:3]
	v_lshl_add_u64 v[8:9], s[26:27], 0, v[2:3]
	;; [unrolled: 1-line block ×3, first 2 shown]
	global_load_dword v12, v[4:5], off
	global_load_ushort v13, v[8:9], off
	global_load_ushort v14, v[6:7], off
	global_load_dword v15, v[10:11], off
	s_add_u32 s22, s22, s7
	s_addc_u32 s23, s23, 0
	s_add_u32 s26, s26, s7
	s_addc_u32 s27, s27, 0
	v_lshl_add_u64 v[8:9], s[8:9], 0, v[2:3]
	s_add_u32 s8, s8, s7
	s_addc_u32 s9, s9, 0
	v_lshl_add_u64 v[6:7], s[36:37], 0, v[2:3]
	v_add_u32_e32 v1, s3, v1
	s_add_u32 s36, s36, s7
	v_cmp_le_i32_e32 vcc, s24, v1
	s_addc_u32 s37, s37, 0
	s_or_b64 s[12:13], vcc, s[12:13]
	s_waitcnt vmcnt(2)
	v_cvt_f32_f16_e32 v16, v13
	s_waitcnt vmcnt(1)
	v_cvt_f32_f16_e32 v17, v14
	s_waitcnt vmcnt(0)
	v_mul_f32_e32 v16, v15, v16
	v_mul_f32_e32 v15, v15, v17
	v_fma_mix_f32 v14, v12, v14, -v16 op_sel_hi:[0,1,0]
	v_fma_mix_f32 v12, v12, v13, v15 op_sel_hi:[0,1,0]
	global_store_dword v[4:5], v14, off
	global_store_dword v[10:11], v12, off
	global_store_short v[6:7], v14, off
	global_store_short v[8:9], v12, off
	v_lshl_add_u64 v[4:5], v[4:5], 0, s[38:39]
	s_andn2_b64 exec, exec, s[12:13]
	s_cbranch_execnz .LBB20_9
.LBB20_10:
	s_or_b64 exec, exec, s[34:35]
	v_cmp_gt_i32_e32 vcc, s18, v0
	s_and_saveexec_b64 s[8:9], vcc
	s_cbranch_execz .LBB20_13
; %bb.11:
	s_mul_i32 s3, s2, s11
	s_mul_hi_u32 s7, s2, s10
	s_add_i32 s3, s7, s3
	s_mul_i32 s2, s2, s10
	s_lshl_b64 s[2:3], s[2:3], 2
	s_add_u32 s2, s14, s2
	s_addc_u32 s3, s15, s3
	s_ashr_i32 s7, s16, 31
	s_mul_i32 s4, s4, s7
	s_add_i32 s4, s41, s4
	s_add_i32 s31, s4, s42
	s_lshl_b64 s[8:9], s[30:31], 1
	s_add_u32 s4, s20, s8
	s_addc_u32 s8, s21, s9
	s_ashr_i32 s7, s17, 31
	s_mul_i32 s33, s33, s7
	s_load_dword s9, s[0:1], 0x8c
	s_add_i32 s7, s40, s33
	s_add_i32 s7, s7, s5
	s_lshl_b64 s[0:1], s[6:7], 1
	s_add_u32 s0, s4, s0
	s_addc_u32 s1, s8, s1
	s_waitcnt lgkmcnt(0)
	s_and_b32 s6, s9, 0xffff
	s_mov_b64 s[4:5], 0
.LBB20_12:                              ; =>This Inner Loop Header: Depth=1
	v_ashrrev_i32_e32 v1, 31, v0
	v_lshl_add_u64 v[2:3], v[0:1], 2, s[2:3]
	global_load_ushort v4, v[2:3], off
	v_lshl_add_u64 v[2:3], v[0:1], 1, s[0:1]
	v_add_u32_e32 v0, s6, v0
	v_cmp_le_i32_e32 vcc, s18, v0
	s_or_b64 s[4:5], vcc, s[4:5]
	s_waitcnt vmcnt(0)
	global_store_short v[2:3], v4, off
	s_andn2_b64 exec, exec, s[4:5]
	s_cbranch_execnz .LBB20_12
.LBB20_13:
	s_endpgm
.LBB20_14:
                                        ; implicit-def: $sgpr4_sgpr5
	s_branch .LBB20_6
	.section	.rodata,"a",@progbits
	.p2align	6, 0x0
	.amdhsa_kernel _ZN4vllm38concat_and_cache_mla_rope_fused_kernelIfN3c104HalfELb1EttLNS_18Fp8KVCacheDataTypeE0EEEvPKlPT_S7_PKS6_PKT0_illlliPT3_S5_iiiiPKf
		.amdhsa_group_segment_fixed_size 0
		.amdhsa_private_segment_fixed_size 0
		.amdhsa_kernarg_size 384
		.amdhsa_user_sgpr_count 2
		.amdhsa_user_sgpr_dispatch_ptr 0
		.amdhsa_user_sgpr_queue_ptr 0
		.amdhsa_user_sgpr_kernarg_segment_ptr 1
		.amdhsa_user_sgpr_dispatch_id 0
		.amdhsa_user_sgpr_kernarg_preload_length 0
		.amdhsa_user_sgpr_kernarg_preload_offset 0
		.amdhsa_user_sgpr_private_segment_size 0
		.amdhsa_uses_dynamic_stack 0
		.amdhsa_enable_private_segment 0
		.amdhsa_system_sgpr_workgroup_id_x 1
		.amdhsa_system_sgpr_workgroup_id_y 0
		.amdhsa_system_sgpr_workgroup_id_z 0
		.amdhsa_system_sgpr_workgroup_info 0
		.amdhsa_system_vgpr_workitem_id 0
		.amdhsa_next_free_vgpr 18
		.amdhsa_next_free_sgpr 48
		.amdhsa_accum_offset 20
		.amdhsa_reserve_vcc 1
		.amdhsa_float_round_mode_32 0
		.amdhsa_float_round_mode_16_64 0
		.amdhsa_float_denorm_mode_32 3
		.amdhsa_float_denorm_mode_16_64 3
		.amdhsa_dx10_clamp 1
		.amdhsa_ieee_mode 1
		.amdhsa_fp16_overflow 0
		.amdhsa_tg_split 0
		.amdhsa_exception_fp_ieee_invalid_op 0
		.amdhsa_exception_fp_denorm_src 0
		.amdhsa_exception_fp_ieee_div_zero 0
		.amdhsa_exception_fp_ieee_overflow 0
		.amdhsa_exception_fp_ieee_underflow 0
		.amdhsa_exception_fp_ieee_inexact 0
		.amdhsa_exception_int_div_zero 0
	.end_amdhsa_kernel
	.section	.text._ZN4vllm38concat_and_cache_mla_rope_fused_kernelIfN3c104HalfELb1EttLNS_18Fp8KVCacheDataTypeE0EEEvPKlPT_S7_PKS6_PKT0_illlliPT3_S5_iiiiPKf,"axG",@progbits,_ZN4vllm38concat_and_cache_mla_rope_fused_kernelIfN3c104HalfELb1EttLNS_18Fp8KVCacheDataTypeE0EEEvPKlPT_S7_PKS6_PKT0_illlliPT3_S5_iiiiPKf,comdat
.Lfunc_end20:
	.size	_ZN4vllm38concat_and_cache_mla_rope_fused_kernelIfN3c104HalfELb1EttLNS_18Fp8KVCacheDataTypeE0EEEvPKlPT_S7_PKS6_PKT0_illlliPT3_S5_iiiiPKf, .Lfunc_end20-_ZN4vllm38concat_and_cache_mla_rope_fused_kernelIfN3c104HalfELb1EttLNS_18Fp8KVCacheDataTypeE0EEEvPKlPT_S7_PKS6_PKT0_illlliPT3_S5_iiiiPKf
                                        ; -- End function
	.section	.AMDGPU.csdata,"",@progbits
; Kernel info:
; codeLenInByte = 1972
; NumSgprs: 54
; NumVgprs: 18
; NumAgprs: 0
; TotalNumVgprs: 18
; ScratchSize: 0
; MemoryBound: 0
; FloatMode: 240
; IeeeMode: 1
; LDSByteSize: 0 bytes/workgroup (compile time only)
; SGPRBlocks: 6
; VGPRBlocks: 2
; NumSGPRsForWavesPerEU: 54
; NumVGPRsForWavesPerEU: 18
; AccumOffset: 20
; Occupancy: 8
; WaveLimiterHint : 1
; COMPUTE_PGM_RSRC2:SCRATCH_EN: 0
; COMPUTE_PGM_RSRC2:USER_SGPR: 2
; COMPUTE_PGM_RSRC2:TRAP_HANDLER: 0
; COMPUTE_PGM_RSRC2:TGID_X_EN: 1
; COMPUTE_PGM_RSRC2:TGID_Y_EN: 0
; COMPUTE_PGM_RSRC2:TGID_Z_EN: 0
; COMPUTE_PGM_RSRC2:TIDIG_COMP_CNT: 0
; COMPUTE_PGM_RSRC3_GFX90A:ACCUM_OFFSET: 4
; COMPUTE_PGM_RSRC3_GFX90A:TG_SPLIT: 0
	.section	.text._ZN4vllm38concat_and_cache_mla_rope_fused_kernelIfN3c104HalfELb0EttLNS_18Fp8KVCacheDataTypeE0EEEvPKlPT_S7_PKS6_PKT0_illlliPT3_S5_iiiiPKf,"axG",@progbits,_ZN4vllm38concat_and_cache_mla_rope_fused_kernelIfN3c104HalfELb0EttLNS_18Fp8KVCacheDataTypeE0EEEvPKlPT_S7_PKS6_PKT0_illlliPT3_S5_iiiiPKf,comdat
	.protected	_ZN4vllm38concat_and_cache_mla_rope_fused_kernelIfN3c104HalfELb0EttLNS_18Fp8KVCacheDataTypeE0EEEvPKlPT_S7_PKS6_PKT0_illlliPT3_S5_iiiiPKf ; -- Begin function _ZN4vllm38concat_and_cache_mla_rope_fused_kernelIfN3c104HalfELb0EttLNS_18Fp8KVCacheDataTypeE0EEEvPKlPT_S7_PKS6_PKT0_illlliPT3_S5_iiiiPKf
	.globl	_ZN4vllm38concat_and_cache_mla_rope_fused_kernelIfN3c104HalfELb0EttLNS_18Fp8KVCacheDataTypeE0EEEvPKlPT_S7_PKS6_PKT0_illlliPT3_S5_iiiiPKf
	.p2align	8
	.type	_ZN4vllm38concat_and_cache_mla_rope_fused_kernelIfN3c104HalfELb0EttLNS_18Fp8KVCacheDataTypeE0EEEvPKlPT_S7_PKS6_PKT0_illlliPT3_S5_iiiiPKf,@function
_ZN4vllm38concat_and_cache_mla_rope_fused_kernelIfN3c104HalfELb0EttLNS_18Fp8KVCacheDataTypeE0EEEvPKlPT_S7_PKS6_PKT0_illlliPT3_S5_iiiiPKf: ; @_ZN4vllm38concat_and_cache_mla_rope_fused_kernelIfN3c104HalfELb0EttLNS_18Fp8KVCacheDataTypeE0EEEvPKlPT_S7_PKS6_PKT0_illlliPT3_S5_iiiiPKf
; %bb.0:
	s_load_dwordx2 s[6:7], s[0:1], 0x60
	s_mov_b32 s3, 0
	s_lshl_b64 s[4:5], s[2:3], 3
	s_waitcnt lgkmcnt(0)
	s_add_u32 s6, s6, s4
	s_addc_u32 s7, s7, s5
	s_load_dwordx2 s[26:27], s[6:7], 0x0
	s_waitcnt lgkmcnt(0)
	v_cmp_lt_i64_e64 s[6:7], s[26:27], 0
	s_and_b64 vcc, exec, s[6:7]
	s_cbranch_vccnz .LBB21_13
; %bb.1:
	s_load_dword s3, s[0:1], 0x28
	s_load_dwordx2 s[6:7], s[0:1], 0x0
	s_load_dwordx4 s[12:15], s[0:1], 0x10
	v_lshlrev_b32_e32 v2, 1, v0
	s_waitcnt lgkmcnt(0)
	s_ashr_i32 s22, s3, 31
	s_add_u32 s16, s6, s4
	s_addc_u32 s17, s7, s5
	s_load_dwordx2 s[18:19], s[16:17], 0x0
	s_load_dwordx2 s[24:25], s[0:1], 0x20
	s_load_dwordx8 s[4:11], s[0:1], 0x30
	s_load_dwordx2 s[20:21], s[0:1], 0x58
	s_load_dword s23, s[0:1], 0x50
	s_waitcnt lgkmcnt(0)
	s_mul_i32 s16, s18, s22
	s_mul_hi_u32 s17, s18, s3
	s_mul_i32 s19, s19, s3
	s_add_i32 s16, s17, s16
	s_add_i32 s29, s16, s19
	s_lshr_b32 s16, s3, 31
	s_mul_i32 s28, s18, s3
	s_add_i32 s3, s3, s16
	s_ashr_i32 s22, s3, 1
	s_mul_i32 s3, s22, s23
	v_cmp_gt_i32_e32 vcc, s3, v0
	s_and_saveexec_b64 s[16:17], vcc
	s_cbranch_execz .LBB21_4
; %bb.2:
	s_load_dwordx2 s[30:31], s[0:1], 0x8
	s_load_dword s34, s[0:1], 0x8c
	s_lshl_b64 s[18:19], s[28:29], 1
	s_add_u32 s18, s24, s18
	s_mul_i32 s5, s2, s5
	s_mul_hi_u32 s33, s2, s4
	s_addc_u32 s19, s25, s19
	s_add_i32 s5, s33, s5
	s_mul_i32 s4, s2, s4
	s_ashr_i32 s23, s22, 31
	s_lshl_b64 s[4:5], s[4:5], 2
	s_waitcnt lgkmcnt(0)
	s_add_u32 s4, s30, s4
	s_addc_u32 s5, s31, s5
	s_abs_i32 s33, s22
	v_cvt_f32_u32_e32 v1, s33
	s_sub_i32 s30, 0, s33
	s_and_b32 s34, s34, 0xffff
	s_sub_i32 s35, 0, s22
	v_rcp_iflag_f32_e32 v1, v1
	s_lshl_b32 s37, s34, 1
	v_mov_b32_e32 v4, v2
	v_mov_b32_e32 v6, v0
	v_mul_f32_e32 v1, 0x4f7ffffe, v1
	v_cvt_u32_f32_e32 v1, v1
	v_mul_lo_u32 v3, s30, v1
	v_mul_hi_u32 v3, v1, v3
	s_lshl_b32 s30, s22, 1
	v_add_u32_e32 v1, v1, v3
	s_sub_i32 s36, 0, s30
	s_mov_b64 s[30:31], 0
.LBB21_3:                               ; =>This Inner Loop Header: Depth=1
	v_sub_u32_e32 v5, 0, v6
	v_max_i32_e32 v5, v6, v5
	v_mul_hi_u32 v7, v5, v1
	v_mul_lo_u32 v8, v7, s33
	v_sub_u32_e32 v5, v5, v8
	v_add_u32_e32 v9, 1, v7
	v_cmp_le_u32_e32 vcc, s33, v5
	v_subrev_u32_e32 v8, s33, v5
	v_ashrrev_i32_e32 v3, 31, v6
	v_cndmask_b32_e32 v7, v7, v9, vcc
	v_cndmask_b32_e32 v5, v5, v8, vcc
	v_add_u32_e32 v8, 1, v7
	v_cmp_le_u32_e32 vcc, s33, v5
	v_xor_b32_e32 v3, s23, v3
	s_nop 0
	v_cndmask_b32_e32 v5, v7, v8, vcc
	v_xor_b32_e32 v5, v5, v3
	v_sub_u32_e32 v3, v5, v3
	v_mad_u64_u32 v[8:9], s[38:39], s35, v3, v[6:7]
	v_ashrrev_i32_e32 v5, 31, v3
	v_ashrrev_i32_e32 v9, 31, v8
	v_mul_lo_u32 v7, v3, s7
	v_mad_u64_u32 v[10:11], s[38:39], v3, s6, 0
	v_mad_u64_u32 v[12:13], s[38:39], s36, v3, v[4:5]
	v_mul_lo_u32 v3, v5, s6
	v_lshl_add_u64 v[8:9], v[8:9], 1, s[18:19]
	v_add3_u32 v11, v11, v7, v3
	v_lshl_add_u64 v[14:15], s[22:23], 1, v[8:9]
	global_load_ushort v3, v[8:9], off
	global_load_ushort v5, v[14:15], off
	v_ashrrev_i32_e32 v13, 31, v12
	v_lshl_add_u64 v[10:11], v[10:11], 2, s[4:5]
	v_lshl_add_u64 v[8:9], v[12:13], 2, v[10:11]
	global_load_dwordx2 v[10:11], v[8:9], off
	v_add_u32_e32 v6, s34, v6
	v_cmp_le_i32_e32 vcc, s3, v6
	v_add_u32_e32 v4, s37, v4
	s_or_b64 s[30:31], vcc, s[30:31]
	s_waitcnt vmcnt(2)
	v_cvt_f32_f16_e32 v7, v3
	s_waitcnt vmcnt(1)
	v_cvt_f32_f16_e32 v12, v5
	s_waitcnt vmcnt(0)
	v_mul_f32_e32 v7, v11, v7
	v_mul_f32_e32 v12, v11, v12
	v_fma_mix_f32 v11, v10, v5, v7 op_sel_hi:[0,1,0]
	v_fma_mix_f32 v10, v10, v3, -v12 op_sel_hi:[0,1,0]
	global_store_dwordx2 v[8:9], v[10:11], off
	s_andn2_b64 exec, exec, s[30:31]
	s_cbranch_execnz .LBB21_3
.LBB21_4:
	s_or_b64 exec, exec, s[16:17]
	s_load_dwordx4 s[16:19], s[0:1], 0x68
	s_waitcnt lgkmcnt(0)
	s_ashr_i32 s7, s19, 31
	s_mov_b32 s6, s19
	s_or_b64 s[4:5], s[26:27], s[6:7]
	s_mov_b32 s4, 0
	s_cmp_lg_u64 s[4:5], 0
	s_cbranch_scc0 .LBB21_14
; %bb.5:
	s_add_u32 s4, s6, s7
	s_mov_b32 s34, s7
	s_mov_b32 s35, s7
	s_addc_u32 s5, s7, s7
	s_xor_b64 s[36:37], s[4:5], s[34:35]
	v_cvt_f32_u32_e32 v1, s36
	v_cvt_f32_u32_e32 v3, s37
	s_sub_u32 s3, 0, s36
	s_subb_u32 s4, 0, s37
	v_fmamk_f32 v1, v3, 0x4f800000, v1
	v_rcp_f32_e32 v1, v1
	s_nop 0
	v_mul_f32_e32 v1, 0x5f7ffffc, v1
	v_mul_f32_e32 v3, 0x2f800000, v1
	v_trunc_f32_e32 v3, v3
	v_fmamk_f32 v1, v3, 0xcf800000, v1
	v_cvt_u32_f32_e32 v3, v3
	v_cvt_u32_f32_e32 v1, v1
	v_readfirstlane_b32 s5, v3
	v_readfirstlane_b32 s19, v1
	s_mul_i32 s23, s3, s5
	s_mul_hi_u32 s38, s3, s19
	s_mul_i32 s33, s4, s19
	s_add_i32 s23, s38, s23
	s_add_i32 s23, s23, s33
	s_mul_i32 s39, s3, s19
	s_mul_hi_u32 s33, s19, s23
	s_mul_i32 s38, s19, s23
	s_mul_hi_u32 s19, s19, s39
	s_add_u32 s19, s19, s38
	s_addc_u32 s33, 0, s33
	s_mul_hi_u32 s40, s5, s39
	s_mul_i32 s39, s5, s39
	s_add_u32 s19, s19, s39
	s_mul_hi_u32 s38, s5, s23
	s_addc_u32 s19, s33, s40
	s_addc_u32 s33, s38, 0
	s_mul_i32 s23, s5, s23
	s_add_u32 s19, s19, s23
	s_addc_u32 s23, 0, s33
	v_add_co_u32_e32 v1, vcc, s19, v1
	s_cmp_lg_u64 vcc, 0
	s_addc_u32 s5, s5, s23
	v_readfirstlane_b32 s23, v1
	s_mul_i32 s19, s3, s5
	s_mul_hi_u32 s33, s3, s23
	s_add_i32 s19, s33, s19
	s_mul_i32 s4, s4, s23
	s_add_i32 s19, s19, s4
	s_mul_i32 s3, s3, s23
	s_mul_hi_u32 s33, s5, s3
	s_mul_i32 s38, s5, s3
	s_mul_i32 s40, s23, s19
	s_mul_hi_u32 s3, s23, s3
	s_mul_hi_u32 s39, s23, s19
	s_add_u32 s3, s3, s40
	s_addc_u32 s23, 0, s39
	s_add_u32 s3, s3, s38
	s_mul_hi_u32 s4, s5, s19
	s_addc_u32 s3, s23, s33
	s_addc_u32 s4, s4, 0
	s_mul_i32 s19, s5, s19
	s_add_u32 s3, s3, s19
	s_addc_u32 s4, 0, s4
	v_add_co_u32_e32 v1, vcc, s3, v1
	s_cmp_lg_u64 vcc, 0
	s_addc_u32 s3, s5, s4
	s_ashr_i32 s38, s27, 31
	s_add_u32 s4, s26, s38
	s_mov_b32 s39, s38
	s_addc_u32 s5, s27, s38
	s_xor_b64 s[40:41], s[4:5], s[38:39]
	v_readfirstlane_b32 s19, v1
	s_mul_i32 s5, s40, s3
	s_mul_hi_u32 s23, s40, s19
	s_mul_hi_u32 s4, s40, s3
	s_add_u32 s5, s23, s5
	s_addc_u32 s4, 0, s4
	s_mul_hi_u32 s33, s41, s19
	s_mul_i32 s19, s41, s19
	s_add_u32 s5, s5, s19
	s_mul_hi_u32 s23, s41, s3
	s_addc_u32 s4, s4, s33
	s_addc_u32 s5, s23, 0
	s_mul_i32 s3, s41, s3
	s_add_u32 s3, s4, s3
	s_addc_u32 s19, 0, s5
	s_mul_i32 s4, s36, s19
	s_mul_hi_u32 s5, s36, s3
	s_add_i32 s4, s5, s4
	s_mul_i32 s5, s37, s3
	s_add_i32 s23, s4, s5
	s_mul_i32 s5, s36, s3
	v_mov_b32_e32 v1, s5
	s_sub_i32 s4, s41, s23
	v_sub_co_u32_e32 v1, vcc, s40, v1
	s_cmp_lg_u64 vcc, 0
	s_subb_u32 s33, s4, s37
	v_subrev_co_u32_e64 v3, s[4:5], s36, v1
	s_cmp_lg_u64 s[4:5], 0
	s_subb_u32 s4, s33, 0
	s_cmp_ge_u32 s4, s37
	v_readfirstlane_b32 s33, v3
	s_cselect_b32 s5, -1, 0
	s_cmp_ge_u32 s33, s36
	s_cselect_b32 s33, -1, 0
	s_cmp_eq_u32 s4, s37
	s_cselect_b32 s4, s33, s5
	s_add_u32 s5, s3, 1
	s_addc_u32 s33, s19, 0
	s_add_u32 s40, s3, 2
	s_addc_u32 s42, s19, 0
	s_cmp_lg_u32 s4, 0
	s_cselect_b32 s4, s40, s5
	s_cselect_b32 s5, s42, s33
	s_cmp_lg_u64 vcc, 0
	s_subb_u32 s23, s41, s23
	s_cmp_ge_u32 s23, s37
	v_readfirstlane_b32 s40, v1
	s_cselect_b32 s33, -1, 0
	s_cmp_ge_u32 s40, s36
	s_cselect_b32 s36, -1, 0
	s_cmp_eq_u32 s23, s37
	s_cselect_b32 s23, s36, s33
	s_cmp_lg_u32 s23, 0
	s_cselect_b32 s5, s5, s19
	s_cselect_b32 s4, s4, s3
	s_xor_b64 s[34:35], s[38:39], s[34:35]
	s_xor_b64 s[4:5], s[4:5], s[34:35]
	s_sub_u32 s4, s4, s34
	s_subb_u32 s5, s5, s35
	s_cbranch_execnz .LBB21_7
.LBB21_6:
	v_cvt_f32_u32_e32 v1, s6
	s_sub_i32 s3, 0, s6
	s_mov_b32 s5, 0
	v_rcp_iflag_f32_e32 v1, v1
	s_nop 0
	v_mul_f32_e32 v1, 0x4f7ffffe, v1
	v_cvt_u32_f32_e32 v1, v1
	s_nop 0
	v_readfirstlane_b32 s4, v1
	s_mul_i32 s3, s3, s4
	s_mul_hi_u32 s3, s4, s3
	s_add_i32 s4, s4, s3
	s_mul_hi_u32 s3, s26, s4
	s_mul_i32 s19, s3, s6
	s_sub_i32 s19, s26, s19
	s_add_i32 s4, s3, 1
	s_sub_i32 s23, s19, s6
	s_cmp_ge_u32 s19, s6
	s_cselect_b32 s3, s4, s3
	s_cselect_b32 s19, s23, s19
	s_add_i32 s4, s3, 1
	s_cmp_ge_u32 s19, s6
	s_cselect_b32 s4, s4, s3
.LBB21_7:
	s_mul_i32 s3, s4, s7
	s_mul_hi_u32 s7, s4, s6
	s_add_i32 s3, s7, s3
	s_mul_i32 s7, s5, s6
	s_add_i32 s3, s3, s7
	s_mul_i32 s6, s4, s6
	s_sub_u32 s33, s26, s6
	s_subb_u32 s3, s27, s3
	v_cmp_gt_i32_e32 vcc, s22, v0
	s_mul_hi_u32 s37, s4, s16
	s_mul_i32 s38, s5, s16
	s_mul_i32 s26, s4, s16
	s_mul_hi_u32 s36, s33, s17
	s_mul_i32 s5, s3, s17
	s_mul_i32 s6, s33, s17
	s_and_saveexec_b64 s[30:31], vcc
	s_cbranch_execz .LBB21_10
; %bb.8:
	s_load_dword s3, s[0:1], 0x8c
	s_ashr_i32 s23, s22, 31
	s_ashr_i32 s7, s16, 31
	;; [unrolled: 1-line block ×4, first 2 shown]
	s_waitcnt lgkmcnt(0)
	s_and_b32 s3, s3, 0xffff
	s_lshl_b64 s[34:35], s[28:29], 1
	s_add_u32 s24, s24, s34
	v_mov_b32_e32 v3, 0
	s_addc_u32 s25, s25, s35
	v_lshl_add_u64 v[4:5], s[24:25], 0, v[2:3]
	s_lshl_b64 s[24:25], s[22:23], 1
	s_mul_i32 s9, s9, s2
	s_mul_hi_u32 s23, s8, s2
	s_add_i32 s9, s23, s9
	s_mul_i32 s8, s8, s2
	s_lshl_b32 s28, s3, 1
	s_lshl_b64 s[8:9], s[8:9], 2
	s_add_u32 s8, s12, s8
	s_mul_i32 s7, s4, s7
	s_addc_u32 s9, s13, s9
	s_add_i32 s7, s37, s7
	s_add_i32 s27, s7, s38
	s_mul_i32 s7, s33, s39
	s_add_i32 s7, s36, s7
	v_lshlrev_b32_e32 v2, 3, v0
	s_add_i32 s7, s7, s5
	v_lshl_add_u64 v[6:7], s[8:9], 0, v[2:3]
	s_lshl_b32 s8, s3, 3
	s_lshl_b64 s[12:13], s[26:27], 1
	s_lshl_b64 s[34:35], s[6:7], 1
	s_add_u32 s7, s12, s34
	s_addc_u32 s23, s13, s35
	s_lshl_b64 s[12:13], s[18:19], 1
	s_add_u32 s12, s20, s12
	s_addc_u32 s13, s21, s13
	s_add_u32 s12, s12, s7
	s_mov_b32 s29, 0
	v_lshlrev_b32_e32 v2, 2, v0
	s_addc_u32 s13, s13, s23
	v_lshl_add_u64 v[6:7], v[6:7], 0, 4
	s_mov_b32 s9, s29
	v_lshl_add_u64 v[2:3], s[12:13], 0, v[2:3]
	s_lshl_b32 s12, s3, 2
	s_mov_b32 s13, s29
	s_mov_b64 s[34:35], 0
	s_mov_b32 s7, 0x5040100
	v_mov_b32_e32 v1, v0
.LBB21_9:                               ; =>This Inner Loop Header: Depth=1
	global_load_ushort v12, v[4:5], off
	v_lshl_add_u64 v[8:9], v[4:5], 0, s[24:25]
	global_load_ushort v13, v[8:9], off
	global_load_dwordx2 v[10:11], v[6:7], off offset:-4
	v_add_u32_e32 v1, s3, v1
	v_cmp_le_i32_e32 vcc, s22, v1
	v_lshl_add_u64 v[4:5], v[4:5], 0, s[28:29]
	s_or_b64 s[34:35], vcc, s[34:35]
	s_waitcnt vmcnt(2)
	v_cvt_f32_f16_e32 v8, v12
	s_waitcnt vmcnt(1)
	v_cvt_f32_f16_e32 v12, v13
	s_waitcnt vmcnt(0)
	v_pk_mul_f32 v[12:13], v[10:11], v[12:13] op_sel_hi:[1,0]
	s_nop 0
	v_pk_fma_f32 v[14:15], v[10:11], v[8:9], v[12:13] op_sel:[0,0,1] op_sel_hi:[1,1,0] neg_lo:[0,0,1] neg_hi:[0,0,1]
	v_pk_fma_f32 v[8:9], v[10:11], v[8:9], v[12:13] op_sel:[0,0,1] op_sel_hi:[1,0,0]
	s_nop 0
	v_mov_b32_e32 v15, v9
	v_perm_b32 v8, v9, v14, s7
	global_store_dwordx2 v[6:7], v[14:15], off offset:-4
	global_store_dword v[2:3], v8, off
	v_lshl_add_u64 v[6:7], v[6:7], 0, s[8:9]
	v_lshl_add_u64 v[2:3], v[2:3], 0, s[12:13]
	s_andn2_b64 exec, exec, s[34:35]
	s_cbranch_execnz .LBB21_9
.LBB21_10:
	s_or_b64 exec, exec, s[30:31]
	v_cmp_gt_i32_e32 vcc, s18, v0
	s_and_saveexec_b64 s[8:9], vcc
	s_cbranch_execz .LBB21_13
; %bb.11:
	s_mul_i32 s3, s2, s11
	s_mul_hi_u32 s7, s2, s10
	s_add_i32 s3, s7, s3
	s_mul_i32 s2, s2, s10
	s_lshl_b64 s[2:3], s[2:3], 2
	s_add_u32 s2, s14, s2
	s_addc_u32 s3, s15, s3
	s_ashr_i32 s7, s16, 31
	s_mul_i32 s4, s4, s7
	s_add_i32 s4, s37, s4
	s_add_i32 s27, s4, s38
	s_lshl_b64 s[8:9], s[26:27], 1
	s_add_u32 s4, s20, s8
	s_addc_u32 s8, s21, s9
	s_ashr_i32 s7, s17, 31
	s_mul_i32 s33, s33, s7
	s_load_dword s9, s[0:1], 0x8c
	s_add_i32 s7, s36, s33
	s_add_i32 s7, s7, s5
	s_lshl_b64 s[0:1], s[6:7], 1
	s_add_u32 s0, s4, s0
	s_addc_u32 s1, s8, s1
	s_waitcnt lgkmcnt(0)
	s_and_b32 s6, s9, 0xffff
	s_mov_b64 s[4:5], 0
.LBB21_12:                              ; =>This Inner Loop Header: Depth=1
	v_ashrrev_i32_e32 v1, 31, v0
	v_lshl_add_u64 v[2:3], v[0:1], 2, s[2:3]
	global_load_ushort v4, v[2:3], off
	v_lshl_add_u64 v[2:3], v[0:1], 1, s[0:1]
	v_add_u32_e32 v0, s6, v0
	v_cmp_le_i32_e32 vcc, s18, v0
	s_or_b64 s[4:5], vcc, s[4:5]
	s_waitcnt vmcnt(0)
	global_store_short v[2:3], v4, off
	s_andn2_b64 exec, exec, s[4:5]
	s_cbranch_execnz .LBB21_12
.LBB21_13:
	s_endpgm
.LBB21_14:
                                        ; implicit-def: $sgpr4_sgpr5
	s_branch .LBB21_6
	.section	.rodata,"a",@progbits
	.p2align	6, 0x0
	.amdhsa_kernel _ZN4vllm38concat_and_cache_mla_rope_fused_kernelIfN3c104HalfELb0EttLNS_18Fp8KVCacheDataTypeE0EEEvPKlPT_S7_PKS6_PKT0_illlliPT3_S5_iiiiPKf
		.amdhsa_group_segment_fixed_size 0
		.amdhsa_private_segment_fixed_size 0
		.amdhsa_kernarg_size 384
		.amdhsa_user_sgpr_count 2
		.amdhsa_user_sgpr_dispatch_ptr 0
		.amdhsa_user_sgpr_queue_ptr 0
		.amdhsa_user_sgpr_kernarg_segment_ptr 1
		.amdhsa_user_sgpr_dispatch_id 0
		.amdhsa_user_sgpr_kernarg_preload_length 0
		.amdhsa_user_sgpr_kernarg_preload_offset 0
		.amdhsa_user_sgpr_private_segment_size 0
		.amdhsa_uses_dynamic_stack 0
		.amdhsa_enable_private_segment 0
		.amdhsa_system_sgpr_workgroup_id_x 1
		.amdhsa_system_sgpr_workgroup_id_y 0
		.amdhsa_system_sgpr_workgroup_id_z 0
		.amdhsa_system_sgpr_workgroup_info 0
		.amdhsa_system_vgpr_workitem_id 0
		.amdhsa_next_free_vgpr 16
		.amdhsa_next_free_sgpr 43
		.amdhsa_accum_offset 16
		.amdhsa_reserve_vcc 1
		.amdhsa_float_round_mode_32 0
		.amdhsa_float_round_mode_16_64 0
		.amdhsa_float_denorm_mode_32 3
		.amdhsa_float_denorm_mode_16_64 3
		.amdhsa_dx10_clamp 1
		.amdhsa_ieee_mode 1
		.amdhsa_fp16_overflow 0
		.amdhsa_tg_split 0
		.amdhsa_exception_fp_ieee_invalid_op 0
		.amdhsa_exception_fp_denorm_src 0
		.amdhsa_exception_fp_ieee_div_zero 0
		.amdhsa_exception_fp_ieee_overflow 0
		.amdhsa_exception_fp_ieee_underflow 0
		.amdhsa_exception_fp_ieee_inexact 0
		.amdhsa_exception_int_div_zero 0
	.end_amdhsa_kernel
	.section	.text._ZN4vllm38concat_and_cache_mla_rope_fused_kernelIfN3c104HalfELb0EttLNS_18Fp8KVCacheDataTypeE0EEEvPKlPT_S7_PKS6_PKT0_illlliPT3_S5_iiiiPKf,"axG",@progbits,_ZN4vllm38concat_and_cache_mla_rope_fused_kernelIfN3c104HalfELb0EttLNS_18Fp8KVCacheDataTypeE0EEEvPKlPT_S7_PKS6_PKT0_illlliPT3_S5_iiiiPKf,comdat
.Lfunc_end21:
	.size	_ZN4vllm38concat_and_cache_mla_rope_fused_kernelIfN3c104HalfELb0EttLNS_18Fp8KVCacheDataTypeE0EEEvPKlPT_S7_PKS6_PKT0_illlliPT3_S5_iiiiPKf, .Lfunc_end21-_ZN4vllm38concat_and_cache_mla_rope_fused_kernelIfN3c104HalfELb0EttLNS_18Fp8KVCacheDataTypeE0EEEvPKlPT_S7_PKS6_PKT0_illlliPT3_S5_iiiiPKf
                                        ; -- End function
	.section	.AMDGPU.csdata,"",@progbits
; Kernel info:
; codeLenInByte = 1940
; NumSgprs: 49
; NumVgprs: 16
; NumAgprs: 0
; TotalNumVgprs: 16
; ScratchSize: 0
; MemoryBound: 0
; FloatMode: 240
; IeeeMode: 1
; LDSByteSize: 0 bytes/workgroup (compile time only)
; SGPRBlocks: 6
; VGPRBlocks: 1
; NumSGPRsForWavesPerEU: 49
; NumVGPRsForWavesPerEU: 16
; AccumOffset: 16
; Occupancy: 8
; WaveLimiterHint : 1
; COMPUTE_PGM_RSRC2:SCRATCH_EN: 0
; COMPUTE_PGM_RSRC2:USER_SGPR: 2
; COMPUTE_PGM_RSRC2:TRAP_HANDLER: 0
; COMPUTE_PGM_RSRC2:TGID_X_EN: 1
; COMPUTE_PGM_RSRC2:TGID_Y_EN: 0
; COMPUTE_PGM_RSRC2:TGID_Z_EN: 0
; COMPUTE_PGM_RSRC2:TIDIG_COMP_CNT: 0
; COMPUTE_PGM_RSRC3_GFX90A:ACCUM_OFFSET: 3
; COMPUTE_PGM_RSRC3_GFX90A:TG_SPLIT: 0
	.section	.text._ZN4vllm38concat_and_cache_mla_rope_fused_kernelIfN3c108BFloat16ELb1EttLNS_18Fp8KVCacheDataTypeE0EEEvPKlPT_S7_PKS6_PKT0_illlliPT3_S5_iiiiPKf,"axG",@progbits,_ZN4vllm38concat_and_cache_mla_rope_fused_kernelIfN3c108BFloat16ELb1EttLNS_18Fp8KVCacheDataTypeE0EEEvPKlPT_S7_PKS6_PKT0_illlliPT3_S5_iiiiPKf,comdat
	.protected	_ZN4vllm38concat_and_cache_mla_rope_fused_kernelIfN3c108BFloat16ELb1EttLNS_18Fp8KVCacheDataTypeE0EEEvPKlPT_S7_PKS6_PKT0_illlliPT3_S5_iiiiPKf ; -- Begin function _ZN4vllm38concat_and_cache_mla_rope_fused_kernelIfN3c108BFloat16ELb1EttLNS_18Fp8KVCacheDataTypeE0EEEvPKlPT_S7_PKS6_PKT0_illlliPT3_S5_iiiiPKf
	.globl	_ZN4vllm38concat_and_cache_mla_rope_fused_kernelIfN3c108BFloat16ELb1EttLNS_18Fp8KVCacheDataTypeE0EEEvPKlPT_S7_PKS6_PKT0_illlliPT3_S5_iiiiPKf
	.p2align	8
	.type	_ZN4vllm38concat_and_cache_mla_rope_fused_kernelIfN3c108BFloat16ELb1EttLNS_18Fp8KVCacheDataTypeE0EEEvPKlPT_S7_PKS6_PKT0_illlliPT3_S5_iiiiPKf,@function
_ZN4vllm38concat_and_cache_mla_rope_fused_kernelIfN3c108BFloat16ELb1EttLNS_18Fp8KVCacheDataTypeE0EEEvPKlPT_S7_PKS6_PKT0_illlliPT3_S5_iiiiPKf: ; @_ZN4vllm38concat_and_cache_mla_rope_fused_kernelIfN3c108BFloat16ELb1EttLNS_18Fp8KVCacheDataTypeE0EEEvPKlPT_S7_PKS6_PKT0_illlliPT3_S5_iiiiPKf
; %bb.0:
	s_load_dwordx2 s[6:7], s[0:1], 0x60
	s_mov_b32 s3, 0
	s_lshl_b64 s[4:5], s[2:3], 3
	s_waitcnt lgkmcnt(0)
	s_add_u32 s6, s6, s4
	s_addc_u32 s7, s7, s5
	s_load_dwordx2 s[30:31], s[6:7], 0x0
	s_waitcnt lgkmcnt(0)
	v_cmp_lt_i64_e64 s[6:7], s[30:31], 0
	s_and_b64 vcc, exec, s[6:7]
	s_cbranch_vccnz .LBB22_13
; %bb.1:
	s_load_dword s3, s[0:1], 0x28
	s_load_dwordx2 s[6:7], s[0:1], 0x0
	s_load_dwordx4 s[12:15], s[0:1], 0x10
	s_waitcnt lgkmcnt(0)
	s_ashr_i32 s22, s3, 31
	s_add_u32 s16, s6, s4
	s_addc_u32 s17, s7, s5
	s_load_dwordx2 s[18:19], s[16:17], 0x0
	s_load_dwordx2 s[26:27], s[0:1], 0x20
	s_load_dwordx8 s[4:11], s[0:1], 0x30
	s_load_dwordx2 s[20:21], s[0:1], 0x58
	s_load_dword s25, s[0:1], 0x50
	s_waitcnt lgkmcnt(0)
	s_mul_i32 s16, s18, s22
	s_mul_hi_u32 s17, s18, s3
	s_mul_i32 s19, s19, s3
	s_add_i32 s16, s17, s16
	s_add_i32 s17, s16, s19
	s_mul_i32 s16, s18, s3
	s_lshl_b64 s[28:29], s[16:17], 1
	s_add_u32 s22, s26, s28
	s_addc_u32 s23, s27, s29
	s_lshr_b32 s16, s3, 31
	s_add_i32 s3, s3, s16
	s_ashr_i32 s24, s3, 1
	s_mul_i32 s3, s24, s25
	v_cmp_gt_i32_e32 vcc, s3, v0
	s_and_saveexec_b64 s[16:17], vcc
	s_cbranch_execz .LBB22_4
; %bb.2:
	s_load_dwordx2 s[18:19], s[0:1], 0x8
	s_load_dword s34, s[0:1], 0x8c
	s_mul_i32 s5, s2, s5
	s_mul_hi_u32 s33, s2, s4
	s_add_i32 s5, s33, s5
	s_mul_i32 s4, s2, s4
	s_ashr_i32 s25, s24, 31
	s_lshl_b64 s[4:5], s[4:5], 2
	s_waitcnt lgkmcnt(0)
	s_add_u32 s4, s18, s4
	s_addc_u32 s5, s19, s5
	s_abs_i32 s33, s24
	v_cvt_f32_u32_e32 v1, s33
	s_sub_i32 s36, 0, s33
	s_mov_b64 s[18:19], 0
	s_and_b32 s34, s34, 0xffff
	v_rcp_iflag_f32_e32 v1, v1
	s_sub_i32 s35, 0, s24
	v_mul_f32_e32 v1, 0x4f7ffffe, v1
	v_cvt_u32_f32_e32 v1, v1
	v_mul_lo_u32 v2, s36, v1
	v_mul_hi_u32 v2, v1, v2
	v_add_u32_e32 v1, v1, v2
	v_mov_b32_e32 v2, v0
.LBB22_3:                               ; =>This Inner Loop Header: Depth=1
	v_sub_u32_e32 v4, 0, v2
	v_max_i32_e32 v4, v2, v4
	v_mul_hi_u32 v5, v4, v1
	v_mul_lo_u32 v6, v5, s33
	v_sub_u32_e32 v4, v4, v6
	v_add_u32_e32 v7, 1, v5
	v_cmp_le_u32_e32 vcc, s33, v4
	v_subrev_u32_e32 v6, s33, v4
	v_ashrrev_i32_e32 v3, 31, v2
	v_cndmask_b32_e32 v5, v5, v7, vcc
	v_cndmask_b32_e32 v4, v4, v6, vcc
	v_add_u32_e32 v6, 1, v5
	v_cmp_le_u32_e32 vcc, s33, v4
	v_xor_b32_e32 v3, s25, v3
	s_nop 0
	v_cndmask_b32_e32 v4, v5, v6, vcc
	v_xor_b32_e32 v4, v4, v3
	v_sub_u32_e32 v3, v4, v3
	v_ashrrev_i32_e32 v8, 31, v3
	v_mad_u64_u32 v[4:5], s[36:37], s35, v3, v[2:3]
	v_mul_lo_u32 v10, v3, s7
	v_mad_u64_u32 v[6:7], s[36:37], v3, s6, 0
	v_mul_lo_u32 v3, v8, s6
	v_ashrrev_i32_e32 v5, 31, v4
	v_add3_u32 v7, v7, v10, v3
	v_lshl_add_u64 v[8:9], v[4:5], 1, s[22:23]
	v_lshl_add_u64 v[6:7], v[6:7], 2, s[4:5]
	;; [unrolled: 1-line block ×3, first 2 shown]
	global_load_ushort v3, v[8:9], off
	global_load_ushort v12, v[10:11], off
	v_lshl_add_u64 v[4:5], v[4:5], 2, v[6:7]
	v_lshl_add_u64 v[6:7], s[24:25], 2, v[4:5]
	global_load_dword v8, v[4:5], off
	global_load_dword v9, v[6:7], off
	v_add_u32_e32 v2, s34, v2
	v_cmp_le_i32_e32 vcc, s3, v2
	s_or_b64 s[18:19], vcc, s[18:19]
	s_waitcnt vmcnt(3)
	v_lshlrev_b32_e32 v3, 16, v3
	s_waitcnt vmcnt(2)
	v_lshlrev_b32_e32 v10, 16, v12
	s_waitcnt vmcnt(1)
	v_mul_f32_e32 v11, v8, v10
	s_waitcnt vmcnt(0)
	v_mul_f32_e32 v10, v9, v10
	v_fmac_f32_e32 v11, v9, v3
	v_fma_f32 v3, v8, v3, -v10
	global_store_dword v[4:5], v3, off
	global_store_dword v[6:7], v11, off
	s_andn2_b64 exec, exec, s[18:19]
	s_cbranch_execnz .LBB22_3
.LBB22_4:
	s_or_b64 exec, exec, s[16:17]
	s_load_dwordx4 s[16:19], s[0:1], 0x68
	s_waitcnt lgkmcnt(0)
	s_ashr_i32 s7, s19, 31
	s_mov_b32 s6, s19
	s_or_b64 s[4:5], s[30:31], s[6:7]
	s_mov_b32 s4, 0
	s_cmp_lg_u64 s[4:5], 0
	s_cbranch_scc0 .LBB22_14
; %bb.5:
	s_add_u32 s4, s6, s7
	s_mov_b32 s36, s7
	s_mov_b32 s37, s7
	s_addc_u32 s5, s7, s7
	s_xor_b64 s[38:39], s[4:5], s[36:37]
	v_cvt_f32_u32_e32 v1, s38
	v_cvt_f32_u32_e32 v2, s39
	s_sub_u32 s3, 0, s38
	s_subb_u32 s4, 0, s39
	v_fmamk_f32 v1, v2, 0x4f800000, v1
	v_rcp_f32_e32 v1, v1
	s_nop 0
	v_mul_f32_e32 v1, 0x5f7ffffc, v1
	v_mul_f32_e32 v2, 0x2f800000, v1
	v_trunc_f32_e32 v2, v2
	v_fmamk_f32 v1, v2, 0xcf800000, v1
	v_cvt_u32_f32_e32 v2, v2
	v_cvt_u32_f32_e32 v1, v1
	v_readfirstlane_b32 s5, v2
	v_readfirstlane_b32 s19, v1
	s_mul_i32 s25, s3, s5
	s_mul_hi_u32 s40, s3, s19
	s_mul_i32 s33, s4, s19
	s_add_i32 s25, s40, s25
	s_add_i32 s25, s25, s33
	s_mul_i32 s41, s3, s19
	s_mul_hi_u32 s33, s19, s25
	s_mul_i32 s40, s19, s25
	s_mul_hi_u32 s19, s19, s41
	s_add_u32 s19, s19, s40
	s_addc_u32 s33, 0, s33
	s_mul_hi_u32 s42, s5, s41
	s_mul_i32 s41, s5, s41
	s_add_u32 s19, s19, s41
	s_mul_hi_u32 s40, s5, s25
	s_addc_u32 s19, s33, s42
	s_addc_u32 s33, s40, 0
	s_mul_i32 s25, s5, s25
	s_add_u32 s19, s19, s25
	s_addc_u32 s25, 0, s33
	v_add_co_u32_e32 v1, vcc, s19, v1
	s_cmp_lg_u64 vcc, 0
	s_addc_u32 s5, s5, s25
	v_readfirstlane_b32 s25, v1
	s_mul_i32 s19, s3, s5
	s_mul_hi_u32 s33, s3, s25
	s_add_i32 s19, s33, s19
	s_mul_i32 s4, s4, s25
	s_add_i32 s19, s19, s4
	s_mul_i32 s3, s3, s25
	s_mul_hi_u32 s33, s5, s3
	s_mul_i32 s40, s5, s3
	s_mul_i32 s42, s25, s19
	s_mul_hi_u32 s3, s25, s3
	s_mul_hi_u32 s41, s25, s19
	s_add_u32 s3, s3, s42
	s_addc_u32 s25, 0, s41
	s_add_u32 s3, s3, s40
	s_mul_hi_u32 s4, s5, s19
	s_addc_u32 s3, s25, s33
	s_addc_u32 s4, s4, 0
	s_mul_i32 s19, s5, s19
	s_add_u32 s3, s3, s19
	s_addc_u32 s4, 0, s4
	v_add_co_u32_e32 v1, vcc, s3, v1
	s_cmp_lg_u64 vcc, 0
	s_addc_u32 s3, s5, s4
	s_ashr_i32 s40, s31, 31
	s_add_u32 s4, s30, s40
	s_mov_b32 s41, s40
	s_addc_u32 s5, s31, s40
	s_xor_b64 s[42:43], s[4:5], s[40:41]
	v_readfirstlane_b32 s19, v1
	s_mul_i32 s5, s42, s3
	s_mul_hi_u32 s25, s42, s19
	s_mul_hi_u32 s4, s42, s3
	s_add_u32 s5, s25, s5
	s_addc_u32 s4, 0, s4
	s_mul_hi_u32 s33, s43, s19
	s_mul_i32 s19, s43, s19
	s_add_u32 s5, s5, s19
	s_mul_hi_u32 s25, s43, s3
	s_addc_u32 s4, s4, s33
	s_addc_u32 s5, s25, 0
	s_mul_i32 s3, s43, s3
	s_add_u32 s3, s4, s3
	s_addc_u32 s19, 0, s5
	s_mul_i32 s4, s38, s19
	s_mul_hi_u32 s5, s38, s3
	s_add_i32 s4, s5, s4
	s_mul_i32 s5, s39, s3
	s_add_i32 s25, s4, s5
	s_mul_i32 s5, s38, s3
	v_mov_b32_e32 v1, s5
	s_sub_i32 s4, s43, s25
	v_sub_co_u32_e32 v1, vcc, s42, v1
	s_cmp_lg_u64 vcc, 0
	s_subb_u32 s33, s4, s39
	v_subrev_co_u32_e64 v2, s[4:5], s38, v1
	s_cmp_lg_u64 s[4:5], 0
	s_subb_u32 s4, s33, 0
	s_cmp_ge_u32 s4, s39
	v_readfirstlane_b32 s33, v2
	s_cselect_b32 s5, -1, 0
	s_cmp_ge_u32 s33, s38
	s_cselect_b32 s33, -1, 0
	s_cmp_eq_u32 s4, s39
	s_cselect_b32 s4, s33, s5
	s_add_u32 s5, s3, 1
	s_addc_u32 s33, s19, 0
	s_add_u32 s42, s3, 2
	s_addc_u32 s44, s19, 0
	s_cmp_lg_u32 s4, 0
	s_cselect_b32 s4, s42, s5
	s_cselect_b32 s5, s44, s33
	s_cmp_lg_u64 vcc, 0
	s_subb_u32 s25, s43, s25
	s_cmp_ge_u32 s25, s39
	v_readfirstlane_b32 s42, v1
	s_cselect_b32 s33, -1, 0
	s_cmp_ge_u32 s42, s38
	s_cselect_b32 s38, -1, 0
	s_cmp_eq_u32 s25, s39
	s_cselect_b32 s25, s38, s33
	s_cmp_lg_u32 s25, 0
	s_cselect_b32 s5, s5, s19
	s_cselect_b32 s4, s4, s3
	s_xor_b64 s[36:37], s[40:41], s[36:37]
	s_xor_b64 s[4:5], s[4:5], s[36:37]
	s_sub_u32 s4, s4, s36
	s_subb_u32 s5, s5, s37
	s_cbranch_execnz .LBB22_7
.LBB22_6:
	v_cvt_f32_u32_e32 v1, s6
	s_sub_i32 s3, 0, s6
	s_mov_b32 s5, 0
	v_rcp_iflag_f32_e32 v1, v1
	s_nop 0
	v_mul_f32_e32 v1, 0x4f7ffffe, v1
	v_cvt_u32_f32_e32 v1, v1
	s_nop 0
	v_readfirstlane_b32 s4, v1
	s_mul_i32 s3, s3, s4
	s_mul_hi_u32 s3, s4, s3
	s_add_i32 s4, s4, s3
	s_mul_hi_u32 s3, s30, s4
	s_mul_i32 s19, s3, s6
	s_sub_i32 s19, s30, s19
	s_add_i32 s4, s3, 1
	s_sub_i32 s25, s19, s6
	s_cmp_ge_u32 s19, s6
	s_cselect_b32 s3, s4, s3
	s_cselect_b32 s19, s25, s19
	s_add_i32 s4, s3, 1
	s_cmp_ge_u32 s19, s6
	s_cselect_b32 s4, s4, s3
.LBB22_7:
	s_mul_i32 s3, s4, s7
	s_mul_hi_u32 s7, s4, s6
	s_add_i32 s3, s7, s3
	s_mul_i32 s7, s5, s6
	s_add_i32 s3, s3, s7
	s_mul_i32 s6, s4, s6
	s_sub_u32 s33, s30, s6
	s_subb_u32 s3, s31, s3
	v_cmp_gt_i32_e32 vcc, s24, v0
	s_mul_hi_u32 s41, s4, s16
	s_mul_i32 s42, s5, s16
	s_mul_i32 s30, s4, s16
	s_mul_hi_u32 s40, s33, s17
	s_mul_i32 s5, s3, s17
	s_mul_i32 s6, s33, s17
	s_and_saveexec_b64 s[34:35], vcc
	s_cbranch_execz .LBB22_10
; %bb.8:
	s_ashr_i32 s3, s16, 31
	s_mul_i32 s3, s4, s3
	s_add_i32 s3, s41, s3
	s_add_i32 s31, s3, s42
	s_ashr_i32 s3, s17, 31
	s_mul_i32 s3, s33, s3
	s_add_i32 s3, s40, s3
	s_add_i32 s7, s3, s5
	s_ashr_i32 s25, s24, 31
	s_lshl_b64 s[36:37], s[30:31], 1
	s_lshl_b64 s[38:39], s[6:7], 1
	s_add_u32 s31, s36, s38
	s_addc_u32 s43, s37, s39
	s_load_dword s38, s[0:1], 0x8c
	s_add_u32 s3, s31, s20
	s_addc_u32 s7, s43, s21
	s_ashr_i32 s19, s18, 31
	s_lshl_b64 s[44:45], s[18:19], 1
	s_add_u32 s36, s3, s44
	s_addc_u32 s37, s7, s45
	s_waitcnt lgkmcnt(0)
	s_and_b32 s3, s38, 0xffff
	s_lshl_b32 s7, s3, 1
	s_lshl_b64 s[46:47], s[24:25], 1
	s_add_u32 s19, s28, s46
	s_addc_u32 s28, s29, s47
	s_add_u32 s26, s26, s19
	s_mul_i32 s9, s9, s2
	s_mul_hi_u32 s19, s8, s2
	s_addc_u32 s27, s27, s28
	s_add_i32 s9, s19, s9
	s_mul_i32 s8, s8, s2
	s_lshl_b64 s[28:29], s[24:25], 2
	s_lshl_b64 s[8:9], s[8:9], 2
	v_mov_b32_e32 v3, 0
	s_add_u32 s8, s12, s8
	v_lshlrev_b32_e32 v4, 2, v0
	v_mov_b32_e32 v5, v3
	s_addc_u32 s9, s13, s9
	s_lshl_b32 s38, s3, 2
	v_lshl_add_u64 v[4:5], s[8:9], 0, v[4:5]
	s_add_u32 s8, s31, s46
	s_addc_u32 s9, s43, s47
	s_add_u32 s8, s8, s44
	s_addc_u32 s9, s9, s45
	s_add_u32 s8, s20, s8
	v_lshlrev_b32_e32 v2, 1, v0
	s_mov_b32 s39, 0
	s_addc_u32 s9, s21, s9
	s_mov_b64 s[12:13], 0
	v_mov_b32_e32 v1, v0
.LBB22_9:                               ; =>This Inner Loop Header: Depth=1
	v_lshl_add_u64 v[6:7], s[22:23], 0, v[2:3]
	global_load_ushort v12, v[6:7], off
	v_lshl_add_u64 v[6:7], s[26:27], 0, v[2:3]
	global_load_ushort v13, v[6:7], off
	v_lshl_add_u64 v[6:7], v[4:5], 0, s[28:29]
	global_load_dword v14, v[6:7], off
	global_load_dword v15, v[4:5], off
	s_add_u32 s22, s22, s7
	s_addc_u32 s23, s23, 0
	s_add_u32 s26, s26, s7
	s_addc_u32 s27, s27, 0
	v_lshl_add_u64 v[10:11], s[8:9], 0, v[2:3]
	s_add_u32 s8, s8, s7
	s_addc_u32 s9, s9, 0
	v_lshl_add_u64 v[8:9], s[36:37], 0, v[2:3]
	v_add_u32_e32 v1, s3, v1
	s_add_u32 s36, s36, s7
	v_cmp_le_i32_e32 vcc, s24, v1
	s_addc_u32 s37, s37, 0
	s_or_b64 s[12:13], vcc, s[12:13]
	s_waitcnt vmcnt(3)
	v_lshlrev_b32_e32 v12, 16, v12
	s_waitcnt vmcnt(2)
	v_lshlrev_b32_e32 v13, 16, v13
	s_waitcnt vmcnt(1)
	v_mul_f32_e32 v16, v14, v13
	s_waitcnt vmcnt(0)
	v_mul_f32_e32 v13, v15, v13
	v_fma_f32 v15, v15, v12, -v16
	v_fmac_f32_e32 v13, v14, v12
	global_store_dword v[4:5], v15, off
	global_store_dword v[6:7], v13, off
	global_store_short v[8:9], v15, off
	global_store_short v[10:11], v13, off
	v_lshl_add_u64 v[4:5], v[4:5], 0, s[38:39]
	s_andn2_b64 exec, exec, s[12:13]
	s_cbranch_execnz .LBB22_9
.LBB22_10:
	s_or_b64 exec, exec, s[34:35]
	v_cmp_gt_i32_e32 vcc, s18, v0
	s_and_saveexec_b64 s[8:9], vcc
	s_cbranch_execz .LBB22_13
; %bb.11:
	s_mul_i32 s3, s2, s11
	s_mul_hi_u32 s7, s2, s10
	s_add_i32 s3, s7, s3
	s_mul_i32 s2, s2, s10
	s_lshl_b64 s[2:3], s[2:3], 2
	s_add_u32 s2, s14, s2
	s_addc_u32 s3, s15, s3
	s_ashr_i32 s7, s16, 31
	s_mul_i32 s4, s4, s7
	s_add_i32 s4, s41, s4
	s_add_i32 s31, s4, s42
	s_lshl_b64 s[8:9], s[30:31], 1
	s_add_u32 s4, s20, s8
	s_addc_u32 s8, s21, s9
	s_ashr_i32 s7, s17, 31
	s_mul_i32 s33, s33, s7
	s_load_dword s9, s[0:1], 0x8c
	s_add_i32 s7, s40, s33
	s_add_i32 s7, s7, s5
	s_lshl_b64 s[0:1], s[6:7], 1
	s_add_u32 s0, s4, s0
	s_addc_u32 s1, s8, s1
	s_waitcnt lgkmcnt(0)
	s_and_b32 s6, s9, 0xffff
	s_mov_b64 s[4:5], 0
.LBB22_12:                              ; =>This Inner Loop Header: Depth=1
	v_ashrrev_i32_e32 v1, 31, v0
	v_lshl_add_u64 v[2:3], v[0:1], 2, s[2:3]
	global_load_ushort v4, v[2:3], off
	v_lshl_add_u64 v[2:3], v[0:1], 1, s[0:1]
	v_add_u32_e32 v0, s6, v0
	v_cmp_le_i32_e32 vcc, s18, v0
	s_or_b64 s[4:5], vcc, s[4:5]
	s_waitcnt vmcnt(0)
	global_store_short v[2:3], v4, off
	s_andn2_b64 exec, exec, s[4:5]
	s_cbranch_execnz .LBB22_12
.LBB22_13:
	s_endpgm
.LBB22_14:
                                        ; implicit-def: $sgpr4_sgpr5
	s_branch .LBB22_6
	.section	.rodata,"a",@progbits
	.p2align	6, 0x0
	.amdhsa_kernel _ZN4vllm38concat_and_cache_mla_rope_fused_kernelIfN3c108BFloat16ELb1EttLNS_18Fp8KVCacheDataTypeE0EEEvPKlPT_S7_PKS6_PKT0_illlliPT3_S5_iiiiPKf
		.amdhsa_group_segment_fixed_size 0
		.amdhsa_private_segment_fixed_size 0
		.amdhsa_kernarg_size 384
		.amdhsa_user_sgpr_count 2
		.amdhsa_user_sgpr_dispatch_ptr 0
		.amdhsa_user_sgpr_queue_ptr 0
		.amdhsa_user_sgpr_kernarg_segment_ptr 1
		.amdhsa_user_sgpr_dispatch_id 0
		.amdhsa_user_sgpr_kernarg_preload_length 0
		.amdhsa_user_sgpr_kernarg_preload_offset 0
		.amdhsa_user_sgpr_private_segment_size 0
		.amdhsa_uses_dynamic_stack 0
		.amdhsa_enable_private_segment 0
		.amdhsa_system_sgpr_workgroup_id_x 1
		.amdhsa_system_sgpr_workgroup_id_y 0
		.amdhsa_system_sgpr_workgroup_id_z 0
		.amdhsa_system_sgpr_workgroup_info 0
		.amdhsa_system_vgpr_workitem_id 0
		.amdhsa_next_free_vgpr 17
		.amdhsa_next_free_sgpr 48
		.amdhsa_accum_offset 20
		.amdhsa_reserve_vcc 1
		.amdhsa_float_round_mode_32 0
		.amdhsa_float_round_mode_16_64 0
		.amdhsa_float_denorm_mode_32 3
		.amdhsa_float_denorm_mode_16_64 3
		.amdhsa_dx10_clamp 1
		.amdhsa_ieee_mode 1
		.amdhsa_fp16_overflow 0
		.amdhsa_tg_split 0
		.amdhsa_exception_fp_ieee_invalid_op 0
		.amdhsa_exception_fp_denorm_src 0
		.amdhsa_exception_fp_ieee_div_zero 0
		.amdhsa_exception_fp_ieee_overflow 0
		.amdhsa_exception_fp_ieee_underflow 0
		.amdhsa_exception_fp_ieee_inexact 0
		.amdhsa_exception_int_div_zero 0
	.end_amdhsa_kernel
	.section	.text._ZN4vllm38concat_and_cache_mla_rope_fused_kernelIfN3c108BFloat16ELb1EttLNS_18Fp8KVCacheDataTypeE0EEEvPKlPT_S7_PKS6_PKT0_illlliPT3_S5_iiiiPKf,"axG",@progbits,_ZN4vllm38concat_and_cache_mla_rope_fused_kernelIfN3c108BFloat16ELb1EttLNS_18Fp8KVCacheDataTypeE0EEEvPKlPT_S7_PKS6_PKT0_illlliPT3_S5_iiiiPKf,comdat
.Lfunc_end22:
	.size	_ZN4vllm38concat_and_cache_mla_rope_fused_kernelIfN3c108BFloat16ELb1EttLNS_18Fp8KVCacheDataTypeE0EEEvPKlPT_S7_PKS6_PKT0_illlliPT3_S5_iiiiPKf, .Lfunc_end22-_ZN4vllm38concat_and_cache_mla_rope_fused_kernelIfN3c108BFloat16ELb1EttLNS_18Fp8KVCacheDataTypeE0EEEvPKlPT_S7_PKS6_PKT0_illlliPT3_S5_iiiiPKf
                                        ; -- End function
	.section	.AMDGPU.csdata,"",@progbits
; Kernel info:
; codeLenInByte = 1972
; NumSgprs: 54
; NumVgprs: 17
; NumAgprs: 0
; TotalNumVgprs: 17
; ScratchSize: 0
; MemoryBound: 0
; FloatMode: 240
; IeeeMode: 1
; LDSByteSize: 0 bytes/workgroup (compile time only)
; SGPRBlocks: 6
; VGPRBlocks: 2
; NumSGPRsForWavesPerEU: 54
; NumVGPRsForWavesPerEU: 17
; AccumOffset: 20
; Occupancy: 8
; WaveLimiterHint : 1
; COMPUTE_PGM_RSRC2:SCRATCH_EN: 0
; COMPUTE_PGM_RSRC2:USER_SGPR: 2
; COMPUTE_PGM_RSRC2:TRAP_HANDLER: 0
; COMPUTE_PGM_RSRC2:TGID_X_EN: 1
; COMPUTE_PGM_RSRC2:TGID_Y_EN: 0
; COMPUTE_PGM_RSRC2:TGID_Z_EN: 0
; COMPUTE_PGM_RSRC2:TIDIG_COMP_CNT: 0
; COMPUTE_PGM_RSRC3_GFX90A:ACCUM_OFFSET: 4
; COMPUTE_PGM_RSRC3_GFX90A:TG_SPLIT: 0
	.section	.text._ZN4vllm38concat_and_cache_mla_rope_fused_kernelIfN3c108BFloat16ELb0EttLNS_18Fp8KVCacheDataTypeE0EEEvPKlPT_S7_PKS6_PKT0_illlliPT3_S5_iiiiPKf,"axG",@progbits,_ZN4vllm38concat_and_cache_mla_rope_fused_kernelIfN3c108BFloat16ELb0EttLNS_18Fp8KVCacheDataTypeE0EEEvPKlPT_S7_PKS6_PKT0_illlliPT3_S5_iiiiPKf,comdat
	.protected	_ZN4vllm38concat_and_cache_mla_rope_fused_kernelIfN3c108BFloat16ELb0EttLNS_18Fp8KVCacheDataTypeE0EEEvPKlPT_S7_PKS6_PKT0_illlliPT3_S5_iiiiPKf ; -- Begin function _ZN4vllm38concat_and_cache_mla_rope_fused_kernelIfN3c108BFloat16ELb0EttLNS_18Fp8KVCacheDataTypeE0EEEvPKlPT_S7_PKS6_PKT0_illlliPT3_S5_iiiiPKf
	.globl	_ZN4vllm38concat_and_cache_mla_rope_fused_kernelIfN3c108BFloat16ELb0EttLNS_18Fp8KVCacheDataTypeE0EEEvPKlPT_S7_PKS6_PKT0_illlliPT3_S5_iiiiPKf
	.p2align	8
	.type	_ZN4vllm38concat_and_cache_mla_rope_fused_kernelIfN3c108BFloat16ELb0EttLNS_18Fp8KVCacheDataTypeE0EEEvPKlPT_S7_PKS6_PKT0_illlliPT3_S5_iiiiPKf,@function
_ZN4vllm38concat_and_cache_mla_rope_fused_kernelIfN3c108BFloat16ELb0EttLNS_18Fp8KVCacheDataTypeE0EEEvPKlPT_S7_PKS6_PKT0_illlliPT3_S5_iiiiPKf: ; @_ZN4vllm38concat_and_cache_mla_rope_fused_kernelIfN3c108BFloat16ELb0EttLNS_18Fp8KVCacheDataTypeE0EEEvPKlPT_S7_PKS6_PKT0_illlliPT3_S5_iiiiPKf
; %bb.0:
	s_load_dwordx2 s[6:7], s[0:1], 0x60
	s_mov_b32 s3, 0
	s_lshl_b64 s[4:5], s[2:3], 3
	s_waitcnt lgkmcnt(0)
	s_add_u32 s6, s6, s4
	s_addc_u32 s7, s7, s5
	s_load_dwordx2 s[26:27], s[6:7], 0x0
	s_waitcnt lgkmcnt(0)
	v_cmp_lt_i64_e64 s[6:7], s[26:27], 0
	s_and_b64 vcc, exec, s[6:7]
	s_cbranch_vccnz .LBB23_13
; %bb.1:
	s_load_dword s3, s[0:1], 0x28
	s_load_dwordx2 s[6:7], s[0:1], 0x0
	s_load_dwordx4 s[12:15], s[0:1], 0x10
	v_lshlrev_b32_e32 v2, 1, v0
	s_waitcnt lgkmcnt(0)
	s_ashr_i32 s22, s3, 31
	s_add_u32 s16, s6, s4
	s_addc_u32 s17, s7, s5
	s_load_dwordx2 s[18:19], s[16:17], 0x0
	s_load_dwordx2 s[24:25], s[0:1], 0x20
	s_load_dwordx8 s[4:11], s[0:1], 0x30
	s_load_dwordx2 s[20:21], s[0:1], 0x58
	s_load_dword s23, s[0:1], 0x50
	s_waitcnt lgkmcnt(0)
	s_mul_i32 s16, s18, s22
	s_mul_hi_u32 s17, s18, s3
	s_mul_i32 s19, s19, s3
	s_add_i32 s16, s17, s16
	s_add_i32 s29, s16, s19
	s_lshr_b32 s16, s3, 31
	s_mul_i32 s28, s18, s3
	s_add_i32 s3, s3, s16
	s_ashr_i32 s22, s3, 1
	s_mul_i32 s3, s22, s23
	v_cmp_gt_i32_e32 vcc, s3, v0
	s_and_saveexec_b64 s[16:17], vcc
	s_cbranch_execz .LBB23_4
; %bb.2:
	s_load_dwordx2 s[30:31], s[0:1], 0x8
	s_load_dword s34, s[0:1], 0x8c
	s_lshl_b64 s[18:19], s[28:29], 1
	s_add_u32 s18, s24, s18
	s_mul_i32 s5, s2, s5
	s_mul_hi_u32 s33, s2, s4
	s_addc_u32 s19, s25, s19
	s_add_i32 s5, s33, s5
	s_mul_i32 s4, s2, s4
	s_ashr_i32 s23, s22, 31
	s_lshl_b64 s[4:5], s[4:5], 2
	s_waitcnt lgkmcnt(0)
	s_add_u32 s4, s30, s4
	s_addc_u32 s5, s31, s5
	s_abs_i32 s33, s22
	v_cvt_f32_u32_e32 v1, s33
	s_sub_i32 s30, 0, s33
	s_and_b32 s34, s34, 0xffff
	s_sub_i32 s35, 0, s22
	v_rcp_iflag_f32_e32 v1, v1
	s_lshl_b32 s37, s34, 1
	v_mov_b32_e32 v4, v2
	v_mov_b32_e32 v6, v0
	v_mul_f32_e32 v1, 0x4f7ffffe, v1
	v_cvt_u32_f32_e32 v1, v1
	v_mul_lo_u32 v3, s30, v1
	v_mul_hi_u32 v3, v1, v3
	s_lshl_b32 s30, s22, 1
	v_add_u32_e32 v1, v1, v3
	s_sub_i32 s36, 0, s30
	s_mov_b64 s[30:31], 0
.LBB23_3:                               ; =>This Inner Loop Header: Depth=1
	v_sub_u32_e32 v5, 0, v6
	v_max_i32_e32 v5, v6, v5
	v_mul_hi_u32 v7, v5, v1
	v_mul_lo_u32 v8, v7, s33
	v_sub_u32_e32 v5, v5, v8
	v_add_u32_e32 v9, 1, v7
	v_cmp_le_u32_e32 vcc, s33, v5
	v_subrev_u32_e32 v8, s33, v5
	v_ashrrev_i32_e32 v3, 31, v6
	v_cndmask_b32_e32 v7, v7, v9, vcc
	v_cndmask_b32_e32 v5, v5, v8, vcc
	v_add_u32_e32 v8, 1, v7
	v_cmp_le_u32_e32 vcc, s33, v5
	v_xor_b32_e32 v3, s23, v3
	s_nop 0
	v_cndmask_b32_e32 v5, v7, v8, vcc
	v_xor_b32_e32 v5, v5, v3
	v_sub_u32_e32 v3, v5, v3
	v_ashrrev_i32_e32 v5, 31, v3
	v_mad_u64_u32 v[8:9], s[38:39], s35, v3, v[6:7]
	v_mul_lo_u32 v7, v3, s7
	v_mad_u64_u32 v[10:11], s[38:39], v3, s6, 0
	v_mad_u64_u32 v[12:13], s[38:39], s36, v3, v[4:5]
	v_mul_lo_u32 v3, v5, s6
	v_ashrrev_i32_e32 v9, 31, v8
	v_add3_u32 v11, v11, v7, v3
	v_ashrrev_i32_e32 v13, 31, v12
	v_lshl_add_u64 v[8:9], v[8:9], 1, s[18:19]
	v_lshl_add_u64 v[10:11], v[10:11], 2, s[4:5]
	;; [unrolled: 1-line block ×3, first 2 shown]
	global_load_ushort v3, v[8:9], off
	global_load_ushort v5, v[14:15], off
	v_lshl_add_u64 v[8:9], v[12:13], 2, v[10:11]
	global_load_dwordx2 v[10:11], v[8:9], off
	v_add_u32_e32 v6, s34, v6
	v_cmp_le_i32_e32 vcc, s3, v6
	v_add_u32_e32 v4, s37, v4
	s_or_b64 s[30:31], vcc, s[30:31]
	s_waitcnt vmcnt(2)
	v_lshlrev_b32_e32 v3, 16, v3
	s_waitcnt vmcnt(1)
	v_lshlrev_b32_e32 v5, 16, v5
	s_waitcnt vmcnt(0)
	v_mul_f32_e32 v7, v11, v5
	v_mul_f32_e32 v13, v10, v5
	v_fma_f32 v12, v10, v3, -v7
	v_fmac_f32_e32 v13, v11, v3
	global_store_dwordx2 v[8:9], v[12:13], off
	s_andn2_b64 exec, exec, s[30:31]
	s_cbranch_execnz .LBB23_3
.LBB23_4:
	s_or_b64 exec, exec, s[16:17]
	s_load_dwordx4 s[16:19], s[0:1], 0x68
	s_waitcnt lgkmcnt(0)
	s_ashr_i32 s7, s19, 31
	s_mov_b32 s6, s19
	s_or_b64 s[4:5], s[26:27], s[6:7]
	s_mov_b32 s4, 0
	s_cmp_lg_u64 s[4:5], 0
	s_cbranch_scc0 .LBB23_14
; %bb.5:
	s_add_u32 s4, s6, s7
	s_mov_b32 s34, s7
	s_mov_b32 s35, s7
	s_addc_u32 s5, s7, s7
	s_xor_b64 s[36:37], s[4:5], s[34:35]
	v_cvt_f32_u32_e32 v1, s36
	v_cvt_f32_u32_e32 v3, s37
	s_sub_u32 s3, 0, s36
	s_subb_u32 s4, 0, s37
	v_fmamk_f32 v1, v3, 0x4f800000, v1
	v_rcp_f32_e32 v1, v1
	s_nop 0
	v_mul_f32_e32 v1, 0x5f7ffffc, v1
	v_mul_f32_e32 v3, 0x2f800000, v1
	v_trunc_f32_e32 v3, v3
	v_fmamk_f32 v1, v3, 0xcf800000, v1
	v_cvt_u32_f32_e32 v3, v3
	v_cvt_u32_f32_e32 v1, v1
	v_readfirstlane_b32 s5, v3
	v_readfirstlane_b32 s19, v1
	s_mul_i32 s23, s3, s5
	s_mul_hi_u32 s38, s3, s19
	s_mul_i32 s33, s4, s19
	s_add_i32 s23, s38, s23
	s_add_i32 s23, s23, s33
	s_mul_i32 s39, s3, s19
	s_mul_hi_u32 s33, s19, s23
	s_mul_i32 s38, s19, s23
	s_mul_hi_u32 s19, s19, s39
	s_add_u32 s19, s19, s38
	s_addc_u32 s33, 0, s33
	s_mul_hi_u32 s40, s5, s39
	s_mul_i32 s39, s5, s39
	s_add_u32 s19, s19, s39
	s_mul_hi_u32 s38, s5, s23
	s_addc_u32 s19, s33, s40
	s_addc_u32 s33, s38, 0
	s_mul_i32 s23, s5, s23
	s_add_u32 s19, s19, s23
	s_addc_u32 s23, 0, s33
	v_add_co_u32_e32 v1, vcc, s19, v1
	s_cmp_lg_u64 vcc, 0
	s_addc_u32 s5, s5, s23
	v_readfirstlane_b32 s23, v1
	s_mul_i32 s19, s3, s5
	s_mul_hi_u32 s33, s3, s23
	s_add_i32 s19, s33, s19
	s_mul_i32 s4, s4, s23
	s_add_i32 s19, s19, s4
	s_mul_i32 s3, s3, s23
	s_mul_hi_u32 s33, s5, s3
	s_mul_i32 s38, s5, s3
	s_mul_i32 s40, s23, s19
	s_mul_hi_u32 s3, s23, s3
	s_mul_hi_u32 s39, s23, s19
	s_add_u32 s3, s3, s40
	s_addc_u32 s23, 0, s39
	s_add_u32 s3, s3, s38
	s_mul_hi_u32 s4, s5, s19
	s_addc_u32 s3, s23, s33
	s_addc_u32 s4, s4, 0
	s_mul_i32 s19, s5, s19
	s_add_u32 s3, s3, s19
	s_addc_u32 s4, 0, s4
	v_add_co_u32_e32 v1, vcc, s3, v1
	s_cmp_lg_u64 vcc, 0
	s_addc_u32 s3, s5, s4
	s_ashr_i32 s38, s27, 31
	s_add_u32 s4, s26, s38
	s_mov_b32 s39, s38
	s_addc_u32 s5, s27, s38
	s_xor_b64 s[40:41], s[4:5], s[38:39]
	v_readfirstlane_b32 s19, v1
	s_mul_i32 s5, s40, s3
	s_mul_hi_u32 s23, s40, s19
	s_mul_hi_u32 s4, s40, s3
	s_add_u32 s5, s23, s5
	s_addc_u32 s4, 0, s4
	s_mul_hi_u32 s33, s41, s19
	s_mul_i32 s19, s41, s19
	s_add_u32 s5, s5, s19
	s_mul_hi_u32 s23, s41, s3
	s_addc_u32 s4, s4, s33
	s_addc_u32 s5, s23, 0
	s_mul_i32 s3, s41, s3
	s_add_u32 s3, s4, s3
	s_addc_u32 s19, 0, s5
	s_mul_i32 s4, s36, s19
	s_mul_hi_u32 s5, s36, s3
	s_add_i32 s4, s5, s4
	s_mul_i32 s5, s37, s3
	s_add_i32 s23, s4, s5
	s_mul_i32 s5, s36, s3
	v_mov_b32_e32 v1, s5
	s_sub_i32 s4, s41, s23
	v_sub_co_u32_e32 v1, vcc, s40, v1
	s_cmp_lg_u64 vcc, 0
	s_subb_u32 s33, s4, s37
	v_subrev_co_u32_e64 v3, s[4:5], s36, v1
	s_cmp_lg_u64 s[4:5], 0
	s_subb_u32 s4, s33, 0
	s_cmp_ge_u32 s4, s37
	v_readfirstlane_b32 s33, v3
	s_cselect_b32 s5, -1, 0
	s_cmp_ge_u32 s33, s36
	s_cselect_b32 s33, -1, 0
	s_cmp_eq_u32 s4, s37
	s_cselect_b32 s4, s33, s5
	s_add_u32 s5, s3, 1
	s_addc_u32 s33, s19, 0
	s_add_u32 s40, s3, 2
	s_addc_u32 s42, s19, 0
	s_cmp_lg_u32 s4, 0
	s_cselect_b32 s4, s40, s5
	s_cselect_b32 s5, s42, s33
	s_cmp_lg_u64 vcc, 0
	s_subb_u32 s23, s41, s23
	s_cmp_ge_u32 s23, s37
	v_readfirstlane_b32 s40, v1
	s_cselect_b32 s33, -1, 0
	s_cmp_ge_u32 s40, s36
	s_cselect_b32 s36, -1, 0
	s_cmp_eq_u32 s23, s37
	s_cselect_b32 s23, s36, s33
	s_cmp_lg_u32 s23, 0
	s_cselect_b32 s5, s5, s19
	s_cselect_b32 s4, s4, s3
	s_xor_b64 s[34:35], s[38:39], s[34:35]
	s_xor_b64 s[4:5], s[4:5], s[34:35]
	s_sub_u32 s4, s4, s34
	s_subb_u32 s5, s5, s35
	s_cbranch_execnz .LBB23_7
.LBB23_6:
	v_cvt_f32_u32_e32 v1, s6
	s_sub_i32 s3, 0, s6
	s_mov_b32 s5, 0
	v_rcp_iflag_f32_e32 v1, v1
	s_nop 0
	v_mul_f32_e32 v1, 0x4f7ffffe, v1
	v_cvt_u32_f32_e32 v1, v1
	s_nop 0
	v_readfirstlane_b32 s4, v1
	s_mul_i32 s3, s3, s4
	s_mul_hi_u32 s3, s4, s3
	s_add_i32 s4, s4, s3
	s_mul_hi_u32 s3, s26, s4
	s_mul_i32 s19, s3, s6
	s_sub_i32 s19, s26, s19
	s_add_i32 s4, s3, 1
	s_sub_i32 s23, s19, s6
	s_cmp_ge_u32 s19, s6
	s_cselect_b32 s3, s4, s3
	s_cselect_b32 s19, s23, s19
	s_add_i32 s4, s3, 1
	s_cmp_ge_u32 s19, s6
	s_cselect_b32 s4, s4, s3
.LBB23_7:
	s_mul_i32 s3, s4, s7
	s_mul_hi_u32 s7, s4, s6
	s_add_i32 s3, s7, s3
	s_mul_i32 s7, s5, s6
	s_add_i32 s3, s3, s7
	s_mul_i32 s6, s4, s6
	s_sub_u32 s33, s26, s6
	s_subb_u32 s3, s27, s3
	v_cmp_gt_i32_e32 vcc, s22, v0
	s_mul_hi_u32 s37, s4, s16
	s_mul_i32 s38, s5, s16
	s_mul_i32 s26, s4, s16
	s_mul_hi_u32 s36, s33, s17
	s_mul_i32 s5, s3, s17
	s_mul_i32 s6, s33, s17
	s_and_saveexec_b64 s[30:31], vcc
	s_cbranch_execz .LBB23_10
; %bb.8:
	s_load_dword s3, s[0:1], 0x8c
	s_ashr_i32 s23, s22, 31
	s_ashr_i32 s7, s16, 31
	;; [unrolled: 1-line block ×4, first 2 shown]
	s_waitcnt lgkmcnt(0)
	s_and_b32 s3, s3, 0xffff
	s_lshl_b64 s[34:35], s[28:29], 1
	s_add_u32 s24, s24, s34
	v_mov_b32_e32 v3, 0
	s_addc_u32 s25, s25, s35
	v_lshl_add_u64 v[4:5], s[24:25], 0, v[2:3]
	s_lshl_b64 s[24:25], s[22:23], 1
	s_mul_i32 s9, s9, s2
	s_mul_hi_u32 s23, s8, s2
	s_add_i32 s9, s23, s9
	s_mul_i32 s8, s8, s2
	s_lshl_b32 s28, s3, 1
	s_lshl_b64 s[8:9], s[8:9], 2
	s_add_u32 s8, s12, s8
	s_mul_i32 s7, s4, s7
	s_addc_u32 s9, s13, s9
	s_add_i32 s7, s37, s7
	s_add_i32 s27, s7, s38
	s_mul_i32 s7, s33, s39
	s_add_i32 s7, s36, s7
	v_lshlrev_b32_e32 v2, 3, v0
	s_add_i32 s7, s7, s5
	v_lshl_add_u64 v[6:7], s[8:9], 0, v[2:3]
	s_lshl_b32 s8, s3, 3
	s_lshl_b64 s[12:13], s[26:27], 1
	s_lshl_b64 s[34:35], s[6:7], 1
	s_add_u32 s7, s12, s34
	s_addc_u32 s23, s13, s35
	s_lshl_b64 s[12:13], s[18:19], 1
	s_add_u32 s12, s20, s12
	s_addc_u32 s13, s21, s13
	s_add_u32 s12, s12, s7
	s_mov_b32 s29, 0
	v_lshlrev_b32_e32 v2, 2, v0
	s_addc_u32 s13, s13, s23
	v_lshl_add_u64 v[6:7], v[6:7], 0, 4
	s_mov_b32 s9, s29
	v_lshl_add_u64 v[2:3], s[12:13], 0, v[2:3]
	s_lshl_b32 s12, s3, 2
	s_mov_b32 s13, s29
	s_mov_b64 s[34:35], 0
	s_mov_b32 s7, 0x5040100
	v_mov_b32_e32 v1, v0
.LBB23_9:                               ; =>This Inner Loop Header: Depth=1
	global_load_ushort v12, v[4:5], off
	v_lshl_add_u64 v[8:9], v[4:5], 0, s[24:25]
	global_load_ushort v13, v[8:9], off
	global_load_dwordx2 v[10:11], v[6:7], off offset:-4
	v_add_u32_e32 v1, s3, v1
	v_cmp_le_i32_e32 vcc, s22, v1
	v_lshl_add_u64 v[4:5], v[4:5], 0, s[28:29]
	s_or_b64 s[34:35], vcc, s[34:35]
	s_waitcnt vmcnt(2)
	v_lshlrev_b32_e32 v8, 16, v12
	s_waitcnt vmcnt(1)
	v_lshlrev_b32_e32 v12, 16, v13
	s_waitcnt vmcnt(0)
	v_pk_mul_f32 v[12:13], v[10:11], v[12:13] op_sel_hi:[1,0]
	s_nop 0
	v_pk_fma_f32 v[14:15], v[10:11], v[8:9], v[12:13] op_sel:[0,0,1] op_sel_hi:[1,1,0] neg_lo:[0,0,1] neg_hi:[0,0,1]
	v_pk_fma_f32 v[8:9], v[10:11], v[8:9], v[12:13] op_sel:[0,0,1] op_sel_hi:[1,0,0]
	s_nop 0
	v_mov_b32_e32 v15, v9
	v_perm_b32 v8, v9, v14, s7
	global_store_dwordx2 v[6:7], v[14:15], off offset:-4
	global_store_dword v[2:3], v8, off
	v_lshl_add_u64 v[6:7], v[6:7], 0, s[8:9]
	v_lshl_add_u64 v[2:3], v[2:3], 0, s[12:13]
	s_andn2_b64 exec, exec, s[34:35]
	s_cbranch_execnz .LBB23_9
.LBB23_10:
	s_or_b64 exec, exec, s[30:31]
	v_cmp_gt_i32_e32 vcc, s18, v0
	s_and_saveexec_b64 s[8:9], vcc
	s_cbranch_execz .LBB23_13
; %bb.11:
	s_mul_i32 s3, s2, s11
	s_mul_hi_u32 s7, s2, s10
	s_add_i32 s3, s7, s3
	s_mul_i32 s2, s2, s10
	s_lshl_b64 s[2:3], s[2:3], 2
	s_add_u32 s2, s14, s2
	s_addc_u32 s3, s15, s3
	s_ashr_i32 s7, s16, 31
	s_mul_i32 s4, s4, s7
	s_add_i32 s4, s37, s4
	s_add_i32 s27, s4, s38
	s_lshl_b64 s[8:9], s[26:27], 1
	s_add_u32 s4, s20, s8
	s_addc_u32 s8, s21, s9
	s_ashr_i32 s7, s17, 31
	s_mul_i32 s33, s33, s7
	s_load_dword s9, s[0:1], 0x8c
	s_add_i32 s7, s36, s33
	s_add_i32 s7, s7, s5
	s_lshl_b64 s[0:1], s[6:7], 1
	s_add_u32 s0, s4, s0
	s_addc_u32 s1, s8, s1
	s_waitcnt lgkmcnt(0)
	s_and_b32 s6, s9, 0xffff
	s_mov_b64 s[4:5], 0
.LBB23_12:                              ; =>This Inner Loop Header: Depth=1
	v_ashrrev_i32_e32 v1, 31, v0
	v_lshl_add_u64 v[2:3], v[0:1], 2, s[2:3]
	global_load_ushort v4, v[2:3], off
	v_lshl_add_u64 v[2:3], v[0:1], 1, s[0:1]
	v_add_u32_e32 v0, s6, v0
	v_cmp_le_i32_e32 vcc, s18, v0
	s_or_b64 s[4:5], vcc, s[4:5]
	s_waitcnt vmcnt(0)
	global_store_short v[2:3], v4, off
	s_andn2_b64 exec, exec, s[4:5]
	s_cbranch_execnz .LBB23_12
.LBB23_13:
	s_endpgm
.LBB23_14:
                                        ; implicit-def: $sgpr4_sgpr5
	s_branch .LBB23_6
	.section	.rodata,"a",@progbits
	.p2align	6, 0x0
	.amdhsa_kernel _ZN4vllm38concat_and_cache_mla_rope_fused_kernelIfN3c108BFloat16ELb0EttLNS_18Fp8KVCacheDataTypeE0EEEvPKlPT_S7_PKS6_PKT0_illlliPT3_S5_iiiiPKf
		.amdhsa_group_segment_fixed_size 0
		.amdhsa_private_segment_fixed_size 0
		.amdhsa_kernarg_size 384
		.amdhsa_user_sgpr_count 2
		.amdhsa_user_sgpr_dispatch_ptr 0
		.amdhsa_user_sgpr_queue_ptr 0
		.amdhsa_user_sgpr_kernarg_segment_ptr 1
		.amdhsa_user_sgpr_dispatch_id 0
		.amdhsa_user_sgpr_kernarg_preload_length 0
		.amdhsa_user_sgpr_kernarg_preload_offset 0
		.amdhsa_user_sgpr_private_segment_size 0
		.amdhsa_uses_dynamic_stack 0
		.amdhsa_enable_private_segment 0
		.amdhsa_system_sgpr_workgroup_id_x 1
		.amdhsa_system_sgpr_workgroup_id_y 0
		.amdhsa_system_sgpr_workgroup_id_z 0
		.amdhsa_system_sgpr_workgroup_info 0
		.amdhsa_system_vgpr_workitem_id 0
		.amdhsa_next_free_vgpr 16
		.amdhsa_next_free_sgpr 43
		.amdhsa_accum_offset 16
		.amdhsa_reserve_vcc 1
		.amdhsa_float_round_mode_32 0
		.amdhsa_float_round_mode_16_64 0
		.amdhsa_float_denorm_mode_32 3
		.amdhsa_float_denorm_mode_16_64 3
		.amdhsa_dx10_clamp 1
		.amdhsa_ieee_mode 1
		.amdhsa_fp16_overflow 0
		.amdhsa_tg_split 0
		.amdhsa_exception_fp_ieee_invalid_op 0
		.amdhsa_exception_fp_denorm_src 0
		.amdhsa_exception_fp_ieee_div_zero 0
		.amdhsa_exception_fp_ieee_overflow 0
		.amdhsa_exception_fp_ieee_underflow 0
		.amdhsa_exception_fp_ieee_inexact 0
		.amdhsa_exception_int_div_zero 0
	.end_amdhsa_kernel
	.section	.text._ZN4vllm38concat_and_cache_mla_rope_fused_kernelIfN3c108BFloat16ELb0EttLNS_18Fp8KVCacheDataTypeE0EEEvPKlPT_S7_PKS6_PKT0_illlliPT3_S5_iiiiPKf,"axG",@progbits,_ZN4vllm38concat_and_cache_mla_rope_fused_kernelIfN3c108BFloat16ELb0EttLNS_18Fp8KVCacheDataTypeE0EEEvPKlPT_S7_PKS6_PKT0_illlliPT3_S5_iiiiPKf,comdat
.Lfunc_end23:
	.size	_ZN4vllm38concat_and_cache_mla_rope_fused_kernelIfN3c108BFloat16ELb0EttLNS_18Fp8KVCacheDataTypeE0EEEvPKlPT_S7_PKS6_PKT0_illlliPT3_S5_iiiiPKf, .Lfunc_end23-_ZN4vllm38concat_and_cache_mla_rope_fused_kernelIfN3c108BFloat16ELb0EttLNS_18Fp8KVCacheDataTypeE0EEEvPKlPT_S7_PKS6_PKT0_illlliPT3_S5_iiiiPKf
                                        ; -- End function
	.section	.AMDGPU.csdata,"",@progbits
; Kernel info:
; codeLenInByte = 1936
; NumSgprs: 49
; NumVgprs: 16
; NumAgprs: 0
; TotalNumVgprs: 16
; ScratchSize: 0
; MemoryBound: 0
; FloatMode: 240
; IeeeMode: 1
; LDSByteSize: 0 bytes/workgroup (compile time only)
; SGPRBlocks: 6
; VGPRBlocks: 1
; NumSGPRsForWavesPerEU: 49
; NumVGPRsForWavesPerEU: 16
; AccumOffset: 16
; Occupancy: 8
; WaveLimiterHint : 1
; COMPUTE_PGM_RSRC2:SCRATCH_EN: 0
; COMPUTE_PGM_RSRC2:USER_SGPR: 2
; COMPUTE_PGM_RSRC2:TRAP_HANDLER: 0
; COMPUTE_PGM_RSRC2:TGID_X_EN: 1
; COMPUTE_PGM_RSRC2:TGID_Y_EN: 0
; COMPUTE_PGM_RSRC2:TGID_Z_EN: 0
; COMPUTE_PGM_RSRC2:TIDIG_COMP_CNT: 0
; COMPUTE_PGM_RSRC3_GFX90A:ACCUM_OFFSET: 3
; COMPUTE_PGM_RSRC3_GFX90A:TG_SPLIT: 0
	.section	.text._ZN4vllm38concat_and_cache_mla_rope_fused_kernelIN3c104HalfEfLb1EttLNS_18Fp8KVCacheDataTypeE0EEEvPKlPT_S7_PKS6_PKT0_illlliPT3_S5_iiiiPKf,"axG",@progbits,_ZN4vllm38concat_and_cache_mla_rope_fused_kernelIN3c104HalfEfLb1EttLNS_18Fp8KVCacheDataTypeE0EEEvPKlPT_S7_PKS6_PKT0_illlliPT3_S5_iiiiPKf,comdat
	.protected	_ZN4vllm38concat_and_cache_mla_rope_fused_kernelIN3c104HalfEfLb1EttLNS_18Fp8KVCacheDataTypeE0EEEvPKlPT_S7_PKS6_PKT0_illlliPT3_S5_iiiiPKf ; -- Begin function _ZN4vllm38concat_and_cache_mla_rope_fused_kernelIN3c104HalfEfLb1EttLNS_18Fp8KVCacheDataTypeE0EEEvPKlPT_S7_PKS6_PKT0_illlliPT3_S5_iiiiPKf
	.globl	_ZN4vllm38concat_and_cache_mla_rope_fused_kernelIN3c104HalfEfLb1EttLNS_18Fp8KVCacheDataTypeE0EEEvPKlPT_S7_PKS6_PKT0_illlliPT3_S5_iiiiPKf
	.p2align	8
	.type	_ZN4vllm38concat_and_cache_mla_rope_fused_kernelIN3c104HalfEfLb1EttLNS_18Fp8KVCacheDataTypeE0EEEvPKlPT_S7_PKS6_PKT0_illlliPT3_S5_iiiiPKf,@function
_ZN4vllm38concat_and_cache_mla_rope_fused_kernelIN3c104HalfEfLb1EttLNS_18Fp8KVCacheDataTypeE0EEEvPKlPT_S7_PKS6_PKT0_illlliPT3_S5_iiiiPKf: ; @_ZN4vllm38concat_and_cache_mla_rope_fused_kernelIN3c104HalfEfLb1EttLNS_18Fp8KVCacheDataTypeE0EEEvPKlPT_S7_PKS6_PKT0_illlliPT3_S5_iiiiPKf
; %bb.0:
	s_load_dwordx2 s[6:7], s[0:1], 0x60
	s_mov_b32 s3, 0
	s_lshl_b64 s[4:5], s[2:3], 3
	s_waitcnt lgkmcnt(0)
	s_add_u32 s6, s6, s4
	s_addc_u32 s7, s7, s5
	s_load_dwordx2 s[28:29], s[6:7], 0x0
	s_waitcnt lgkmcnt(0)
	v_cmp_lt_i64_e64 s[6:7], s[28:29], 0
	s_and_b64 vcc, exec, s[6:7]
	s_cbranch_vccnz .LBB24_13
; %bb.1:
	s_load_dword s3, s[0:1], 0x28
	s_load_dwordx2 s[6:7], s[0:1], 0x0
	s_load_dwordx4 s[12:15], s[0:1], 0x10
	s_waitcnt lgkmcnt(0)
	s_ashr_i32 s22, s3, 31
	s_add_u32 s16, s6, s4
	s_addc_u32 s17, s7, s5
	s_load_dwordx2 s[18:19], s[16:17], 0x0
	s_load_dwordx2 s[24:25], s[0:1], 0x20
	s_load_dwordx8 s[4:11], s[0:1], 0x30
	s_load_dwordx2 s[20:21], s[0:1], 0x58
	s_load_dword s23, s[0:1], 0x50
	s_waitcnt lgkmcnt(0)
	s_mul_i32 s16, s18, s22
	s_mul_hi_u32 s17, s18, s3
	s_mul_i32 s19, s19, s3
	s_add_i32 s16, s17, s16
	s_add_i32 s27, s16, s19
	s_lshr_b32 s16, s3, 31
	s_mul_i32 s26, s18, s3
	s_add_i32 s3, s3, s16
	s_ashr_i32 s22, s3, 1
	s_mul_i32 s3, s22, s23
	v_cmp_gt_i32_e32 vcc, s3, v0
	s_and_saveexec_b64 s[16:17], vcc
	s_cbranch_execz .LBB24_4
; %bb.2:
	s_load_dwordx2 s[30:31], s[0:1], 0x8
	s_load_dword s34, s[0:1], 0x8c
	s_lshl_b64 s[18:19], s[26:27], 2
	s_add_u32 s18, s24, s18
	s_mul_i32 s5, s2, s5
	s_mul_hi_u32 s33, s2, s4
	s_addc_u32 s19, s25, s19
	s_add_i32 s5, s33, s5
	s_mul_i32 s4, s2, s4
	s_ashr_i32 s23, s22, 31
	s_lshl_b64 s[4:5], s[4:5], 1
	s_waitcnt lgkmcnt(0)
	s_add_u32 s4, s30, s4
	s_addc_u32 s5, s31, s5
	s_abs_i32 s33, s22
	v_cvt_f32_u32_e32 v1, s33
	s_sub_i32 s30, 0, s33
	s_and_b32 s34, s34, 0xffff
	s_sub_i32 s35, 0, s22
	v_rcp_iflag_f32_e32 v1, v1
	s_nop 0
	v_mul_f32_e32 v1, 0x4f7ffffe, v1
	v_cvt_u32_f32_e32 v1, v1
	v_mul_lo_u32 v2, s30, v1
	v_mul_hi_u32 v2, v1, v2
	v_add_u32_e32 v1, v1, v2
	s_mov_b64 s[30:31], 0
	v_mov_b32_e32 v2, v0
.LBB24_3:                               ; =>This Inner Loop Header: Depth=1
	v_sub_u32_e32 v4, 0, v2
	v_max_i32_e32 v4, v2, v4
	v_mul_hi_u32 v5, v4, v1
	v_mul_lo_u32 v6, v5, s33
	v_sub_u32_e32 v4, v4, v6
	v_add_u32_e32 v7, 1, v5
	v_cmp_le_u32_e32 vcc, s33, v4
	v_subrev_u32_e32 v6, s33, v4
	v_ashrrev_i32_e32 v3, 31, v2
	v_cndmask_b32_e32 v5, v5, v7, vcc
	v_cndmask_b32_e32 v4, v4, v6, vcc
	v_add_u32_e32 v6, 1, v5
	v_cmp_le_u32_e32 vcc, s33, v4
	v_xor_b32_e32 v3, s23, v3
	s_nop 0
	v_cndmask_b32_e32 v4, v5, v6, vcc
	v_xor_b32_e32 v4, v4, v3
	v_sub_u32_e32 v3, v4, v3
	v_mad_u64_u32 v[4:5], s[36:37], s35, v3, v[2:3]
	v_ashrrev_i32_e32 v8, 31, v3
	v_ashrrev_i32_e32 v5, 31, v4
	v_mul_lo_u32 v10, v3, s7
	v_mad_u64_u32 v[6:7], s[36:37], v3, s6, 0
	v_mul_lo_u32 v3, v8, s6
	v_lshl_add_u64 v[8:9], v[4:5], 2, s[18:19]
	v_add3_u32 v7, v7, v10, v3
	v_lshl_add_u64 v[10:11], s[22:23], 2, v[8:9]
	global_load_dword v3, v[8:9], off
	global_load_dword v12, v[10:11], off
	v_lshl_add_u64 v[6:7], v[6:7], 1, s[4:5]
	v_lshl_add_u64 v[4:5], v[4:5], 1, v[6:7]
	;; [unrolled: 1-line block ×3, first 2 shown]
	global_load_ushort v8, v[4:5], off
	global_load_ushort v9, v[6:7], off
	v_add_u32_e32 v2, s34, v2
	v_cmp_le_i32_e32 vcc, s3, v2
	s_or_b64 s[30:31], vcc, s[30:31]
	s_waitcnt vmcnt(3)
	v_cvt_f16_f32_e32 v3, v3
	s_waitcnt vmcnt(2)
	v_cvt_f16_f32_e32 v10, v12
	s_waitcnt vmcnt(0)
	v_mul_f16_e32 v11, v9, v3
	v_mul_f16_e32 v9, v9, v10
	v_fma_f16 v3, v8, v3, -v9
	v_fma_f16 v10, v8, v10, v11
	global_store_short v[4:5], v3, off
	global_store_short v[6:7], v10, off
	s_andn2_b64 exec, exec, s[30:31]
	s_cbranch_execnz .LBB24_3
.LBB24_4:
	s_or_b64 exec, exec, s[16:17]
	s_load_dwordx4 s[16:19], s[0:1], 0x68
	s_waitcnt lgkmcnt(0)
	s_ashr_i32 s7, s19, 31
	s_mov_b32 s6, s19
	s_or_b64 s[4:5], s[28:29], s[6:7]
	s_mov_b32 s4, 0
	s_cmp_lg_u64 s[4:5], 0
	s_cbranch_scc0 .LBB24_14
; %bb.5:
	s_add_u32 s4, s6, s7
	s_mov_b32 s34, s7
	s_mov_b32 s35, s7
	s_addc_u32 s5, s7, s7
	s_xor_b64 s[36:37], s[4:5], s[34:35]
	v_cvt_f32_u32_e32 v1, s36
	v_cvt_f32_u32_e32 v2, s37
	s_sub_u32 s3, 0, s36
	s_subb_u32 s4, 0, s37
	v_fmamk_f32 v1, v2, 0x4f800000, v1
	v_rcp_f32_e32 v1, v1
	s_nop 0
	v_mul_f32_e32 v1, 0x5f7ffffc, v1
	v_mul_f32_e32 v2, 0x2f800000, v1
	v_trunc_f32_e32 v2, v2
	v_fmamk_f32 v1, v2, 0xcf800000, v1
	v_cvt_u32_f32_e32 v2, v2
	v_cvt_u32_f32_e32 v1, v1
	v_readfirstlane_b32 s5, v2
	v_readfirstlane_b32 s19, v1
	s_mul_i32 s23, s3, s5
	s_mul_hi_u32 s38, s3, s19
	s_mul_i32 s33, s4, s19
	s_add_i32 s23, s38, s23
	s_add_i32 s23, s23, s33
	s_mul_i32 s39, s3, s19
	s_mul_hi_u32 s33, s19, s23
	s_mul_i32 s38, s19, s23
	s_mul_hi_u32 s19, s19, s39
	s_add_u32 s19, s19, s38
	s_addc_u32 s33, 0, s33
	s_mul_hi_u32 s40, s5, s39
	s_mul_i32 s39, s5, s39
	s_add_u32 s19, s19, s39
	s_mul_hi_u32 s38, s5, s23
	s_addc_u32 s19, s33, s40
	s_addc_u32 s33, s38, 0
	s_mul_i32 s23, s5, s23
	s_add_u32 s19, s19, s23
	s_addc_u32 s23, 0, s33
	v_add_co_u32_e32 v1, vcc, s19, v1
	s_cmp_lg_u64 vcc, 0
	s_addc_u32 s5, s5, s23
	v_readfirstlane_b32 s23, v1
	s_mul_i32 s19, s3, s5
	s_mul_hi_u32 s33, s3, s23
	s_add_i32 s19, s33, s19
	s_mul_i32 s4, s4, s23
	s_add_i32 s19, s19, s4
	s_mul_i32 s3, s3, s23
	s_mul_hi_u32 s33, s5, s3
	s_mul_i32 s38, s5, s3
	s_mul_i32 s40, s23, s19
	s_mul_hi_u32 s3, s23, s3
	s_mul_hi_u32 s39, s23, s19
	s_add_u32 s3, s3, s40
	s_addc_u32 s23, 0, s39
	s_add_u32 s3, s3, s38
	s_mul_hi_u32 s4, s5, s19
	s_addc_u32 s3, s23, s33
	s_addc_u32 s4, s4, 0
	s_mul_i32 s19, s5, s19
	s_add_u32 s3, s3, s19
	s_addc_u32 s4, 0, s4
	v_add_co_u32_e32 v1, vcc, s3, v1
	s_cmp_lg_u64 vcc, 0
	s_addc_u32 s3, s5, s4
	s_ashr_i32 s38, s29, 31
	s_add_u32 s4, s28, s38
	s_mov_b32 s39, s38
	s_addc_u32 s5, s29, s38
	s_xor_b64 s[40:41], s[4:5], s[38:39]
	v_readfirstlane_b32 s19, v1
	s_mul_i32 s5, s40, s3
	s_mul_hi_u32 s23, s40, s19
	s_mul_hi_u32 s4, s40, s3
	s_add_u32 s5, s23, s5
	s_addc_u32 s4, 0, s4
	s_mul_hi_u32 s33, s41, s19
	s_mul_i32 s19, s41, s19
	s_add_u32 s5, s5, s19
	s_mul_hi_u32 s23, s41, s3
	s_addc_u32 s4, s4, s33
	s_addc_u32 s5, s23, 0
	s_mul_i32 s3, s41, s3
	s_add_u32 s3, s4, s3
	s_addc_u32 s19, 0, s5
	s_mul_i32 s4, s36, s19
	s_mul_hi_u32 s5, s36, s3
	s_add_i32 s4, s5, s4
	s_mul_i32 s5, s37, s3
	s_add_i32 s23, s4, s5
	s_mul_i32 s5, s36, s3
	v_mov_b32_e32 v1, s5
	s_sub_i32 s4, s41, s23
	v_sub_co_u32_e32 v1, vcc, s40, v1
	s_cmp_lg_u64 vcc, 0
	s_subb_u32 s33, s4, s37
	v_subrev_co_u32_e64 v2, s[4:5], s36, v1
	s_cmp_lg_u64 s[4:5], 0
	s_subb_u32 s4, s33, 0
	s_cmp_ge_u32 s4, s37
	v_readfirstlane_b32 s33, v2
	s_cselect_b32 s5, -1, 0
	s_cmp_ge_u32 s33, s36
	s_cselect_b32 s33, -1, 0
	s_cmp_eq_u32 s4, s37
	s_cselect_b32 s4, s33, s5
	s_add_u32 s5, s3, 1
	s_addc_u32 s33, s19, 0
	s_add_u32 s40, s3, 2
	s_addc_u32 s42, s19, 0
	s_cmp_lg_u32 s4, 0
	s_cselect_b32 s4, s40, s5
	s_cselect_b32 s5, s42, s33
	s_cmp_lg_u64 vcc, 0
	s_subb_u32 s23, s41, s23
	s_cmp_ge_u32 s23, s37
	v_readfirstlane_b32 s40, v1
	s_cselect_b32 s33, -1, 0
	s_cmp_ge_u32 s40, s36
	s_cselect_b32 s36, -1, 0
	s_cmp_eq_u32 s23, s37
	s_cselect_b32 s23, s36, s33
	s_cmp_lg_u32 s23, 0
	s_cselect_b32 s5, s5, s19
	s_cselect_b32 s4, s4, s3
	s_xor_b64 s[34:35], s[38:39], s[34:35]
	s_xor_b64 s[4:5], s[4:5], s[34:35]
	s_sub_u32 s4, s4, s34
	s_subb_u32 s5, s5, s35
	s_cbranch_execnz .LBB24_7
.LBB24_6:
	v_cvt_f32_u32_e32 v1, s6
	s_sub_i32 s3, 0, s6
	s_mov_b32 s5, 0
	v_rcp_iflag_f32_e32 v1, v1
	s_nop 0
	v_mul_f32_e32 v1, 0x4f7ffffe, v1
	v_cvt_u32_f32_e32 v1, v1
	s_nop 0
	v_readfirstlane_b32 s4, v1
	s_mul_i32 s3, s3, s4
	s_mul_hi_u32 s3, s4, s3
	s_add_i32 s4, s4, s3
	s_mul_hi_u32 s3, s28, s4
	s_mul_i32 s19, s3, s6
	s_sub_i32 s19, s28, s19
	s_add_i32 s4, s3, 1
	s_sub_i32 s23, s19, s6
	s_cmp_ge_u32 s19, s6
	s_cselect_b32 s3, s4, s3
	s_cselect_b32 s19, s23, s19
	s_add_i32 s4, s3, 1
	s_cmp_ge_u32 s19, s6
	s_cselect_b32 s4, s4, s3
.LBB24_7:
	s_mul_i32 s3, s4, s7
	s_mul_hi_u32 s7, s4, s6
	s_add_i32 s3, s7, s3
	s_mul_i32 s7, s5, s6
	s_add_i32 s3, s3, s7
	s_mul_i32 s6, s4, s6
	s_sub_u32 s33, s28, s6
	s_subb_u32 s3, s29, s3
	v_cmp_gt_i32_e32 vcc, s22, v0
	s_mul_hi_u32 s41, s4, s16
	s_mul_i32 s42, s5, s16
	s_mul_i32 s28, s4, s16
	s_mul_hi_u32 s40, s33, s17
	s_mul_i32 s5, s3, s17
	s_mul_i32 s6, s33, s17
	s_and_saveexec_b64 s[30:31], vcc
	s_cbranch_execz .LBB24_10
; %bb.8:
	s_mul_i32 s3, s2, s9
	s_mul_hi_u32 s7, s2, s8
	s_add_i32 s9, s7, s3
	s_mul_i32 s8, s2, s8
	s_ashr_i32 s23, s22, 31
	s_lshl_b64 s[36:37], s[8:9], 1
	s_add_u32 s8, s12, s36
	s_addc_u32 s9, s13, s37
	s_ashr_i32 s3, s16, 31
	s_mul_i32 s3, s4, s3
	s_add_i32 s3, s41, s3
	s_add_i32 s29, s3, s42
	s_ashr_i32 s3, s17, 31
	s_mul_i32 s3, s33, s3
	s_add_i32 s3, s40, s3
	s_add_i32 s7, s3, s5
	s_lshl_b64 s[34:35], s[28:29], 1
	s_lshl_b64 s[38:39], s[6:7], 1
	s_add_u32 s29, s34, s38
	s_addc_u32 s43, s35, s39
	s_load_dword s44, s[0:1], 0x8c
	s_add_u32 s3, s29, s20
	s_addc_u32 s7, s43, s21
	s_ashr_i32 s19, s18, 31
	s_lshl_b64 s[38:39], s[18:19], 1
	s_add_u32 s34, s3, s38
	s_addc_u32 s35, s7, s39
	s_waitcnt lgkmcnt(0)
	s_and_b32 s3, s44, 0xffff
	s_lshl_b64 s[44:45], s[26:27], 2
	s_add_u32 s24, s24, s44
	v_lshlrev_b32_e32 v2, 2, v0
	v_mov_b32_e32 v3, 0
	s_addc_u32 s25, s25, s45
	v_lshl_add_u64 v[4:5], s[24:25], 0, v[2:3]
	s_lshl_b32 s26, s3, 2
	s_lshl_b64 s[24:25], s[22:23], 2
	s_lshl_b64 s[44:45], s[22:23], 1
	s_add_u32 s7, s36, s44
	s_addc_u32 s19, s37, s45
	s_add_u32 s12, s12, s7
	s_addc_u32 s13, s13, s19
	s_lshl_b32 s7, s3, 1
	s_add_u32 s19, s29, s44
	s_addc_u32 s23, s43, s45
	s_add_u32 s19, s19, s38
	s_addc_u32 s23, s23, s39
	s_add_u32 s36, s20, s19
	s_mov_b32 s27, 0
	v_lshlrev_b32_e32 v2, 1, v0
	s_addc_u32 s37, s21, s23
	s_mov_b64 s[38:39], 0
	v_mov_b32_e32 v1, v0
.LBB24_9:                               ; =>This Inner Loop Header: Depth=1
	global_load_dword v14, v[4:5], off
	v_lshl_add_u64 v[6:7], v[4:5], 0, s[24:25]
	v_lshl_add_u64 v[8:9], s[8:9], 0, v[2:3]
	v_lshl_add_u64 v[10:11], s[12:13], 0, v[2:3]
	global_load_dword v15, v[6:7], off
	global_load_ushort v16, v[10:11], off
	global_load_ushort v17, v[8:9], off
	s_add_u32 s12, s12, s7
	s_addc_u32 s13, s13, 0
	s_add_u32 s8, s8, s7
	s_addc_u32 s9, s9, 0
	v_lshl_add_u64 v[12:13], s[36:37], 0, v[2:3]
	s_add_u32 s36, s36, s7
	s_addc_u32 s37, s37, 0
	v_lshl_add_u64 v[6:7], s[34:35], 0, v[2:3]
	v_add_u32_e32 v1, s3, v1
	s_add_u32 s34, s34, s7
	v_cmp_le_i32_e32 vcc, s22, v1
	s_addc_u32 s35, s35, 0
	v_lshl_add_u64 v[4:5], v[4:5], 0, s[26:27]
	s_or_b64 s[38:39], vcc, s[38:39]
	s_waitcnt vmcnt(3)
	v_cvt_f16_f32_e32 v14, v14
	s_waitcnt vmcnt(2)
	v_cvt_f16_f32_e32 v15, v15
	s_waitcnt vmcnt(1)
	v_mul_f16_e32 v18, v16, v14
	v_mul_f16_e32 v16, v16, v15
	s_waitcnt vmcnt(0)
	v_fma_f16 v14, v17, v14, -v16
	v_fma_f16 v15, v17, v15, v18
	global_store_short v[8:9], v14, off
	global_store_short v[10:11], v15, off
	;; [unrolled: 1-line block ×4, first 2 shown]
	s_andn2_b64 exec, exec, s[38:39]
	s_cbranch_execnz .LBB24_9
.LBB24_10:
	s_or_b64 exec, exec, s[30:31]
	v_cmp_gt_i32_e32 vcc, s18, v0
	s_and_saveexec_b64 s[8:9], vcc
	s_cbranch_execz .LBB24_13
; %bb.11:
	s_mul_i32 s3, s2, s11
	s_mul_hi_u32 s7, s2, s10
	s_add_i32 s3, s7, s3
	s_mul_i32 s2, s2, s10
	s_lshl_b64 s[2:3], s[2:3], 1
	s_add_u32 s2, s14, s2
	s_addc_u32 s3, s15, s3
	s_ashr_i32 s7, s16, 31
	s_mul_i32 s4, s4, s7
	s_add_i32 s4, s41, s4
	s_add_i32 s29, s4, s42
	s_lshl_b64 s[8:9], s[28:29], 1
	s_add_u32 s4, s20, s8
	s_addc_u32 s8, s21, s9
	s_ashr_i32 s7, s17, 31
	s_mul_i32 s33, s33, s7
	s_load_dword s9, s[0:1], 0x8c
	s_add_i32 s7, s40, s33
	s_add_i32 s7, s7, s5
	s_lshl_b64 s[0:1], s[6:7], 1
	s_add_u32 s0, s4, s0
	s_addc_u32 s1, s8, s1
	s_waitcnt lgkmcnt(0)
	s_and_b32 s6, s9, 0xffff
	s_mov_b64 s[4:5], 0
.LBB24_12:                              ; =>This Inner Loop Header: Depth=1
	v_ashrrev_i32_e32 v1, 31, v0
	v_lshlrev_b64 v[2:3], 1, v[0:1]
	v_lshl_add_u64 v[4:5], s[2:3], 0, v[2:3]
	global_load_ushort v1, v[4:5], off
	v_add_u32_e32 v0, s6, v0
	v_cmp_le_i32_e32 vcc, s18, v0
	v_lshl_add_u64 v[2:3], s[0:1], 0, v[2:3]
	s_or_b64 s[4:5], vcc, s[4:5]
	s_waitcnt vmcnt(0)
	global_store_short v[2:3], v1, off
	s_andn2_b64 exec, exec, s[4:5]
	s_cbranch_execnz .LBB24_12
.LBB24_13:
	s_endpgm
.LBB24_14:
                                        ; implicit-def: $sgpr4_sgpr5
	s_branch .LBB24_6
	.section	.rodata,"a",@progbits
	.p2align	6, 0x0
	.amdhsa_kernel _ZN4vllm38concat_and_cache_mla_rope_fused_kernelIN3c104HalfEfLb1EttLNS_18Fp8KVCacheDataTypeE0EEEvPKlPT_S7_PKS6_PKT0_illlliPT3_S5_iiiiPKf
		.amdhsa_group_segment_fixed_size 0
		.amdhsa_private_segment_fixed_size 0
		.amdhsa_kernarg_size 384
		.amdhsa_user_sgpr_count 2
		.amdhsa_user_sgpr_dispatch_ptr 0
		.amdhsa_user_sgpr_queue_ptr 0
		.amdhsa_user_sgpr_kernarg_segment_ptr 1
		.amdhsa_user_sgpr_dispatch_id 0
		.amdhsa_user_sgpr_kernarg_preload_length 0
		.amdhsa_user_sgpr_kernarg_preload_offset 0
		.amdhsa_user_sgpr_private_segment_size 0
		.amdhsa_uses_dynamic_stack 0
		.amdhsa_enable_private_segment 0
		.amdhsa_system_sgpr_workgroup_id_x 1
		.amdhsa_system_sgpr_workgroup_id_y 0
		.amdhsa_system_sgpr_workgroup_id_z 0
		.amdhsa_system_sgpr_workgroup_info 0
		.amdhsa_system_vgpr_workitem_id 0
		.amdhsa_next_free_vgpr 19
		.amdhsa_next_free_sgpr 46
		.amdhsa_accum_offset 20
		.amdhsa_reserve_vcc 1
		.amdhsa_float_round_mode_32 0
		.amdhsa_float_round_mode_16_64 0
		.amdhsa_float_denorm_mode_32 3
		.amdhsa_float_denorm_mode_16_64 3
		.amdhsa_dx10_clamp 1
		.amdhsa_ieee_mode 1
		.amdhsa_fp16_overflow 0
		.amdhsa_tg_split 0
		.amdhsa_exception_fp_ieee_invalid_op 0
		.amdhsa_exception_fp_denorm_src 0
		.amdhsa_exception_fp_ieee_div_zero 0
		.amdhsa_exception_fp_ieee_overflow 0
		.amdhsa_exception_fp_ieee_underflow 0
		.amdhsa_exception_fp_ieee_inexact 0
		.amdhsa_exception_int_div_zero 0
	.end_amdhsa_kernel
	.section	.text._ZN4vllm38concat_and_cache_mla_rope_fused_kernelIN3c104HalfEfLb1EttLNS_18Fp8KVCacheDataTypeE0EEEvPKlPT_S7_PKS6_PKT0_illlliPT3_S5_iiiiPKf,"axG",@progbits,_ZN4vllm38concat_and_cache_mla_rope_fused_kernelIN3c104HalfEfLb1EttLNS_18Fp8KVCacheDataTypeE0EEEvPKlPT_S7_PKS6_PKT0_illlliPT3_S5_iiiiPKf,comdat
.Lfunc_end24:
	.size	_ZN4vllm38concat_and_cache_mla_rope_fused_kernelIN3c104HalfEfLb1EttLNS_18Fp8KVCacheDataTypeE0EEEvPKlPT_S7_PKS6_PKT0_illlliPT3_S5_iiiiPKf, .Lfunc_end24-_ZN4vllm38concat_and_cache_mla_rope_fused_kernelIN3c104HalfEfLb1EttLNS_18Fp8KVCacheDataTypeE0EEEvPKlPT_S7_PKS6_PKT0_illlliPT3_S5_iiiiPKf
                                        ; -- End function
	.section	.AMDGPU.csdata,"",@progbits
; Kernel info:
; codeLenInByte = 1996
; NumSgprs: 52
; NumVgprs: 19
; NumAgprs: 0
; TotalNumVgprs: 19
; ScratchSize: 0
; MemoryBound: 0
; FloatMode: 240
; IeeeMode: 1
; LDSByteSize: 0 bytes/workgroup (compile time only)
; SGPRBlocks: 6
; VGPRBlocks: 2
; NumSGPRsForWavesPerEU: 52
; NumVGPRsForWavesPerEU: 19
; AccumOffset: 20
; Occupancy: 8
; WaveLimiterHint : 1
; COMPUTE_PGM_RSRC2:SCRATCH_EN: 0
; COMPUTE_PGM_RSRC2:USER_SGPR: 2
; COMPUTE_PGM_RSRC2:TRAP_HANDLER: 0
; COMPUTE_PGM_RSRC2:TGID_X_EN: 1
; COMPUTE_PGM_RSRC2:TGID_Y_EN: 0
; COMPUTE_PGM_RSRC2:TGID_Z_EN: 0
; COMPUTE_PGM_RSRC2:TIDIG_COMP_CNT: 0
; COMPUTE_PGM_RSRC3_GFX90A:ACCUM_OFFSET: 4
; COMPUTE_PGM_RSRC3_GFX90A:TG_SPLIT: 0
	.section	.text._ZN4vllm38concat_and_cache_mla_rope_fused_kernelIN3c104HalfEfLb0EttLNS_18Fp8KVCacheDataTypeE0EEEvPKlPT_S7_PKS6_PKT0_illlliPT3_S5_iiiiPKf,"axG",@progbits,_ZN4vllm38concat_and_cache_mla_rope_fused_kernelIN3c104HalfEfLb0EttLNS_18Fp8KVCacheDataTypeE0EEEvPKlPT_S7_PKS6_PKT0_illlliPT3_S5_iiiiPKf,comdat
	.protected	_ZN4vllm38concat_and_cache_mla_rope_fused_kernelIN3c104HalfEfLb0EttLNS_18Fp8KVCacheDataTypeE0EEEvPKlPT_S7_PKS6_PKT0_illlliPT3_S5_iiiiPKf ; -- Begin function _ZN4vllm38concat_and_cache_mla_rope_fused_kernelIN3c104HalfEfLb0EttLNS_18Fp8KVCacheDataTypeE0EEEvPKlPT_S7_PKS6_PKT0_illlliPT3_S5_iiiiPKf
	.globl	_ZN4vllm38concat_and_cache_mla_rope_fused_kernelIN3c104HalfEfLb0EttLNS_18Fp8KVCacheDataTypeE0EEEvPKlPT_S7_PKS6_PKT0_illlliPT3_S5_iiiiPKf
	.p2align	8
	.type	_ZN4vllm38concat_and_cache_mla_rope_fused_kernelIN3c104HalfEfLb0EttLNS_18Fp8KVCacheDataTypeE0EEEvPKlPT_S7_PKS6_PKT0_illlliPT3_S5_iiiiPKf,@function
_ZN4vllm38concat_and_cache_mla_rope_fused_kernelIN3c104HalfEfLb0EttLNS_18Fp8KVCacheDataTypeE0EEEvPKlPT_S7_PKS6_PKT0_illlliPT3_S5_iiiiPKf: ; @_ZN4vllm38concat_and_cache_mla_rope_fused_kernelIN3c104HalfEfLb0EttLNS_18Fp8KVCacheDataTypeE0EEEvPKlPT_S7_PKS6_PKT0_illlliPT3_S5_iiiiPKf
; %bb.0:
	s_load_dwordx2 s[6:7], s[0:1], 0x60
	s_mov_b32 s3, 0
	s_lshl_b64 s[4:5], s[2:3], 3
	s_waitcnt lgkmcnt(0)
	s_add_u32 s6, s6, s4
	s_addc_u32 s7, s7, s5
	s_load_dwordx2 s[26:27], s[6:7], 0x0
	s_waitcnt lgkmcnt(0)
	v_cmp_lt_i64_e64 s[6:7], s[26:27], 0
	s_and_b64 vcc, exec, s[6:7]
	s_cbranch_vccnz .LBB25_13
; %bb.1:
	s_load_dword s3, s[0:1], 0x28
	s_load_dwordx2 s[6:7], s[0:1], 0x0
	s_load_dwordx4 s[12:15], s[0:1], 0x10
	s_waitcnt lgkmcnt(0)
	s_ashr_i32 s22, s3, 31
	s_add_u32 s16, s6, s4
	s_addc_u32 s17, s7, s5
	s_load_dwordx2 s[18:19], s[16:17], 0x0
	s_load_dwordx2 s[24:25], s[0:1], 0x20
	s_load_dwordx8 s[4:11], s[0:1], 0x30
	s_load_dwordx2 s[20:21], s[0:1], 0x58
	s_load_dword s23, s[0:1], 0x50
	s_waitcnt lgkmcnt(0)
	s_mul_i32 s16, s18, s22
	s_mul_hi_u32 s17, s18, s3
	s_mul_i32 s19, s19, s3
	s_add_i32 s16, s17, s16
	s_add_i32 s29, s16, s19
	s_lshr_b32 s16, s3, 31
	s_mul_i32 s28, s18, s3
	s_add_i32 s3, s3, s16
	s_ashr_i32 s22, s3, 1
	s_mul_i32 s3, s22, s23
	v_cmp_gt_i32_e32 vcc, s3, v0
	s_and_saveexec_b64 s[16:17], vcc
	s_cbranch_execz .LBB25_4
; %bb.2:
	s_load_dwordx2 s[30:31], s[0:1], 0x8
	s_load_dword s34, s[0:1], 0x8c
	s_lshl_b64 s[18:19], s[28:29], 2
	s_add_u32 s18, s24, s18
	s_mul_i32 s5, s2, s5
	s_mul_hi_u32 s33, s2, s4
	s_addc_u32 s19, s25, s19
	s_add_i32 s5, s33, s5
	s_mul_i32 s4, s2, s4
	s_ashr_i32 s23, s22, 31
	s_lshl_b64 s[4:5], s[4:5], 1
	s_waitcnt lgkmcnt(0)
	s_add_u32 s4, s30, s4
	s_addc_u32 s5, s31, s5
	s_abs_i32 s33, s22
	v_cvt_f32_u32_e32 v1, s33
	s_sub_i32 s30, 0, s33
	s_and_b32 s34, s34, 0xffff
	s_sub_i32 s35, 0, s22
	v_rcp_iflag_f32_e32 v1, v1
	s_lshl_b32 s37, s34, 1
	v_mov_b32_e32 v4, v0
	v_mul_f32_e32 v1, 0x4f7ffffe, v1
	v_cvt_u32_f32_e32 v1, v1
	v_mul_lo_u32 v2, s30, v1
	v_mul_hi_u32 v2, v1, v2
	s_lshl_b32 s30, s22, 1
	v_add_u32_e32 v1, v1, v2
	s_sub_i32 s36, 0, s30
	v_lshlrev_b32_e32 v2, 1, v0
	s_mov_b64 s[30:31], 0
.LBB25_3:                               ; =>This Inner Loop Header: Depth=1
	v_sub_u32_e32 v5, 0, v4
	v_max_i32_e32 v5, v4, v5
	v_mul_hi_u32 v6, v5, v1
	v_mul_lo_u32 v7, v6, s33
	v_sub_u32_e32 v5, v5, v7
	v_add_u32_e32 v8, 1, v6
	v_cmp_le_u32_e32 vcc, s33, v5
	v_subrev_u32_e32 v7, s33, v5
	v_ashrrev_i32_e32 v3, 31, v4
	v_cndmask_b32_e32 v6, v6, v8, vcc
	v_cndmask_b32_e32 v5, v5, v7, vcc
	v_add_u32_e32 v7, 1, v6
	v_cmp_le_u32_e32 vcc, s33, v5
	v_xor_b32_e32 v3, s23, v3
	s_nop 0
	v_cndmask_b32_e32 v5, v6, v7, vcc
	v_xor_b32_e32 v5, v5, v3
	v_sub_u32_e32 v3, v5, v3
	v_mad_u64_u32 v[6:7], s[38:39], s35, v3, v[4:5]
	v_ashrrev_i32_e32 v5, 31, v3
	v_ashrrev_i32_e32 v7, 31, v6
	v_mul_lo_u32 v12, v3, s7
	v_mad_u64_u32 v[8:9], s[38:39], v3, s6, 0
	v_mad_u64_u32 v[10:11], s[38:39], s36, v3, v[2:3]
	v_mul_lo_u32 v3, v5, s6
	v_lshl_add_u64 v[6:7], v[6:7], 2, s[18:19]
	v_add3_u32 v9, v9, v12, v3
	v_lshl_add_u64 v[12:13], s[22:23], 2, v[6:7]
	global_load_dword v3, v[6:7], off
	global_load_dword v5, v[12:13], off
	v_ashrrev_i32_e32 v11, 31, v10
	v_lshl_add_u64 v[8:9], v[8:9], 1, s[4:5]
	v_lshl_add_u64 v[6:7], v[10:11], 1, v[8:9]
	global_load_dword v8, v[6:7], off
	v_add_u32_e32 v4, s34, v4
	v_cmp_le_i32_e32 vcc, s3, v4
	v_add_u32_e32 v2, s37, v2
	s_or_b64 s[30:31], vcc, s[30:31]
	s_waitcnt vmcnt(2)
	v_cvt_f16_f32_e32 v3, v3
	s_waitcnt vmcnt(1)
	v_cvt_f16_f32_e32 v5, v5
	s_waitcnt vmcnt(0)
	v_mul_f16_sdwa v9, v8, v3 dst_sel:DWORD dst_unused:UNUSED_PAD src0_sel:WORD_1 src1_sel:DWORD
	v_mul_f16_sdwa v10, v8, v5 dst_sel:DWORD dst_unused:UNUSED_PAD src0_sel:WORD_1 src1_sel:DWORD
	v_fma_f16 v5, v8, v5, v9
	v_fma_f16 v3, v8, v3, -v10
	v_pack_b32_f16 v3, v3, v5
	global_store_dword v[6:7], v3, off
	s_andn2_b64 exec, exec, s[30:31]
	s_cbranch_execnz .LBB25_3
.LBB25_4:
	s_or_b64 exec, exec, s[16:17]
	s_load_dwordx4 s[16:19], s[0:1], 0x68
	s_waitcnt lgkmcnt(0)
	s_ashr_i32 s7, s19, 31
	s_mov_b32 s6, s19
	s_or_b64 s[4:5], s[26:27], s[6:7]
	s_mov_b32 s4, 0
	s_cmp_lg_u64 s[4:5], 0
	s_cbranch_scc0 .LBB25_14
; %bb.5:
	s_add_u32 s4, s6, s7
	s_mov_b32 s34, s7
	s_mov_b32 s35, s7
	s_addc_u32 s5, s7, s7
	s_xor_b64 s[36:37], s[4:5], s[34:35]
	v_cvt_f32_u32_e32 v1, s36
	v_cvt_f32_u32_e32 v2, s37
	s_sub_u32 s3, 0, s36
	s_subb_u32 s4, 0, s37
	v_fmamk_f32 v1, v2, 0x4f800000, v1
	v_rcp_f32_e32 v1, v1
	s_nop 0
	v_mul_f32_e32 v1, 0x5f7ffffc, v1
	v_mul_f32_e32 v2, 0x2f800000, v1
	v_trunc_f32_e32 v2, v2
	v_fmamk_f32 v1, v2, 0xcf800000, v1
	v_cvt_u32_f32_e32 v2, v2
	v_cvt_u32_f32_e32 v1, v1
	v_readfirstlane_b32 s5, v2
	v_readfirstlane_b32 s19, v1
	s_mul_i32 s23, s3, s5
	s_mul_hi_u32 s38, s3, s19
	s_mul_i32 s33, s4, s19
	s_add_i32 s23, s38, s23
	s_add_i32 s23, s23, s33
	s_mul_i32 s39, s3, s19
	s_mul_hi_u32 s33, s19, s23
	s_mul_i32 s38, s19, s23
	s_mul_hi_u32 s19, s19, s39
	s_add_u32 s19, s19, s38
	s_addc_u32 s33, 0, s33
	s_mul_hi_u32 s40, s5, s39
	s_mul_i32 s39, s5, s39
	s_add_u32 s19, s19, s39
	s_mul_hi_u32 s38, s5, s23
	s_addc_u32 s19, s33, s40
	s_addc_u32 s33, s38, 0
	s_mul_i32 s23, s5, s23
	s_add_u32 s19, s19, s23
	s_addc_u32 s23, 0, s33
	v_add_co_u32_e32 v1, vcc, s19, v1
	s_cmp_lg_u64 vcc, 0
	s_addc_u32 s5, s5, s23
	v_readfirstlane_b32 s23, v1
	s_mul_i32 s19, s3, s5
	s_mul_hi_u32 s33, s3, s23
	s_add_i32 s19, s33, s19
	s_mul_i32 s4, s4, s23
	s_add_i32 s19, s19, s4
	s_mul_i32 s3, s3, s23
	s_mul_hi_u32 s33, s5, s3
	s_mul_i32 s38, s5, s3
	s_mul_i32 s40, s23, s19
	s_mul_hi_u32 s3, s23, s3
	s_mul_hi_u32 s39, s23, s19
	s_add_u32 s3, s3, s40
	s_addc_u32 s23, 0, s39
	s_add_u32 s3, s3, s38
	s_mul_hi_u32 s4, s5, s19
	s_addc_u32 s3, s23, s33
	s_addc_u32 s4, s4, 0
	s_mul_i32 s19, s5, s19
	s_add_u32 s3, s3, s19
	s_addc_u32 s4, 0, s4
	v_add_co_u32_e32 v1, vcc, s3, v1
	s_cmp_lg_u64 vcc, 0
	s_addc_u32 s3, s5, s4
	s_ashr_i32 s38, s27, 31
	s_add_u32 s4, s26, s38
	s_mov_b32 s39, s38
	s_addc_u32 s5, s27, s38
	s_xor_b64 s[40:41], s[4:5], s[38:39]
	v_readfirstlane_b32 s19, v1
	s_mul_i32 s5, s40, s3
	s_mul_hi_u32 s23, s40, s19
	s_mul_hi_u32 s4, s40, s3
	s_add_u32 s5, s23, s5
	s_addc_u32 s4, 0, s4
	s_mul_hi_u32 s33, s41, s19
	s_mul_i32 s19, s41, s19
	s_add_u32 s5, s5, s19
	s_mul_hi_u32 s23, s41, s3
	s_addc_u32 s4, s4, s33
	s_addc_u32 s5, s23, 0
	s_mul_i32 s3, s41, s3
	s_add_u32 s3, s4, s3
	s_addc_u32 s19, 0, s5
	s_mul_i32 s4, s36, s19
	s_mul_hi_u32 s5, s36, s3
	s_add_i32 s4, s5, s4
	s_mul_i32 s5, s37, s3
	s_add_i32 s23, s4, s5
	s_mul_i32 s5, s36, s3
	v_mov_b32_e32 v1, s5
	s_sub_i32 s4, s41, s23
	v_sub_co_u32_e32 v1, vcc, s40, v1
	s_cmp_lg_u64 vcc, 0
	s_subb_u32 s33, s4, s37
	v_subrev_co_u32_e64 v2, s[4:5], s36, v1
	s_cmp_lg_u64 s[4:5], 0
	s_subb_u32 s4, s33, 0
	s_cmp_ge_u32 s4, s37
	v_readfirstlane_b32 s33, v2
	s_cselect_b32 s5, -1, 0
	s_cmp_ge_u32 s33, s36
	s_cselect_b32 s33, -1, 0
	s_cmp_eq_u32 s4, s37
	s_cselect_b32 s4, s33, s5
	s_add_u32 s5, s3, 1
	s_addc_u32 s33, s19, 0
	s_add_u32 s40, s3, 2
	s_addc_u32 s42, s19, 0
	s_cmp_lg_u32 s4, 0
	s_cselect_b32 s4, s40, s5
	s_cselect_b32 s5, s42, s33
	s_cmp_lg_u64 vcc, 0
	s_subb_u32 s23, s41, s23
	s_cmp_ge_u32 s23, s37
	v_readfirstlane_b32 s40, v1
	s_cselect_b32 s33, -1, 0
	s_cmp_ge_u32 s40, s36
	s_cselect_b32 s36, -1, 0
	s_cmp_eq_u32 s23, s37
	s_cselect_b32 s23, s36, s33
	s_cmp_lg_u32 s23, 0
	s_cselect_b32 s5, s5, s19
	s_cselect_b32 s4, s4, s3
	s_xor_b64 s[34:35], s[38:39], s[34:35]
	s_xor_b64 s[4:5], s[4:5], s[34:35]
	s_sub_u32 s4, s4, s34
	s_subb_u32 s5, s5, s35
	s_cbranch_execnz .LBB25_7
.LBB25_6:
	v_cvt_f32_u32_e32 v1, s6
	s_sub_i32 s3, 0, s6
	s_mov_b32 s5, 0
	v_rcp_iflag_f32_e32 v1, v1
	s_nop 0
	v_mul_f32_e32 v1, 0x4f7ffffe, v1
	v_cvt_u32_f32_e32 v1, v1
	s_nop 0
	v_readfirstlane_b32 s4, v1
	s_mul_i32 s3, s3, s4
	s_mul_hi_u32 s3, s4, s3
	s_add_i32 s4, s4, s3
	s_mul_hi_u32 s3, s26, s4
	s_mul_i32 s19, s3, s6
	s_sub_i32 s19, s26, s19
	s_add_i32 s4, s3, 1
	s_sub_i32 s23, s19, s6
	s_cmp_ge_u32 s19, s6
	s_cselect_b32 s3, s4, s3
	s_cselect_b32 s19, s23, s19
	s_add_i32 s4, s3, 1
	s_cmp_ge_u32 s19, s6
	s_cselect_b32 s4, s4, s3
.LBB25_7:
	s_mul_i32 s3, s4, s7
	s_mul_hi_u32 s7, s4, s6
	s_add_i32 s3, s7, s3
	s_mul_i32 s7, s5, s6
	s_add_i32 s3, s3, s7
	s_mul_i32 s6, s4, s6
	s_sub_u32 s33, s26, s6
	s_subb_u32 s3, s27, s3
	v_cmp_gt_i32_e32 vcc, s22, v0
	s_mul_hi_u32 s35, s4, s16
	s_mul_i32 s36, s5, s16
	s_mul_i32 s26, s4, s16
	s_mul_hi_u32 s34, s33, s17
	s_mul_i32 s5, s3, s17
	s_mul_i32 s6, s33, s17
	s_and_saveexec_b64 s[30:31], vcc
	s_cbranch_execz .LBB25_10
; %bb.8:
	s_load_dword s3, s[0:1], 0x8c
	s_ashr_i32 s23, s22, 31
	s_ashr_i32 s7, s16, 31
	;; [unrolled: 1-line block ×4, first 2 shown]
	s_waitcnt lgkmcnt(0)
	s_and_b32 s3, s3, 0xffff
	s_lshl_b64 s[28:29], s[28:29], 2
	s_add_u32 s24, s24, s28
	s_mul_i32 s7, s4, s7
	s_addc_u32 s25, s25, s29
	s_add_i32 s7, s35, s7
	s_add_i32 s27, s7, s36
	s_mul_i32 s7, s33, s37
	s_add_i32 s7, s34, s7
	v_lshlrev_b32_e32 v8, 2, v0
	v_mov_b32_e32 v9, 0
	s_add_i32 s7, s7, s5
	v_lshl_add_u64 v[2:3], s[24:25], 0, v[8:9]
	s_lshl_b32 s24, s3, 2
	s_lshl_b64 s[28:29], s[26:27], 1
	s_lshl_b64 s[38:39], s[6:7], 1
	s_add_u32 s7, s28, s38
	v_lshl_add_u64 v[4:5], s[22:23], 2, v[2:3]
	s_addc_u32 s23, s29, s39
	s_lshl_b64 s[28:29], s[18:19], 1
	s_add_u32 s19, s20, s28
	s_addc_u32 s25, s21, s29
	s_add_u32 s28, s19, s7
	s_mul_i32 s7, s9, s2
	s_mul_hi_u32 s9, s8, s2
	s_addc_u32 s29, s25, s23
	s_add_i32 s9, s9, s7
	s_mul_i32 s8, s8, s2
	s_lshl_b64 s[8:9], s[8:9], 1
	s_add_u32 s8, s12, s8
	v_lshl_add_u64 v[6:7], s[28:29], 0, v[8:9]
	s_addc_u32 s9, s13, s9
	v_lshl_add_u64 v[6:7], v[6:7], 0, 2
	v_lshl_add_u64 v[8:9], s[8:9], 0, v[8:9]
	s_mov_b64 s[8:9], 0
	s_mov_b64 s[12:13], 0
	v_mov_b32_e32 v1, v0
.LBB25_9:                               ; =>This Inner Loop Header: Depth=1
	v_lshl_add_u64 v[12:13], v[4:5], 0, s[12:13]
	v_lshl_add_u64 v[10:11], v[2:3], 0, s[12:13]
	;; [unrolled: 1-line block ×3, first 2 shown]
	global_load_dword v16, v[12:13], off
	global_load_dword v17, v[10:11], off
	;; [unrolled: 1-line block ×3, first 2 shown]
	v_lshl_add_u64 v[10:11], v[6:7], 0, s[12:13]
	v_add_u32_e32 v1, s3, v1
	s_add_u32 s12, s12, s24
	s_addc_u32 s13, s13, 0
	v_cmp_le_i32_e32 vcc, s22, v1
	s_or_b64 s[8:9], vcc, s[8:9]
	s_waitcnt vmcnt(2)
	v_cvt_f16_f32_e32 v12, v16
	s_waitcnt vmcnt(1)
	v_cvt_f16_f32_e32 v13, v17
	s_waitcnt vmcnt(0)
	v_mul_f16_sdwa v16, v18, v12 dst_sel:DWORD dst_unused:UNUSED_PAD src0_sel:WORD_1 src1_sel:DWORD
	v_mul_f16_sdwa v17, v18, v13 dst_sel:DWORD dst_unused:UNUSED_PAD src0_sel:WORD_1 src1_sel:DWORD
	v_fma_f16 v13, v18, v13, -v16
	v_fma_f16 v12, v18, v12, v17
	v_pack_b32_f16 v12, v13, v12
	global_store_dword v[14:15], v12, off
	global_store_dword v[10:11], v12, off offset:-2
	s_andn2_b64 exec, exec, s[8:9]
	s_cbranch_execnz .LBB25_9
.LBB25_10:
	s_or_b64 exec, exec, s[30:31]
	v_cmp_gt_i32_e32 vcc, s18, v0
	s_and_saveexec_b64 s[8:9], vcc
	s_cbranch_execz .LBB25_13
; %bb.11:
	s_mul_i32 s3, s2, s11
	s_mul_hi_u32 s7, s2, s10
	s_add_i32 s3, s7, s3
	s_mul_i32 s2, s2, s10
	s_lshl_b64 s[2:3], s[2:3], 1
	s_add_u32 s2, s14, s2
	s_addc_u32 s3, s15, s3
	s_ashr_i32 s7, s16, 31
	s_mul_i32 s4, s4, s7
	s_add_i32 s4, s35, s4
	s_add_i32 s27, s4, s36
	s_lshl_b64 s[8:9], s[26:27], 1
	s_add_u32 s4, s20, s8
	s_addc_u32 s8, s21, s9
	s_ashr_i32 s7, s17, 31
	s_mul_i32 s33, s33, s7
	s_load_dword s9, s[0:1], 0x8c
	s_add_i32 s7, s34, s33
	s_add_i32 s7, s7, s5
	s_lshl_b64 s[0:1], s[6:7], 1
	s_add_u32 s0, s4, s0
	s_addc_u32 s1, s8, s1
	s_waitcnt lgkmcnt(0)
	s_and_b32 s6, s9, 0xffff
	s_mov_b64 s[4:5], 0
.LBB25_12:                              ; =>This Inner Loop Header: Depth=1
	v_ashrrev_i32_e32 v1, 31, v0
	v_lshlrev_b64 v[2:3], 1, v[0:1]
	v_lshl_add_u64 v[4:5], s[2:3], 0, v[2:3]
	global_load_ushort v1, v[4:5], off
	v_add_u32_e32 v0, s6, v0
	v_cmp_le_i32_e32 vcc, s18, v0
	v_lshl_add_u64 v[2:3], s[0:1], 0, v[2:3]
	s_or_b64 s[4:5], vcc, s[4:5]
	s_waitcnt vmcnt(0)
	global_store_short v[2:3], v1, off
	s_andn2_b64 exec, exec, s[4:5]
	s_cbranch_execnz .LBB25_12
.LBB25_13:
	s_endpgm
.LBB25_14:
                                        ; implicit-def: $sgpr4_sgpr5
	s_branch .LBB25_6
	.section	.rodata,"a",@progbits
	.p2align	6, 0x0
	.amdhsa_kernel _ZN4vllm38concat_and_cache_mla_rope_fused_kernelIN3c104HalfEfLb0EttLNS_18Fp8KVCacheDataTypeE0EEEvPKlPT_S7_PKS6_PKT0_illlliPT3_S5_iiiiPKf
		.amdhsa_group_segment_fixed_size 0
		.amdhsa_private_segment_fixed_size 0
		.amdhsa_kernarg_size 384
		.amdhsa_user_sgpr_count 2
		.amdhsa_user_sgpr_dispatch_ptr 0
		.amdhsa_user_sgpr_queue_ptr 0
		.amdhsa_user_sgpr_kernarg_segment_ptr 1
		.amdhsa_user_sgpr_dispatch_id 0
		.amdhsa_user_sgpr_kernarg_preload_length 0
		.amdhsa_user_sgpr_kernarg_preload_offset 0
		.amdhsa_user_sgpr_private_segment_size 0
		.amdhsa_uses_dynamic_stack 0
		.amdhsa_enable_private_segment 0
		.amdhsa_system_sgpr_workgroup_id_x 1
		.amdhsa_system_sgpr_workgroup_id_y 0
		.amdhsa_system_sgpr_workgroup_id_z 0
		.amdhsa_system_sgpr_workgroup_info 0
		.amdhsa_system_vgpr_workitem_id 0
		.amdhsa_next_free_vgpr 19
		.amdhsa_next_free_sgpr 43
		.amdhsa_accum_offset 20
		.amdhsa_reserve_vcc 1
		.amdhsa_float_round_mode_32 0
		.amdhsa_float_round_mode_16_64 0
		.amdhsa_float_denorm_mode_32 3
		.amdhsa_float_denorm_mode_16_64 3
		.amdhsa_dx10_clamp 1
		.amdhsa_ieee_mode 1
		.amdhsa_fp16_overflow 0
		.amdhsa_tg_split 0
		.amdhsa_exception_fp_ieee_invalid_op 0
		.amdhsa_exception_fp_denorm_src 0
		.amdhsa_exception_fp_ieee_div_zero 0
		.amdhsa_exception_fp_ieee_overflow 0
		.amdhsa_exception_fp_ieee_underflow 0
		.amdhsa_exception_fp_ieee_inexact 0
		.amdhsa_exception_int_div_zero 0
	.end_amdhsa_kernel
	.section	.text._ZN4vllm38concat_and_cache_mla_rope_fused_kernelIN3c104HalfEfLb0EttLNS_18Fp8KVCacheDataTypeE0EEEvPKlPT_S7_PKS6_PKT0_illlliPT3_S5_iiiiPKf,"axG",@progbits,_ZN4vllm38concat_and_cache_mla_rope_fused_kernelIN3c104HalfEfLb0EttLNS_18Fp8KVCacheDataTypeE0EEEvPKlPT_S7_PKS6_PKT0_illlliPT3_S5_iiiiPKf,comdat
.Lfunc_end25:
	.size	_ZN4vllm38concat_and_cache_mla_rope_fused_kernelIN3c104HalfEfLb0EttLNS_18Fp8KVCacheDataTypeE0EEEvPKlPT_S7_PKS6_PKT0_illlliPT3_S5_iiiiPKf, .Lfunc_end25-_ZN4vllm38concat_and_cache_mla_rope_fused_kernelIN3c104HalfEfLb0EttLNS_18Fp8KVCacheDataTypeE0EEEvPKlPT_S7_PKS6_PKT0_illlliPT3_S5_iiiiPKf
                                        ; -- End function
	.section	.AMDGPU.csdata,"",@progbits
; Kernel info:
; codeLenInByte = 1940
; NumSgprs: 49
; NumVgprs: 19
; NumAgprs: 0
; TotalNumVgprs: 19
; ScratchSize: 0
; MemoryBound: 0
; FloatMode: 240
; IeeeMode: 1
; LDSByteSize: 0 bytes/workgroup (compile time only)
; SGPRBlocks: 6
; VGPRBlocks: 2
; NumSGPRsForWavesPerEU: 49
; NumVGPRsForWavesPerEU: 19
; AccumOffset: 20
; Occupancy: 8
; WaveLimiterHint : 1
; COMPUTE_PGM_RSRC2:SCRATCH_EN: 0
; COMPUTE_PGM_RSRC2:USER_SGPR: 2
; COMPUTE_PGM_RSRC2:TRAP_HANDLER: 0
; COMPUTE_PGM_RSRC2:TGID_X_EN: 1
; COMPUTE_PGM_RSRC2:TGID_Y_EN: 0
; COMPUTE_PGM_RSRC2:TGID_Z_EN: 0
; COMPUTE_PGM_RSRC2:TIDIG_COMP_CNT: 0
; COMPUTE_PGM_RSRC3_GFX90A:ACCUM_OFFSET: 4
; COMPUTE_PGM_RSRC3_GFX90A:TG_SPLIT: 0
	.section	.text._ZN4vllm38concat_and_cache_mla_rope_fused_kernelIN3c104HalfES2_Lb1EttLNS_18Fp8KVCacheDataTypeE0EEEvPKlPT_S7_PKS6_PKT0_illlliPT3_S5_iiiiPKf,"axG",@progbits,_ZN4vllm38concat_and_cache_mla_rope_fused_kernelIN3c104HalfES2_Lb1EttLNS_18Fp8KVCacheDataTypeE0EEEvPKlPT_S7_PKS6_PKT0_illlliPT3_S5_iiiiPKf,comdat
	.protected	_ZN4vllm38concat_and_cache_mla_rope_fused_kernelIN3c104HalfES2_Lb1EttLNS_18Fp8KVCacheDataTypeE0EEEvPKlPT_S7_PKS6_PKT0_illlliPT3_S5_iiiiPKf ; -- Begin function _ZN4vllm38concat_and_cache_mla_rope_fused_kernelIN3c104HalfES2_Lb1EttLNS_18Fp8KVCacheDataTypeE0EEEvPKlPT_S7_PKS6_PKT0_illlliPT3_S5_iiiiPKf
	.globl	_ZN4vllm38concat_and_cache_mla_rope_fused_kernelIN3c104HalfES2_Lb1EttLNS_18Fp8KVCacheDataTypeE0EEEvPKlPT_S7_PKS6_PKT0_illlliPT3_S5_iiiiPKf
	.p2align	8
	.type	_ZN4vllm38concat_and_cache_mla_rope_fused_kernelIN3c104HalfES2_Lb1EttLNS_18Fp8KVCacheDataTypeE0EEEvPKlPT_S7_PKS6_PKT0_illlliPT3_S5_iiiiPKf,@function
_ZN4vllm38concat_and_cache_mla_rope_fused_kernelIN3c104HalfES2_Lb1EttLNS_18Fp8KVCacheDataTypeE0EEEvPKlPT_S7_PKS6_PKT0_illlliPT3_S5_iiiiPKf: ; @_ZN4vllm38concat_and_cache_mla_rope_fused_kernelIN3c104HalfES2_Lb1EttLNS_18Fp8KVCacheDataTypeE0EEEvPKlPT_S7_PKS6_PKT0_illlliPT3_S5_iiiiPKf
; %bb.0:
	s_load_dwordx2 s[6:7], s[0:1], 0x60
	s_mov_b32 s3, 0
	s_lshl_b64 s[4:5], s[2:3], 3
	s_waitcnt lgkmcnt(0)
	s_add_u32 s6, s6, s4
	s_addc_u32 s7, s7, s5
	s_load_dwordx2 s[30:31], s[6:7], 0x0
	s_waitcnt lgkmcnt(0)
	v_cmp_lt_i64_e64 s[6:7], s[30:31], 0
	s_and_b64 vcc, exec, s[6:7]
	s_cbranch_vccnz .LBB26_13
; %bb.1:
	s_load_dword s3, s[0:1], 0x28
	s_load_dwordx2 s[6:7], s[0:1], 0x0
	s_load_dwordx4 s[12:15], s[0:1], 0x10
	s_waitcnt lgkmcnt(0)
	s_ashr_i32 s22, s3, 31
	s_add_u32 s16, s6, s4
	s_addc_u32 s17, s7, s5
	s_load_dwordx2 s[18:19], s[16:17], 0x0
	s_load_dwordx2 s[26:27], s[0:1], 0x20
	s_load_dwordx8 s[4:11], s[0:1], 0x30
	s_load_dwordx2 s[20:21], s[0:1], 0x58
	s_load_dword s25, s[0:1], 0x50
	s_waitcnt lgkmcnt(0)
	s_mul_i32 s16, s18, s22
	s_mul_hi_u32 s17, s18, s3
	s_mul_i32 s19, s19, s3
	s_add_i32 s16, s17, s16
	s_add_i32 s17, s16, s19
	s_mul_i32 s16, s18, s3
	s_lshl_b64 s[28:29], s[16:17], 1
	s_add_u32 s22, s26, s28
	s_addc_u32 s23, s27, s29
	s_lshr_b32 s16, s3, 31
	s_add_i32 s3, s3, s16
	s_ashr_i32 s24, s3, 1
	s_mul_i32 s3, s24, s25
	v_cmp_gt_i32_e32 vcc, s3, v0
	s_and_saveexec_b64 s[16:17], vcc
	s_cbranch_execz .LBB26_4
; %bb.2:
	s_load_dwordx2 s[18:19], s[0:1], 0x8
	s_load_dword s34, s[0:1], 0x8c
	s_mul_i32 s5, s2, s5
	s_mul_hi_u32 s33, s2, s4
	s_add_i32 s5, s33, s5
	s_mul_i32 s4, s2, s4
	s_ashr_i32 s25, s24, 31
	s_lshl_b64 s[4:5], s[4:5], 1
	s_waitcnt lgkmcnt(0)
	s_add_u32 s4, s18, s4
	s_addc_u32 s5, s19, s5
	s_abs_i32 s33, s24
	v_cvt_f32_u32_e32 v1, s33
	s_sub_i32 s38, 0, s33
	s_mov_b64 s[18:19], 0
	s_and_b32 s36, s34, 0xffff
	v_rcp_iflag_f32_e32 v1, v1
	s_sub_i32 s37, 0, s24
	s_lshl_b64 s[34:35], s[24:25], 1
	v_mul_f32_e32 v1, 0x4f7ffffe, v1
	v_cvt_u32_f32_e32 v1, v1
	v_mul_lo_u32 v2, s38, v1
	v_mul_hi_u32 v2, v1, v2
	v_add_u32_e32 v1, v1, v2
	v_mov_b32_e32 v2, v0
.LBB26_3:                               ; =>This Inner Loop Header: Depth=1
	v_sub_u32_e32 v4, 0, v2
	v_max_i32_e32 v4, v2, v4
	v_mul_hi_u32 v5, v4, v1
	v_mul_lo_u32 v6, v5, s33
	v_sub_u32_e32 v4, v4, v6
	v_add_u32_e32 v7, 1, v5
	v_cmp_le_u32_e32 vcc, s33, v4
	v_subrev_u32_e32 v6, s33, v4
	v_ashrrev_i32_e32 v3, 31, v2
	v_cndmask_b32_e32 v5, v5, v7, vcc
	v_cndmask_b32_e32 v4, v4, v6, vcc
	v_add_u32_e32 v6, 1, v5
	v_cmp_le_u32_e32 vcc, s33, v4
	v_xor_b32_e32 v3, s25, v3
	s_nop 0
	v_cndmask_b32_e32 v4, v5, v6, vcc
	v_xor_b32_e32 v4, v4, v3
	v_sub_u32_e32 v3, v4, v3
	v_ashrrev_i32_e32 v8, 31, v3
	v_mad_u64_u32 v[4:5], s[38:39], s37, v3, v[2:3]
	v_mul_lo_u32 v9, v3, s7
	v_mad_u64_u32 v[6:7], s[38:39], v3, s6, 0
	v_mul_lo_u32 v3, v8, s6
	v_ashrrev_i32_e32 v5, 31, v4
	v_add3_u32 v7, v7, v9, v3
	v_lshlrev_b64 v[4:5], 1, v[4:5]
	v_lshl_add_u64 v[6:7], v[6:7], 1, s[4:5]
	v_lshl_add_u64 v[8:9], s[22:23], 0, v[4:5]
	;; [unrolled: 1-line block ×4, first 2 shown]
	global_load_ushort v3, v[8:9], off
	global_load_ushort v12, v[10:11], off
	v_lshl_add_u64 v[6:7], v[4:5], 0, s[34:35]
	global_load_ushort v8, v[4:5], off
	global_load_ushort v9, v[6:7], off
	v_add_u32_e32 v2, s36, v2
	v_cmp_le_i32_e32 vcc, s3, v2
	s_or_b64 s[18:19], vcc, s[18:19]
	s_waitcnt vmcnt(0)
	v_mul_f16_e32 v10, v12, v9
	v_mul_f16_e32 v9, v3, v9
	v_fma_f16 v3, v3, v8, -v10
	v_fma_f16 v8, v12, v8, v9
	global_store_short v[4:5], v3, off
	global_store_short v[6:7], v8, off
	s_andn2_b64 exec, exec, s[18:19]
	s_cbranch_execnz .LBB26_3
.LBB26_4:
	s_or_b64 exec, exec, s[16:17]
	s_load_dwordx4 s[16:19], s[0:1], 0x68
	s_waitcnt lgkmcnt(0)
	s_ashr_i32 s7, s19, 31
	s_mov_b32 s6, s19
	s_or_b64 s[4:5], s[30:31], s[6:7]
	s_mov_b32 s4, 0
	s_cmp_lg_u64 s[4:5], 0
	s_cbranch_scc0 .LBB26_14
; %bb.5:
	s_add_u32 s4, s6, s7
	s_mov_b32 s36, s7
	s_mov_b32 s37, s7
	s_addc_u32 s5, s7, s7
	s_xor_b64 s[38:39], s[4:5], s[36:37]
	v_cvt_f32_u32_e32 v1, s38
	v_cvt_f32_u32_e32 v2, s39
	s_sub_u32 s3, 0, s38
	s_subb_u32 s4, 0, s39
	v_fmamk_f32 v1, v2, 0x4f800000, v1
	v_rcp_f32_e32 v1, v1
	s_nop 0
	v_mul_f32_e32 v1, 0x5f7ffffc, v1
	v_mul_f32_e32 v2, 0x2f800000, v1
	v_trunc_f32_e32 v2, v2
	v_fmamk_f32 v1, v2, 0xcf800000, v1
	v_cvt_u32_f32_e32 v2, v2
	v_cvt_u32_f32_e32 v1, v1
	v_readfirstlane_b32 s5, v2
	v_readfirstlane_b32 s19, v1
	s_mul_i32 s25, s3, s5
	s_mul_hi_u32 s40, s3, s19
	s_mul_i32 s33, s4, s19
	s_add_i32 s25, s40, s25
	s_add_i32 s25, s25, s33
	s_mul_i32 s41, s3, s19
	s_mul_hi_u32 s33, s19, s25
	s_mul_i32 s40, s19, s25
	s_mul_hi_u32 s19, s19, s41
	s_add_u32 s19, s19, s40
	s_addc_u32 s33, 0, s33
	s_mul_hi_u32 s42, s5, s41
	s_mul_i32 s41, s5, s41
	s_add_u32 s19, s19, s41
	s_mul_hi_u32 s40, s5, s25
	s_addc_u32 s19, s33, s42
	s_addc_u32 s33, s40, 0
	s_mul_i32 s25, s5, s25
	s_add_u32 s19, s19, s25
	s_addc_u32 s25, 0, s33
	v_add_co_u32_e32 v1, vcc, s19, v1
	s_cmp_lg_u64 vcc, 0
	s_addc_u32 s5, s5, s25
	v_readfirstlane_b32 s25, v1
	s_mul_i32 s19, s3, s5
	s_mul_hi_u32 s33, s3, s25
	s_add_i32 s19, s33, s19
	s_mul_i32 s4, s4, s25
	s_add_i32 s19, s19, s4
	s_mul_i32 s3, s3, s25
	s_mul_hi_u32 s33, s5, s3
	s_mul_i32 s40, s5, s3
	s_mul_i32 s42, s25, s19
	s_mul_hi_u32 s3, s25, s3
	s_mul_hi_u32 s41, s25, s19
	s_add_u32 s3, s3, s42
	s_addc_u32 s25, 0, s41
	s_add_u32 s3, s3, s40
	s_mul_hi_u32 s4, s5, s19
	s_addc_u32 s3, s25, s33
	s_addc_u32 s4, s4, 0
	s_mul_i32 s19, s5, s19
	s_add_u32 s3, s3, s19
	s_addc_u32 s4, 0, s4
	v_add_co_u32_e32 v1, vcc, s3, v1
	s_cmp_lg_u64 vcc, 0
	s_addc_u32 s3, s5, s4
	s_ashr_i32 s40, s31, 31
	s_add_u32 s4, s30, s40
	s_mov_b32 s41, s40
	s_addc_u32 s5, s31, s40
	s_xor_b64 s[42:43], s[4:5], s[40:41]
	v_readfirstlane_b32 s19, v1
	s_mul_i32 s5, s42, s3
	s_mul_hi_u32 s25, s42, s19
	s_mul_hi_u32 s4, s42, s3
	s_add_u32 s5, s25, s5
	s_addc_u32 s4, 0, s4
	s_mul_hi_u32 s33, s43, s19
	s_mul_i32 s19, s43, s19
	s_add_u32 s5, s5, s19
	s_mul_hi_u32 s25, s43, s3
	s_addc_u32 s4, s4, s33
	s_addc_u32 s5, s25, 0
	s_mul_i32 s3, s43, s3
	s_add_u32 s3, s4, s3
	s_addc_u32 s19, 0, s5
	s_mul_i32 s4, s38, s19
	s_mul_hi_u32 s5, s38, s3
	s_add_i32 s4, s5, s4
	s_mul_i32 s5, s39, s3
	s_add_i32 s25, s4, s5
	s_mul_i32 s5, s38, s3
	v_mov_b32_e32 v1, s5
	s_sub_i32 s4, s43, s25
	v_sub_co_u32_e32 v1, vcc, s42, v1
	s_cmp_lg_u64 vcc, 0
	s_subb_u32 s33, s4, s39
	v_subrev_co_u32_e64 v2, s[4:5], s38, v1
	s_cmp_lg_u64 s[4:5], 0
	s_subb_u32 s4, s33, 0
	s_cmp_ge_u32 s4, s39
	v_readfirstlane_b32 s33, v2
	s_cselect_b32 s5, -1, 0
	s_cmp_ge_u32 s33, s38
	s_cselect_b32 s33, -1, 0
	s_cmp_eq_u32 s4, s39
	s_cselect_b32 s4, s33, s5
	s_add_u32 s5, s3, 1
	s_addc_u32 s33, s19, 0
	s_add_u32 s42, s3, 2
	s_addc_u32 s44, s19, 0
	s_cmp_lg_u32 s4, 0
	s_cselect_b32 s4, s42, s5
	s_cselect_b32 s5, s44, s33
	s_cmp_lg_u64 vcc, 0
	s_subb_u32 s25, s43, s25
	s_cmp_ge_u32 s25, s39
	v_readfirstlane_b32 s42, v1
	s_cselect_b32 s33, -1, 0
	s_cmp_ge_u32 s42, s38
	s_cselect_b32 s38, -1, 0
	s_cmp_eq_u32 s25, s39
	s_cselect_b32 s25, s38, s33
	s_cmp_lg_u32 s25, 0
	s_cselect_b32 s5, s5, s19
	s_cselect_b32 s4, s4, s3
	s_xor_b64 s[36:37], s[40:41], s[36:37]
	s_xor_b64 s[4:5], s[4:5], s[36:37]
	s_sub_u32 s4, s4, s36
	s_subb_u32 s5, s5, s37
	s_cbranch_execnz .LBB26_7
.LBB26_6:
	v_cvt_f32_u32_e32 v1, s6
	s_sub_i32 s3, 0, s6
	s_mov_b32 s5, 0
	v_rcp_iflag_f32_e32 v1, v1
	s_nop 0
	v_mul_f32_e32 v1, 0x4f7ffffe, v1
	v_cvt_u32_f32_e32 v1, v1
	s_nop 0
	v_readfirstlane_b32 s4, v1
	s_mul_i32 s3, s3, s4
	s_mul_hi_u32 s3, s4, s3
	s_add_i32 s4, s4, s3
	s_mul_hi_u32 s3, s30, s4
	s_mul_i32 s19, s3, s6
	s_sub_i32 s19, s30, s19
	s_add_i32 s4, s3, 1
	s_sub_i32 s25, s19, s6
	s_cmp_ge_u32 s19, s6
	s_cselect_b32 s3, s4, s3
	s_cselect_b32 s19, s25, s19
	s_add_i32 s4, s3, 1
	s_cmp_ge_u32 s19, s6
	s_cselect_b32 s4, s4, s3
.LBB26_7:
	s_mul_i32 s3, s4, s7
	s_mul_hi_u32 s7, s4, s6
	s_add_i32 s3, s7, s3
	s_mul_i32 s7, s5, s6
	s_add_i32 s3, s3, s7
	s_mul_i32 s6, s4, s6
	s_sub_u32 s33, s30, s6
	s_subb_u32 s3, s31, s3
	v_cmp_gt_i32_e32 vcc, s24, v0
	s_mul_hi_u32 s41, s4, s16
	s_mul_i32 s42, s5, s16
	s_mul_i32 s30, s4, s16
	s_mul_hi_u32 s40, s33, s17
	s_mul_i32 s5, s3, s17
	s_mul_i32 s6, s33, s17
	s_and_saveexec_b64 s[34:35], vcc
	s_cbranch_execz .LBB26_10
; %bb.8:
	s_mul_i32 s3, s2, s9
	s_mul_hi_u32 s7, s2, s8
	s_add_i32 s9, s7, s3
	s_mul_i32 s8, s2, s8
	s_ashr_i32 s25, s24, 31
	s_lshl_b64 s[38:39], s[8:9], 1
	s_add_u32 s8, s12, s38
	s_addc_u32 s9, s13, s39
	s_ashr_i32 s3, s16, 31
	s_mul_i32 s3, s4, s3
	s_add_i32 s3, s41, s3
	s_add_i32 s31, s3, s42
	s_ashr_i32 s3, s17, 31
	s_mul_i32 s3, s33, s3
	s_add_i32 s3, s40, s3
	s_add_i32 s7, s3, s5
	s_lshl_b64 s[36:37], s[30:31], 1
	s_lshl_b64 s[44:45], s[6:7], 1
	s_add_u32 s31, s36, s44
	s_addc_u32 s43, s37, s45
	s_load_dword s46, s[0:1], 0x8c
	s_add_u32 s3, s31, s20
	s_addc_u32 s7, s43, s21
	s_ashr_i32 s19, s18, 31
	s_lshl_b64 s[44:45], s[18:19], 1
	s_add_u32 s36, s3, s44
	s_addc_u32 s37, s7, s45
	s_waitcnt lgkmcnt(0)
	s_and_b32 s3, s46, 0xffff
	s_lshl_b32 s7, s3, 1
	s_lshl_b64 s[46:47], s[24:25], 1
	s_add_u32 s19, s28, s46
	s_addc_u32 s25, s29, s47
	s_add_u32 s26, s26, s19
	s_addc_u32 s27, s27, s25
	s_add_u32 s19, s38, s46
	s_addc_u32 s25, s39, s47
	s_add_u32 s12, s12, s19
	s_addc_u32 s13, s13, s25
	s_add_u32 s19, s31, s46
	s_addc_u32 s25, s43, s47
	s_add_u32 s19, s19, s44
	s_addc_u32 s25, s25, s45
	s_add_u32 s28, s20, s19
	v_lshlrev_b32_e32 v2, 1, v0
	v_mov_b32_e32 v3, 0
	s_addc_u32 s29, s21, s25
	s_mov_b64 s[38:39], 0
	v_mov_b32_e32 v1, v0
.LBB26_9:                               ; =>This Inner Loop Header: Depth=1
	v_lshl_add_u64 v[6:7], s[26:27], 0, v[2:3]
	v_lshl_add_u64 v[4:5], s[22:23], 0, v[2:3]
	;; [unrolled: 1-line block ×4, first 2 shown]
	global_load_ushort v12, v[6:7], off
	global_load_ushort v13, v[10:11], off
	;; [unrolled: 1-line block ×4, first 2 shown]
	s_add_u32 s22, s22, s7
	s_addc_u32 s23, s23, 0
	s_add_u32 s26, s26, s7
	s_addc_u32 s27, s27, 0
	;; [unrolled: 2-line block ×4, first 2 shown]
	v_lshl_add_u64 v[6:7], s[28:29], 0, v[2:3]
	s_add_u32 s28, s28, s7
	s_addc_u32 s29, s29, 0
	v_lshl_add_u64 v[4:5], s[36:37], 0, v[2:3]
	v_add_u32_e32 v1, s3, v1
	s_add_u32 s36, s36, s7
	v_cmp_le_i32_e32 vcc, s24, v1
	s_addc_u32 s37, s37, 0
	s_or_b64 s[38:39], vcc, s[38:39]
	s_waitcnt vmcnt(2)
	v_mul_f16_e32 v16, v12, v13
	s_waitcnt vmcnt(1)
	v_mul_f16_e32 v13, v14, v13
	s_waitcnt vmcnt(0)
	v_fma_f16 v14, v14, v15, -v16
	v_fma_f16 v12, v12, v15, v13
	global_store_short v[8:9], v14, off
	global_store_short v[10:11], v12, off
	;; [unrolled: 1-line block ×4, first 2 shown]
	s_andn2_b64 exec, exec, s[38:39]
	s_cbranch_execnz .LBB26_9
.LBB26_10:
	s_or_b64 exec, exec, s[34:35]
	v_cmp_gt_i32_e32 vcc, s18, v0
	s_and_saveexec_b64 s[8:9], vcc
	s_cbranch_execz .LBB26_13
; %bb.11:
	s_mul_i32 s3, s2, s11
	s_mul_hi_u32 s7, s2, s10
	s_add_i32 s3, s7, s3
	s_mul_i32 s2, s2, s10
	s_lshl_b64 s[2:3], s[2:3], 1
	s_add_u32 s2, s14, s2
	s_addc_u32 s3, s15, s3
	s_ashr_i32 s7, s16, 31
	s_mul_i32 s4, s4, s7
	s_add_i32 s4, s41, s4
	s_add_i32 s31, s4, s42
	s_lshl_b64 s[8:9], s[30:31], 1
	s_add_u32 s4, s20, s8
	s_addc_u32 s8, s21, s9
	s_ashr_i32 s7, s17, 31
	s_mul_i32 s33, s33, s7
	s_load_dword s9, s[0:1], 0x8c
	s_add_i32 s7, s40, s33
	s_add_i32 s7, s7, s5
	s_lshl_b64 s[0:1], s[6:7], 1
	s_add_u32 s0, s4, s0
	s_addc_u32 s1, s8, s1
	s_waitcnt lgkmcnt(0)
	s_and_b32 s6, s9, 0xffff
	s_mov_b64 s[4:5], 0
.LBB26_12:                              ; =>This Inner Loop Header: Depth=1
	v_ashrrev_i32_e32 v1, 31, v0
	v_lshlrev_b64 v[2:3], 1, v[0:1]
	v_lshl_add_u64 v[4:5], s[2:3], 0, v[2:3]
	global_load_ushort v1, v[4:5], off
	v_add_u32_e32 v0, s6, v0
	v_cmp_le_i32_e32 vcc, s18, v0
	v_lshl_add_u64 v[2:3], s[0:1], 0, v[2:3]
	s_or_b64 s[4:5], vcc, s[4:5]
	s_waitcnt vmcnt(0)
	global_store_short v[2:3], v1, off
	s_andn2_b64 exec, exec, s[4:5]
	s_cbranch_execnz .LBB26_12
.LBB26_13:
	s_endpgm
.LBB26_14:
                                        ; implicit-def: $sgpr4_sgpr5
	s_branch .LBB26_6
	.section	.rodata,"a",@progbits
	.p2align	6, 0x0
	.amdhsa_kernel _ZN4vllm38concat_and_cache_mla_rope_fused_kernelIN3c104HalfES2_Lb1EttLNS_18Fp8KVCacheDataTypeE0EEEvPKlPT_S7_PKS6_PKT0_illlliPT3_S5_iiiiPKf
		.amdhsa_group_segment_fixed_size 0
		.amdhsa_private_segment_fixed_size 0
		.amdhsa_kernarg_size 384
		.amdhsa_user_sgpr_count 2
		.amdhsa_user_sgpr_dispatch_ptr 0
		.amdhsa_user_sgpr_queue_ptr 0
		.amdhsa_user_sgpr_kernarg_segment_ptr 1
		.amdhsa_user_sgpr_dispatch_id 0
		.amdhsa_user_sgpr_kernarg_preload_length 0
		.amdhsa_user_sgpr_kernarg_preload_offset 0
		.amdhsa_user_sgpr_private_segment_size 0
		.amdhsa_uses_dynamic_stack 0
		.amdhsa_enable_private_segment 0
		.amdhsa_system_sgpr_workgroup_id_x 1
		.amdhsa_system_sgpr_workgroup_id_y 0
		.amdhsa_system_sgpr_workgroup_id_z 0
		.amdhsa_system_sgpr_workgroup_info 0
		.amdhsa_system_vgpr_workitem_id 0
		.amdhsa_next_free_vgpr 17
		.amdhsa_next_free_sgpr 48
		.amdhsa_accum_offset 20
		.amdhsa_reserve_vcc 1
		.amdhsa_float_round_mode_32 0
		.amdhsa_float_round_mode_16_64 0
		.amdhsa_float_denorm_mode_32 3
		.amdhsa_float_denorm_mode_16_64 3
		.amdhsa_dx10_clamp 1
		.amdhsa_ieee_mode 1
		.amdhsa_fp16_overflow 0
		.amdhsa_tg_split 0
		.amdhsa_exception_fp_ieee_invalid_op 0
		.amdhsa_exception_fp_denorm_src 0
		.amdhsa_exception_fp_ieee_div_zero 0
		.amdhsa_exception_fp_ieee_overflow 0
		.amdhsa_exception_fp_ieee_underflow 0
		.amdhsa_exception_fp_ieee_inexact 0
		.amdhsa_exception_int_div_zero 0
	.end_amdhsa_kernel
	.section	.text._ZN4vllm38concat_and_cache_mla_rope_fused_kernelIN3c104HalfES2_Lb1EttLNS_18Fp8KVCacheDataTypeE0EEEvPKlPT_S7_PKS6_PKT0_illlliPT3_S5_iiiiPKf,"axG",@progbits,_ZN4vllm38concat_and_cache_mla_rope_fused_kernelIN3c104HalfES2_Lb1EttLNS_18Fp8KVCacheDataTypeE0EEEvPKlPT_S7_PKS6_PKT0_illlliPT3_S5_iiiiPKf,comdat
.Lfunc_end26:
	.size	_ZN4vllm38concat_and_cache_mla_rope_fused_kernelIN3c104HalfES2_Lb1EttLNS_18Fp8KVCacheDataTypeE0EEEvPKlPT_S7_PKS6_PKT0_illlliPT3_S5_iiiiPKf, .Lfunc_end26-_ZN4vllm38concat_and_cache_mla_rope_fused_kernelIN3c104HalfES2_Lb1EttLNS_18Fp8KVCacheDataTypeE0EEEvPKlPT_S7_PKS6_PKT0_illlliPT3_S5_iiiiPKf
                                        ; -- End function
	.section	.AMDGPU.csdata,"",@progbits
; Kernel info:
; codeLenInByte = 1972
; NumSgprs: 54
; NumVgprs: 17
; NumAgprs: 0
; TotalNumVgprs: 17
; ScratchSize: 0
; MemoryBound: 0
; FloatMode: 240
; IeeeMode: 1
; LDSByteSize: 0 bytes/workgroup (compile time only)
; SGPRBlocks: 6
; VGPRBlocks: 2
; NumSGPRsForWavesPerEU: 54
; NumVGPRsForWavesPerEU: 17
; AccumOffset: 20
; Occupancy: 8
; WaveLimiterHint : 1
; COMPUTE_PGM_RSRC2:SCRATCH_EN: 0
; COMPUTE_PGM_RSRC2:USER_SGPR: 2
; COMPUTE_PGM_RSRC2:TRAP_HANDLER: 0
; COMPUTE_PGM_RSRC2:TGID_X_EN: 1
; COMPUTE_PGM_RSRC2:TGID_Y_EN: 0
; COMPUTE_PGM_RSRC2:TGID_Z_EN: 0
; COMPUTE_PGM_RSRC2:TIDIG_COMP_CNT: 0
; COMPUTE_PGM_RSRC3_GFX90A:ACCUM_OFFSET: 4
; COMPUTE_PGM_RSRC3_GFX90A:TG_SPLIT: 0
	.section	.text._ZN4vllm38concat_and_cache_mla_rope_fused_kernelIN3c104HalfES2_Lb0EttLNS_18Fp8KVCacheDataTypeE0EEEvPKlPT_S7_PKS6_PKT0_illlliPT3_S5_iiiiPKf,"axG",@progbits,_ZN4vllm38concat_and_cache_mla_rope_fused_kernelIN3c104HalfES2_Lb0EttLNS_18Fp8KVCacheDataTypeE0EEEvPKlPT_S7_PKS6_PKT0_illlliPT3_S5_iiiiPKf,comdat
	.protected	_ZN4vllm38concat_and_cache_mla_rope_fused_kernelIN3c104HalfES2_Lb0EttLNS_18Fp8KVCacheDataTypeE0EEEvPKlPT_S7_PKS6_PKT0_illlliPT3_S5_iiiiPKf ; -- Begin function _ZN4vllm38concat_and_cache_mla_rope_fused_kernelIN3c104HalfES2_Lb0EttLNS_18Fp8KVCacheDataTypeE0EEEvPKlPT_S7_PKS6_PKT0_illlliPT3_S5_iiiiPKf
	.globl	_ZN4vllm38concat_and_cache_mla_rope_fused_kernelIN3c104HalfES2_Lb0EttLNS_18Fp8KVCacheDataTypeE0EEEvPKlPT_S7_PKS6_PKT0_illlliPT3_S5_iiiiPKf
	.p2align	8
	.type	_ZN4vllm38concat_and_cache_mla_rope_fused_kernelIN3c104HalfES2_Lb0EttLNS_18Fp8KVCacheDataTypeE0EEEvPKlPT_S7_PKS6_PKT0_illlliPT3_S5_iiiiPKf,@function
_ZN4vllm38concat_and_cache_mla_rope_fused_kernelIN3c104HalfES2_Lb0EttLNS_18Fp8KVCacheDataTypeE0EEEvPKlPT_S7_PKS6_PKT0_illlliPT3_S5_iiiiPKf: ; @_ZN4vllm38concat_and_cache_mla_rope_fused_kernelIN3c104HalfES2_Lb0EttLNS_18Fp8KVCacheDataTypeE0EEEvPKlPT_S7_PKS6_PKT0_illlliPT3_S5_iiiiPKf
; %bb.0:
	s_load_dwordx2 s[6:7], s[0:1], 0x60
	s_mov_b32 s3, 0
	s_lshl_b64 s[4:5], s[2:3], 3
	s_waitcnt lgkmcnt(0)
	s_add_u32 s6, s6, s4
	s_addc_u32 s7, s7, s5
	s_load_dwordx2 s[26:27], s[6:7], 0x0
	s_waitcnt lgkmcnt(0)
	v_cmp_lt_i64_e64 s[6:7], s[26:27], 0
	s_and_b64 vcc, exec, s[6:7]
	s_cbranch_vccnz .LBB27_13
; %bb.1:
	s_load_dword s3, s[0:1], 0x28
	s_load_dwordx2 s[6:7], s[0:1], 0x0
	s_load_dwordx4 s[12:15], s[0:1], 0x10
	v_lshlrev_b32_e32 v2, 1, v0
	s_waitcnt lgkmcnt(0)
	s_ashr_i32 s22, s3, 31
	s_add_u32 s16, s6, s4
	s_addc_u32 s17, s7, s5
	s_load_dwordx2 s[18:19], s[16:17], 0x0
	s_load_dwordx2 s[24:25], s[0:1], 0x20
	s_load_dwordx8 s[4:11], s[0:1], 0x30
	s_load_dwordx2 s[20:21], s[0:1], 0x58
	s_load_dword s23, s[0:1], 0x50
	s_waitcnt lgkmcnt(0)
	s_mul_i32 s16, s18, s22
	s_mul_hi_u32 s17, s18, s3
	s_mul_i32 s19, s19, s3
	s_add_i32 s16, s17, s16
	s_add_i32 s29, s16, s19
	s_lshr_b32 s16, s3, 31
	s_mul_i32 s28, s18, s3
	s_add_i32 s3, s3, s16
	s_ashr_i32 s22, s3, 1
	s_mul_i32 s3, s22, s23
	v_cmp_gt_i32_e32 vcc, s3, v0
	s_and_saveexec_b64 s[16:17], vcc
	s_cbranch_execz .LBB27_4
; %bb.2:
	s_load_dwordx2 s[30:31], s[0:1], 0x8
	s_load_dword s34, s[0:1], 0x8c
	s_lshl_b64 s[18:19], s[28:29], 1
	s_add_u32 s18, s24, s18
	s_mul_i32 s5, s2, s5
	s_mul_hi_u32 s33, s2, s4
	s_addc_u32 s19, s25, s19
	s_add_i32 s5, s33, s5
	s_mul_i32 s4, s2, s4
	s_ashr_i32 s23, s22, 31
	s_lshl_b64 s[4:5], s[4:5], 1
	s_waitcnt lgkmcnt(0)
	s_add_u32 s4, s30, s4
	s_addc_u32 s5, s31, s5
	s_abs_i32 s33, s22
	v_cvt_f32_u32_e32 v1, s33
	s_sub_i32 s30, 0, s33
	s_and_b32 s34, s34, 0xffff
	s_sub_i32 s35, 0, s22
	v_rcp_iflag_f32_e32 v1, v1
	s_lshl_b32 s37, s34, 1
	v_mov_b32_e32 v4, v2
	v_mov_b32_e32 v6, v0
	v_mul_f32_e32 v1, 0x4f7ffffe, v1
	v_cvt_u32_f32_e32 v1, v1
	v_mul_lo_u32 v3, s30, v1
	v_mul_hi_u32 v3, v1, v3
	s_lshl_b32 s30, s22, 1
	v_add_u32_e32 v1, v1, v3
	s_sub_i32 s36, 0, s30
	s_mov_b64 s[30:31], 0
.LBB27_3:                               ; =>This Inner Loop Header: Depth=1
	v_sub_u32_e32 v5, 0, v6
	v_max_i32_e32 v5, v6, v5
	v_mul_hi_u32 v7, v5, v1
	v_mul_lo_u32 v8, v7, s33
	v_sub_u32_e32 v5, v5, v8
	v_add_u32_e32 v9, 1, v7
	v_cmp_le_u32_e32 vcc, s33, v5
	v_subrev_u32_e32 v8, s33, v5
	v_ashrrev_i32_e32 v3, 31, v6
	v_cndmask_b32_e32 v7, v7, v9, vcc
	v_cndmask_b32_e32 v5, v5, v8, vcc
	v_add_u32_e32 v8, 1, v7
	v_cmp_le_u32_e32 vcc, s33, v5
	v_xor_b32_e32 v3, s23, v3
	s_nop 0
	v_cndmask_b32_e32 v5, v7, v8, vcc
	v_xor_b32_e32 v5, v5, v3
	v_sub_u32_e32 v3, v5, v3
	v_ashrrev_i32_e32 v5, 31, v3
	v_mad_u64_u32 v[8:9], s[38:39], s35, v3, v[6:7]
	v_mul_lo_u32 v7, v3, s7
	v_mad_u64_u32 v[10:11], s[38:39], v3, s6, 0
	v_mad_u64_u32 v[12:13], s[38:39], s36, v3, v[4:5]
	v_mul_lo_u32 v3, v5, s6
	v_ashrrev_i32_e32 v9, 31, v8
	v_add3_u32 v11, v11, v7, v3
	v_ashrrev_i32_e32 v13, 31, v12
	v_lshl_add_u64 v[8:9], v[8:9], 1, s[18:19]
	v_lshl_add_u64 v[10:11], v[10:11], 1, s[4:5]
	;; [unrolled: 1-line block ×3, first 2 shown]
	global_load_ushort v3, v[8:9], off
	global_load_ushort v5, v[14:15], off
	v_lshl_add_u64 v[8:9], v[12:13], 1, v[10:11]
	global_load_dword v7, v[8:9], off
	v_add_u32_e32 v6, s34, v6
	v_cmp_le_i32_e32 vcc, s3, v6
	v_add_u32_e32 v4, s37, v4
	s_or_b64 s[30:31], vcc, s[30:31]
	s_waitcnt vmcnt(0)
	v_mul_f16_sdwa v10, v5, v7 dst_sel:DWORD dst_unused:UNUSED_PAD src0_sel:DWORD src1_sel:WORD_1
	v_mul_f16_sdwa v11, v3, v7 dst_sel:DWORD dst_unused:UNUSED_PAD src0_sel:DWORD src1_sel:WORD_1
	v_fma_f16 v3, v3, v7, -v10
	v_fma_f16 v5, v5, v7, v11
	v_pack_b32_f16 v3, v3, v5
	global_store_dword v[8:9], v3, off
	s_andn2_b64 exec, exec, s[30:31]
	s_cbranch_execnz .LBB27_3
.LBB27_4:
	s_or_b64 exec, exec, s[16:17]
	s_load_dwordx4 s[16:19], s[0:1], 0x68
	s_waitcnt lgkmcnt(0)
	s_ashr_i32 s7, s19, 31
	s_mov_b32 s6, s19
	s_or_b64 s[4:5], s[26:27], s[6:7]
	s_mov_b32 s4, 0
	s_cmp_lg_u64 s[4:5], 0
	s_cbranch_scc0 .LBB27_14
; %bb.5:
	s_add_u32 s4, s6, s7
	s_mov_b32 s34, s7
	s_mov_b32 s35, s7
	s_addc_u32 s5, s7, s7
	s_xor_b64 s[36:37], s[4:5], s[34:35]
	v_cvt_f32_u32_e32 v1, s36
	v_cvt_f32_u32_e32 v3, s37
	s_sub_u32 s3, 0, s36
	s_subb_u32 s4, 0, s37
	v_fmamk_f32 v1, v3, 0x4f800000, v1
	v_rcp_f32_e32 v1, v1
	s_nop 0
	v_mul_f32_e32 v1, 0x5f7ffffc, v1
	v_mul_f32_e32 v3, 0x2f800000, v1
	v_trunc_f32_e32 v3, v3
	v_fmamk_f32 v1, v3, 0xcf800000, v1
	v_cvt_u32_f32_e32 v3, v3
	v_cvt_u32_f32_e32 v1, v1
	v_readfirstlane_b32 s5, v3
	v_readfirstlane_b32 s19, v1
	s_mul_i32 s23, s3, s5
	s_mul_hi_u32 s38, s3, s19
	s_mul_i32 s33, s4, s19
	s_add_i32 s23, s38, s23
	s_add_i32 s23, s23, s33
	s_mul_i32 s39, s3, s19
	s_mul_hi_u32 s33, s19, s23
	s_mul_i32 s38, s19, s23
	s_mul_hi_u32 s19, s19, s39
	s_add_u32 s19, s19, s38
	s_addc_u32 s33, 0, s33
	s_mul_hi_u32 s40, s5, s39
	s_mul_i32 s39, s5, s39
	s_add_u32 s19, s19, s39
	s_mul_hi_u32 s38, s5, s23
	s_addc_u32 s19, s33, s40
	s_addc_u32 s33, s38, 0
	s_mul_i32 s23, s5, s23
	s_add_u32 s19, s19, s23
	s_addc_u32 s23, 0, s33
	v_add_co_u32_e32 v1, vcc, s19, v1
	s_cmp_lg_u64 vcc, 0
	s_addc_u32 s5, s5, s23
	v_readfirstlane_b32 s23, v1
	s_mul_i32 s19, s3, s5
	s_mul_hi_u32 s33, s3, s23
	s_add_i32 s19, s33, s19
	s_mul_i32 s4, s4, s23
	s_add_i32 s19, s19, s4
	s_mul_i32 s3, s3, s23
	s_mul_hi_u32 s33, s5, s3
	s_mul_i32 s38, s5, s3
	s_mul_i32 s40, s23, s19
	s_mul_hi_u32 s3, s23, s3
	s_mul_hi_u32 s39, s23, s19
	s_add_u32 s3, s3, s40
	s_addc_u32 s23, 0, s39
	s_add_u32 s3, s3, s38
	s_mul_hi_u32 s4, s5, s19
	s_addc_u32 s3, s23, s33
	s_addc_u32 s4, s4, 0
	s_mul_i32 s19, s5, s19
	s_add_u32 s3, s3, s19
	s_addc_u32 s4, 0, s4
	v_add_co_u32_e32 v1, vcc, s3, v1
	s_cmp_lg_u64 vcc, 0
	s_addc_u32 s3, s5, s4
	s_ashr_i32 s38, s27, 31
	s_add_u32 s4, s26, s38
	s_mov_b32 s39, s38
	s_addc_u32 s5, s27, s38
	s_xor_b64 s[40:41], s[4:5], s[38:39]
	v_readfirstlane_b32 s19, v1
	s_mul_i32 s5, s40, s3
	s_mul_hi_u32 s23, s40, s19
	s_mul_hi_u32 s4, s40, s3
	s_add_u32 s5, s23, s5
	s_addc_u32 s4, 0, s4
	s_mul_hi_u32 s33, s41, s19
	s_mul_i32 s19, s41, s19
	s_add_u32 s5, s5, s19
	s_mul_hi_u32 s23, s41, s3
	s_addc_u32 s4, s4, s33
	s_addc_u32 s5, s23, 0
	s_mul_i32 s3, s41, s3
	s_add_u32 s3, s4, s3
	s_addc_u32 s19, 0, s5
	s_mul_i32 s4, s36, s19
	s_mul_hi_u32 s5, s36, s3
	s_add_i32 s4, s5, s4
	s_mul_i32 s5, s37, s3
	s_add_i32 s23, s4, s5
	s_mul_i32 s5, s36, s3
	v_mov_b32_e32 v1, s5
	s_sub_i32 s4, s41, s23
	v_sub_co_u32_e32 v1, vcc, s40, v1
	s_cmp_lg_u64 vcc, 0
	s_subb_u32 s33, s4, s37
	v_subrev_co_u32_e64 v3, s[4:5], s36, v1
	s_cmp_lg_u64 s[4:5], 0
	s_subb_u32 s4, s33, 0
	s_cmp_ge_u32 s4, s37
	v_readfirstlane_b32 s33, v3
	s_cselect_b32 s5, -1, 0
	s_cmp_ge_u32 s33, s36
	s_cselect_b32 s33, -1, 0
	s_cmp_eq_u32 s4, s37
	s_cselect_b32 s4, s33, s5
	s_add_u32 s5, s3, 1
	s_addc_u32 s33, s19, 0
	s_add_u32 s40, s3, 2
	s_addc_u32 s42, s19, 0
	s_cmp_lg_u32 s4, 0
	s_cselect_b32 s4, s40, s5
	s_cselect_b32 s5, s42, s33
	s_cmp_lg_u64 vcc, 0
	s_subb_u32 s23, s41, s23
	s_cmp_ge_u32 s23, s37
	v_readfirstlane_b32 s40, v1
	s_cselect_b32 s33, -1, 0
	s_cmp_ge_u32 s40, s36
	s_cselect_b32 s36, -1, 0
	s_cmp_eq_u32 s23, s37
	s_cselect_b32 s23, s36, s33
	s_cmp_lg_u32 s23, 0
	s_cselect_b32 s5, s5, s19
	s_cselect_b32 s4, s4, s3
	s_xor_b64 s[34:35], s[38:39], s[34:35]
	s_xor_b64 s[4:5], s[4:5], s[34:35]
	s_sub_u32 s4, s4, s34
	s_subb_u32 s5, s5, s35
	s_cbranch_execnz .LBB27_7
.LBB27_6:
	v_cvt_f32_u32_e32 v1, s6
	s_sub_i32 s3, 0, s6
	s_mov_b32 s5, 0
	v_rcp_iflag_f32_e32 v1, v1
	s_nop 0
	v_mul_f32_e32 v1, 0x4f7ffffe, v1
	v_cvt_u32_f32_e32 v1, v1
	s_nop 0
	v_readfirstlane_b32 s4, v1
	s_mul_i32 s3, s3, s4
	s_mul_hi_u32 s3, s4, s3
	s_add_i32 s4, s4, s3
	s_mul_hi_u32 s3, s26, s4
	s_mul_i32 s19, s3, s6
	s_sub_i32 s19, s26, s19
	s_add_i32 s4, s3, 1
	s_sub_i32 s23, s19, s6
	s_cmp_ge_u32 s19, s6
	s_cselect_b32 s3, s4, s3
	s_cselect_b32 s19, s23, s19
	s_add_i32 s4, s3, 1
	s_cmp_ge_u32 s19, s6
	s_cselect_b32 s4, s4, s3
.LBB27_7:
	s_mul_i32 s3, s4, s7
	s_mul_hi_u32 s7, s4, s6
	s_add_i32 s3, s7, s3
	s_mul_i32 s7, s5, s6
	s_add_i32 s3, s3, s7
	s_mul_i32 s6, s4, s6
	s_sub_u32 s33, s26, s6
	s_subb_u32 s3, s27, s3
	v_cmp_gt_i32_e32 vcc, s22, v0
	s_mul_hi_u32 s35, s4, s16
	s_mul_i32 s36, s5, s16
	s_mul_i32 s26, s4, s16
	s_mul_hi_u32 s34, s33, s17
	s_mul_i32 s5, s3, s17
	s_mul_i32 s6, s33, s17
	s_and_saveexec_b64 s[30:31], vcc
	s_cbranch_execz .LBB27_10
; %bb.8:
	s_load_dword s3, s[0:1], 0x8c
	s_ashr_i32 s23, s22, 31
	s_ashr_i32 s7, s16, 31
	;; [unrolled: 1-line block ×4, first 2 shown]
	s_waitcnt lgkmcnt(0)
	s_and_b32 s3, s3, 0xffff
	s_lshl_b64 s[38:39], s[28:29], 1
	s_add_u32 s24, s24, s38
	s_mul_i32 s7, s4, s7
	s_addc_u32 s25, s25, s39
	s_add_i32 s7, s35, s7
	s_add_i32 s27, s7, s36
	s_mul_i32 s7, s33, s37
	s_add_i32 s7, s34, s7
	v_mov_b32_e32 v3, 0
	s_add_i32 s7, s7, s5
	v_lshl_add_u64 v[4:5], s[24:25], 0, v[2:3]
	s_lshl_b32 s28, s3, 1
	s_lshl_b64 s[24:25], s[22:23], 1
	s_lshl_b64 s[38:39], s[26:27], 1
	;; [unrolled: 1-line block ×3, first 2 shown]
	s_add_u32 s7, s38, s40
	s_addc_u32 s23, s39, s41
	s_lshl_b64 s[38:39], s[18:19], 1
	s_add_u32 s19, s20, s38
	s_addc_u32 s27, s21, s39
	s_add_u32 s38, s19, s7
	s_mul_i32 s9, s9, s2
	s_mul_hi_u32 s19, s8, s2
	s_addc_u32 s39, s27, s23
	s_add_i32 s9, s19, s9
	s_mul_i32 s8, s8, s2
	s_lshl_b32 s7, s3, 2
	s_lshl_b64 s[8:9], s[8:9], 1
	v_lshlrev_b32_e32 v2, 2, v0
	s_add_u32 s8, s12, s8
	v_lshl_add_u64 v[6:7], s[38:39], 0, v[2:3]
	s_addc_u32 s9, s13, s9
	s_mov_b32 s29, 0
	v_lshl_add_u64 v[6:7], v[6:7], 0, 2
	v_lshl_add_u64 v[2:3], s[8:9], 0, v[2:3]
	s_mov_b64 s[8:9], 0
	s_mov_b64 s[12:13], 0
	v_mov_b32_e32 v1, v0
.LBB27_9:                               ; =>This Inner Loop Header: Depth=1
	v_lshl_add_u64 v[8:9], v[4:5], 0, s[24:25]
	global_load_ushort v12, v[4:5], off
	v_lshl_add_u64 v[10:11], v[2:3], 0, s[12:13]
	global_load_ushort v13, v[8:9], off
	global_load_dword v14, v[10:11], off
	v_lshl_add_u64 v[8:9], v[6:7], 0, s[12:13]
	v_add_u32_e32 v1, s3, v1
	s_add_u32 s12, s12, s7
	s_addc_u32 s13, s13, 0
	v_cmp_le_i32_e32 vcc, s22, v1
	v_lshl_add_u64 v[4:5], v[4:5], 0, s[28:29]
	s_or_b64 s[8:9], vcc, s[8:9]
	s_waitcnt vmcnt(0)
	v_mul_f16_sdwa v15, v13, v14 dst_sel:DWORD dst_unused:UNUSED_PAD src0_sel:DWORD src1_sel:WORD_1
	v_mul_f16_sdwa v16, v12, v14 dst_sel:DWORD dst_unused:UNUSED_PAD src0_sel:DWORD src1_sel:WORD_1
	v_fma_f16 v12, v12, v14, -v15
	v_fma_f16 v13, v13, v14, v16
	v_pack_b32_f16 v12, v12, v13
	global_store_dword v[10:11], v12, off
	global_store_dword v[8:9], v12, off offset:-2
	s_andn2_b64 exec, exec, s[8:9]
	s_cbranch_execnz .LBB27_9
.LBB27_10:
	s_or_b64 exec, exec, s[30:31]
	v_cmp_gt_i32_e32 vcc, s18, v0
	s_and_saveexec_b64 s[8:9], vcc
	s_cbranch_execz .LBB27_13
; %bb.11:
	s_mul_i32 s3, s2, s11
	s_mul_hi_u32 s7, s2, s10
	s_add_i32 s3, s7, s3
	s_mul_i32 s2, s2, s10
	s_lshl_b64 s[2:3], s[2:3], 1
	s_add_u32 s2, s14, s2
	s_addc_u32 s3, s15, s3
	s_ashr_i32 s7, s16, 31
	s_mul_i32 s4, s4, s7
	s_add_i32 s4, s35, s4
	s_add_i32 s27, s4, s36
	s_lshl_b64 s[8:9], s[26:27], 1
	s_add_u32 s4, s20, s8
	s_addc_u32 s8, s21, s9
	s_ashr_i32 s7, s17, 31
	s_mul_i32 s33, s33, s7
	s_load_dword s9, s[0:1], 0x8c
	s_add_i32 s7, s34, s33
	s_add_i32 s7, s7, s5
	s_lshl_b64 s[0:1], s[6:7], 1
	s_add_u32 s0, s4, s0
	s_addc_u32 s1, s8, s1
	s_waitcnt lgkmcnt(0)
	s_and_b32 s6, s9, 0xffff
	s_mov_b64 s[4:5], 0
.LBB27_12:                              ; =>This Inner Loop Header: Depth=1
	v_ashrrev_i32_e32 v1, 31, v0
	v_lshlrev_b64 v[2:3], 1, v[0:1]
	v_lshl_add_u64 v[4:5], s[2:3], 0, v[2:3]
	global_load_ushort v1, v[4:5], off
	v_add_u32_e32 v0, s6, v0
	v_cmp_le_i32_e32 vcc, s18, v0
	v_lshl_add_u64 v[2:3], s[0:1], 0, v[2:3]
	s_or_b64 s[4:5], vcc, s[4:5]
	s_waitcnt vmcnt(0)
	global_store_short v[2:3], v1, off
	s_andn2_b64 exec, exec, s[4:5]
	s_cbranch_execnz .LBB27_12
.LBB27_13:
	s_endpgm
.LBB27_14:
                                        ; implicit-def: $sgpr4_sgpr5
	s_branch .LBB27_6
	.section	.rodata,"a",@progbits
	.p2align	6, 0x0
	.amdhsa_kernel _ZN4vllm38concat_and_cache_mla_rope_fused_kernelIN3c104HalfES2_Lb0EttLNS_18Fp8KVCacheDataTypeE0EEEvPKlPT_S7_PKS6_PKT0_illlliPT3_S5_iiiiPKf
		.amdhsa_group_segment_fixed_size 0
		.amdhsa_private_segment_fixed_size 0
		.amdhsa_kernarg_size 384
		.amdhsa_user_sgpr_count 2
		.amdhsa_user_sgpr_dispatch_ptr 0
		.amdhsa_user_sgpr_queue_ptr 0
		.amdhsa_user_sgpr_kernarg_segment_ptr 1
		.amdhsa_user_sgpr_dispatch_id 0
		.amdhsa_user_sgpr_kernarg_preload_length 0
		.amdhsa_user_sgpr_kernarg_preload_offset 0
		.amdhsa_user_sgpr_private_segment_size 0
		.amdhsa_uses_dynamic_stack 0
		.amdhsa_enable_private_segment 0
		.amdhsa_system_sgpr_workgroup_id_x 1
		.amdhsa_system_sgpr_workgroup_id_y 0
		.amdhsa_system_sgpr_workgroup_id_z 0
		.amdhsa_system_sgpr_workgroup_info 0
		.amdhsa_system_vgpr_workitem_id 0
		.amdhsa_next_free_vgpr 17
		.amdhsa_next_free_sgpr 43
		.amdhsa_accum_offset 20
		.amdhsa_reserve_vcc 1
		.amdhsa_float_round_mode_32 0
		.amdhsa_float_round_mode_16_64 0
		.amdhsa_float_denorm_mode_32 3
		.amdhsa_float_denorm_mode_16_64 3
		.amdhsa_dx10_clamp 1
		.amdhsa_ieee_mode 1
		.amdhsa_fp16_overflow 0
		.amdhsa_tg_split 0
		.amdhsa_exception_fp_ieee_invalid_op 0
		.amdhsa_exception_fp_denorm_src 0
		.amdhsa_exception_fp_ieee_div_zero 0
		.amdhsa_exception_fp_ieee_overflow 0
		.amdhsa_exception_fp_ieee_underflow 0
		.amdhsa_exception_fp_ieee_inexact 0
		.amdhsa_exception_int_div_zero 0
	.end_amdhsa_kernel
	.section	.text._ZN4vllm38concat_and_cache_mla_rope_fused_kernelIN3c104HalfES2_Lb0EttLNS_18Fp8KVCacheDataTypeE0EEEvPKlPT_S7_PKS6_PKT0_illlliPT3_S5_iiiiPKf,"axG",@progbits,_ZN4vllm38concat_and_cache_mla_rope_fused_kernelIN3c104HalfES2_Lb0EttLNS_18Fp8KVCacheDataTypeE0EEEvPKlPT_S7_PKS6_PKT0_illlliPT3_S5_iiiiPKf,comdat
.Lfunc_end27:
	.size	_ZN4vllm38concat_and_cache_mla_rope_fused_kernelIN3c104HalfES2_Lb0EttLNS_18Fp8KVCacheDataTypeE0EEEvPKlPT_S7_PKS6_PKT0_illlliPT3_S5_iiiiPKf, .Lfunc_end27-_ZN4vllm38concat_and_cache_mla_rope_fused_kernelIN3c104HalfES2_Lb0EttLNS_18Fp8KVCacheDataTypeE0EEEvPKlPT_S7_PKS6_PKT0_illlliPT3_S5_iiiiPKf
                                        ; -- End function
	.section	.AMDGPU.csdata,"",@progbits
; Kernel info:
; codeLenInByte = 1916
; NumSgprs: 49
; NumVgprs: 17
; NumAgprs: 0
; TotalNumVgprs: 17
; ScratchSize: 0
; MemoryBound: 0
; FloatMode: 240
; IeeeMode: 1
; LDSByteSize: 0 bytes/workgroup (compile time only)
; SGPRBlocks: 6
; VGPRBlocks: 2
; NumSGPRsForWavesPerEU: 49
; NumVGPRsForWavesPerEU: 17
; AccumOffset: 20
; Occupancy: 8
; WaveLimiterHint : 1
; COMPUTE_PGM_RSRC2:SCRATCH_EN: 0
; COMPUTE_PGM_RSRC2:USER_SGPR: 2
; COMPUTE_PGM_RSRC2:TRAP_HANDLER: 0
; COMPUTE_PGM_RSRC2:TGID_X_EN: 1
; COMPUTE_PGM_RSRC2:TGID_Y_EN: 0
; COMPUTE_PGM_RSRC2:TGID_Z_EN: 0
; COMPUTE_PGM_RSRC2:TIDIG_COMP_CNT: 0
; COMPUTE_PGM_RSRC3_GFX90A:ACCUM_OFFSET: 4
; COMPUTE_PGM_RSRC3_GFX90A:TG_SPLIT: 0
	.section	.text._ZN4vllm38concat_and_cache_mla_rope_fused_kernelIN3c104HalfENS1_8BFloat16ELb1EttLNS_18Fp8KVCacheDataTypeE0EEEvPKlPT_S8_PKS7_PKT0_illlliPT3_S6_iiiiPKf,"axG",@progbits,_ZN4vllm38concat_and_cache_mla_rope_fused_kernelIN3c104HalfENS1_8BFloat16ELb1EttLNS_18Fp8KVCacheDataTypeE0EEEvPKlPT_S8_PKS7_PKT0_illlliPT3_S6_iiiiPKf,comdat
	.protected	_ZN4vllm38concat_and_cache_mla_rope_fused_kernelIN3c104HalfENS1_8BFloat16ELb1EttLNS_18Fp8KVCacheDataTypeE0EEEvPKlPT_S8_PKS7_PKT0_illlliPT3_S6_iiiiPKf ; -- Begin function _ZN4vllm38concat_and_cache_mla_rope_fused_kernelIN3c104HalfENS1_8BFloat16ELb1EttLNS_18Fp8KVCacheDataTypeE0EEEvPKlPT_S8_PKS7_PKT0_illlliPT3_S6_iiiiPKf
	.globl	_ZN4vllm38concat_and_cache_mla_rope_fused_kernelIN3c104HalfENS1_8BFloat16ELb1EttLNS_18Fp8KVCacheDataTypeE0EEEvPKlPT_S8_PKS7_PKT0_illlliPT3_S6_iiiiPKf
	.p2align	8
	.type	_ZN4vllm38concat_and_cache_mla_rope_fused_kernelIN3c104HalfENS1_8BFloat16ELb1EttLNS_18Fp8KVCacheDataTypeE0EEEvPKlPT_S8_PKS7_PKT0_illlliPT3_S6_iiiiPKf,@function
_ZN4vllm38concat_and_cache_mla_rope_fused_kernelIN3c104HalfENS1_8BFloat16ELb1EttLNS_18Fp8KVCacheDataTypeE0EEEvPKlPT_S8_PKS7_PKT0_illlliPT3_S6_iiiiPKf: ; @_ZN4vllm38concat_and_cache_mla_rope_fused_kernelIN3c104HalfENS1_8BFloat16ELb1EttLNS_18Fp8KVCacheDataTypeE0EEEvPKlPT_S8_PKS7_PKT0_illlliPT3_S6_iiiiPKf
; %bb.0:
	s_load_dwordx2 s[6:7], s[0:1], 0x60
	s_mov_b32 s3, 0
	s_lshl_b64 s[4:5], s[2:3], 3
	s_waitcnt lgkmcnt(0)
	s_add_u32 s6, s6, s4
	s_addc_u32 s7, s7, s5
	s_load_dwordx2 s[30:31], s[6:7], 0x0
	s_waitcnt lgkmcnt(0)
	v_cmp_lt_i64_e64 s[6:7], s[30:31], 0
	s_and_b64 vcc, exec, s[6:7]
	s_cbranch_vccnz .LBB28_13
; %bb.1:
	s_load_dword s3, s[0:1], 0x28
	s_load_dwordx2 s[6:7], s[0:1], 0x0
	s_load_dwordx4 s[12:15], s[0:1], 0x10
	s_waitcnt lgkmcnt(0)
	s_ashr_i32 s22, s3, 31
	s_add_u32 s16, s6, s4
	s_addc_u32 s17, s7, s5
	s_load_dwordx2 s[18:19], s[16:17], 0x0
	s_load_dwordx2 s[26:27], s[0:1], 0x20
	s_load_dwordx8 s[4:11], s[0:1], 0x30
	s_load_dwordx2 s[20:21], s[0:1], 0x58
	s_load_dword s25, s[0:1], 0x50
	s_waitcnt lgkmcnt(0)
	s_mul_i32 s16, s18, s22
	s_mul_hi_u32 s17, s18, s3
	s_mul_i32 s19, s19, s3
	s_add_i32 s16, s17, s16
	s_add_i32 s17, s16, s19
	s_mul_i32 s16, s18, s3
	s_lshl_b64 s[28:29], s[16:17], 1
	s_add_u32 s22, s26, s28
	s_addc_u32 s23, s27, s29
	s_lshr_b32 s16, s3, 31
	s_add_i32 s3, s3, s16
	s_ashr_i32 s24, s3, 1
	s_mul_i32 s3, s24, s25
	v_cmp_gt_i32_e32 vcc, s3, v0
	s_and_saveexec_b64 s[16:17], vcc
	s_cbranch_execz .LBB28_4
; %bb.2:
	s_load_dwordx2 s[18:19], s[0:1], 0x8
	s_load_dword s34, s[0:1], 0x8c
	s_mul_i32 s5, s2, s5
	s_mul_hi_u32 s33, s2, s4
	s_add_i32 s5, s33, s5
	s_mul_i32 s4, s2, s4
	s_ashr_i32 s25, s24, 31
	s_lshl_b64 s[4:5], s[4:5], 1
	s_waitcnt lgkmcnt(0)
	s_add_u32 s4, s18, s4
	s_addc_u32 s5, s19, s5
	s_abs_i32 s33, s24
	v_cvt_f32_u32_e32 v1, s33
	s_sub_i32 s38, 0, s33
	s_mov_b64 s[18:19], 0
	s_and_b32 s36, s34, 0xffff
	v_rcp_iflag_f32_e32 v1, v1
	s_sub_i32 s37, 0, s24
	s_lshl_b64 s[34:35], s[24:25], 1
	v_mul_f32_e32 v1, 0x4f7ffffe, v1
	v_cvt_u32_f32_e32 v1, v1
	v_mul_lo_u32 v2, s38, v1
	v_mul_hi_u32 v2, v1, v2
	v_add_u32_e32 v1, v1, v2
	v_mov_b32_e32 v2, v0
.LBB28_3:                               ; =>This Inner Loop Header: Depth=1
	v_sub_u32_e32 v4, 0, v2
	v_max_i32_e32 v4, v2, v4
	v_mul_hi_u32 v5, v4, v1
	v_mul_lo_u32 v6, v5, s33
	v_sub_u32_e32 v4, v4, v6
	v_add_u32_e32 v7, 1, v5
	v_cmp_le_u32_e32 vcc, s33, v4
	v_subrev_u32_e32 v6, s33, v4
	v_ashrrev_i32_e32 v3, 31, v2
	v_cndmask_b32_e32 v5, v5, v7, vcc
	v_cndmask_b32_e32 v4, v4, v6, vcc
	v_add_u32_e32 v6, 1, v5
	v_cmp_le_u32_e32 vcc, s33, v4
	v_xor_b32_e32 v3, s25, v3
	s_nop 0
	v_cndmask_b32_e32 v4, v5, v6, vcc
	v_xor_b32_e32 v4, v4, v3
	v_sub_u32_e32 v3, v4, v3
	v_mad_u64_u32 v[4:5], s[38:39], s37, v3, v[2:3]
	v_ashrrev_i32_e32 v8, 31, v3
	v_ashrrev_i32_e32 v5, 31, v4
	v_mul_lo_u32 v9, v3, s7
	v_mad_u64_u32 v[6:7], s[38:39], v3, s6, 0
	v_mul_lo_u32 v3, v8, s6
	v_lshlrev_b64 v[4:5], 1, v[4:5]
	v_add3_u32 v7, v7, v9, v3
	v_lshl_add_u64 v[8:9], s[22:23], 0, v[4:5]
	v_lshl_add_u64 v[10:11], v[8:9], 0, s[34:35]
	global_load_ushort v3, v[8:9], off
	v_lshl_add_u64 v[6:7], v[6:7], 1, s[4:5]
	global_load_ushort v8, v[10:11], off
	v_lshl_add_u64 v[4:5], v[6:7], 0, v[4:5]
	v_lshl_add_u64 v[6:7], v[4:5], 0, s[34:35]
	global_load_ushort v9, v[4:5], off
	global_load_ushort v10, v[6:7], off
	v_add_u32_e32 v2, s36, v2
	v_cmp_le_i32_e32 vcc, s3, v2
	s_or_b64 s[18:19], vcc, s[18:19]
	s_waitcnt vmcnt(3)
	v_lshlrev_b32_e32 v3, 16, v3
	v_cvt_f16_f32_e32 v3, v3
	s_waitcnt vmcnt(2)
	v_lshlrev_b32_e32 v8, 16, v8
	v_cvt_f16_f32_e32 v8, v8
	s_waitcnt vmcnt(0)
	v_mul_f16_e32 v11, v10, v8
	v_mul_f16_e32 v8, v9, v8
	v_fma_f16 v9, v9, v3, -v11
	v_fma_f16 v3, v10, v3, v8
	global_store_short v[4:5], v9, off
	global_store_short v[6:7], v3, off
	s_andn2_b64 exec, exec, s[18:19]
	s_cbranch_execnz .LBB28_3
.LBB28_4:
	s_or_b64 exec, exec, s[16:17]
	s_load_dwordx4 s[16:19], s[0:1], 0x68
	s_waitcnt lgkmcnt(0)
	s_ashr_i32 s7, s19, 31
	s_mov_b32 s6, s19
	s_or_b64 s[4:5], s[30:31], s[6:7]
	s_mov_b32 s4, 0
	s_cmp_lg_u64 s[4:5], 0
	s_cbranch_scc0 .LBB28_14
; %bb.5:
	s_add_u32 s4, s6, s7
	s_mov_b32 s36, s7
	s_mov_b32 s37, s7
	s_addc_u32 s5, s7, s7
	s_xor_b64 s[38:39], s[4:5], s[36:37]
	v_cvt_f32_u32_e32 v1, s38
	v_cvt_f32_u32_e32 v2, s39
	s_sub_u32 s3, 0, s38
	s_subb_u32 s4, 0, s39
	v_fmamk_f32 v1, v2, 0x4f800000, v1
	v_rcp_f32_e32 v1, v1
	s_nop 0
	v_mul_f32_e32 v1, 0x5f7ffffc, v1
	v_mul_f32_e32 v2, 0x2f800000, v1
	v_trunc_f32_e32 v2, v2
	v_fmamk_f32 v1, v2, 0xcf800000, v1
	v_cvt_u32_f32_e32 v2, v2
	v_cvt_u32_f32_e32 v1, v1
	v_readfirstlane_b32 s5, v2
	v_readfirstlane_b32 s19, v1
	s_mul_i32 s25, s3, s5
	s_mul_hi_u32 s40, s3, s19
	s_mul_i32 s33, s4, s19
	s_add_i32 s25, s40, s25
	s_add_i32 s25, s25, s33
	s_mul_i32 s41, s3, s19
	s_mul_hi_u32 s33, s19, s25
	s_mul_i32 s40, s19, s25
	s_mul_hi_u32 s19, s19, s41
	s_add_u32 s19, s19, s40
	s_addc_u32 s33, 0, s33
	s_mul_hi_u32 s42, s5, s41
	s_mul_i32 s41, s5, s41
	s_add_u32 s19, s19, s41
	s_mul_hi_u32 s40, s5, s25
	s_addc_u32 s19, s33, s42
	s_addc_u32 s33, s40, 0
	s_mul_i32 s25, s5, s25
	s_add_u32 s19, s19, s25
	s_addc_u32 s25, 0, s33
	v_add_co_u32_e32 v1, vcc, s19, v1
	s_cmp_lg_u64 vcc, 0
	s_addc_u32 s5, s5, s25
	v_readfirstlane_b32 s25, v1
	s_mul_i32 s19, s3, s5
	s_mul_hi_u32 s33, s3, s25
	s_add_i32 s19, s33, s19
	s_mul_i32 s4, s4, s25
	s_add_i32 s19, s19, s4
	s_mul_i32 s3, s3, s25
	s_mul_hi_u32 s33, s5, s3
	s_mul_i32 s40, s5, s3
	s_mul_i32 s42, s25, s19
	s_mul_hi_u32 s3, s25, s3
	s_mul_hi_u32 s41, s25, s19
	s_add_u32 s3, s3, s42
	s_addc_u32 s25, 0, s41
	s_add_u32 s3, s3, s40
	s_mul_hi_u32 s4, s5, s19
	s_addc_u32 s3, s25, s33
	s_addc_u32 s4, s4, 0
	s_mul_i32 s19, s5, s19
	s_add_u32 s3, s3, s19
	s_addc_u32 s4, 0, s4
	v_add_co_u32_e32 v1, vcc, s3, v1
	s_cmp_lg_u64 vcc, 0
	s_addc_u32 s3, s5, s4
	s_ashr_i32 s40, s31, 31
	s_add_u32 s4, s30, s40
	s_mov_b32 s41, s40
	s_addc_u32 s5, s31, s40
	s_xor_b64 s[42:43], s[4:5], s[40:41]
	v_readfirstlane_b32 s19, v1
	s_mul_i32 s5, s42, s3
	s_mul_hi_u32 s25, s42, s19
	s_mul_hi_u32 s4, s42, s3
	s_add_u32 s5, s25, s5
	s_addc_u32 s4, 0, s4
	s_mul_hi_u32 s33, s43, s19
	s_mul_i32 s19, s43, s19
	s_add_u32 s5, s5, s19
	s_mul_hi_u32 s25, s43, s3
	s_addc_u32 s4, s4, s33
	s_addc_u32 s5, s25, 0
	s_mul_i32 s3, s43, s3
	s_add_u32 s3, s4, s3
	s_addc_u32 s19, 0, s5
	s_mul_i32 s4, s38, s19
	s_mul_hi_u32 s5, s38, s3
	s_add_i32 s4, s5, s4
	s_mul_i32 s5, s39, s3
	s_add_i32 s25, s4, s5
	s_mul_i32 s5, s38, s3
	v_mov_b32_e32 v1, s5
	s_sub_i32 s4, s43, s25
	v_sub_co_u32_e32 v1, vcc, s42, v1
	s_cmp_lg_u64 vcc, 0
	s_subb_u32 s33, s4, s39
	v_subrev_co_u32_e64 v2, s[4:5], s38, v1
	s_cmp_lg_u64 s[4:5], 0
	s_subb_u32 s4, s33, 0
	s_cmp_ge_u32 s4, s39
	v_readfirstlane_b32 s33, v2
	s_cselect_b32 s5, -1, 0
	s_cmp_ge_u32 s33, s38
	s_cselect_b32 s33, -1, 0
	s_cmp_eq_u32 s4, s39
	s_cselect_b32 s4, s33, s5
	s_add_u32 s5, s3, 1
	s_addc_u32 s33, s19, 0
	s_add_u32 s42, s3, 2
	s_addc_u32 s44, s19, 0
	s_cmp_lg_u32 s4, 0
	s_cselect_b32 s4, s42, s5
	s_cselect_b32 s5, s44, s33
	s_cmp_lg_u64 vcc, 0
	s_subb_u32 s25, s43, s25
	s_cmp_ge_u32 s25, s39
	v_readfirstlane_b32 s42, v1
	s_cselect_b32 s33, -1, 0
	s_cmp_ge_u32 s42, s38
	s_cselect_b32 s38, -1, 0
	s_cmp_eq_u32 s25, s39
	s_cselect_b32 s25, s38, s33
	s_cmp_lg_u32 s25, 0
	s_cselect_b32 s5, s5, s19
	s_cselect_b32 s4, s4, s3
	s_xor_b64 s[36:37], s[40:41], s[36:37]
	s_xor_b64 s[4:5], s[4:5], s[36:37]
	s_sub_u32 s4, s4, s36
	s_subb_u32 s5, s5, s37
	s_cbranch_execnz .LBB28_7
.LBB28_6:
	v_cvt_f32_u32_e32 v1, s6
	s_sub_i32 s3, 0, s6
	s_mov_b32 s5, 0
	v_rcp_iflag_f32_e32 v1, v1
	s_nop 0
	v_mul_f32_e32 v1, 0x4f7ffffe, v1
	v_cvt_u32_f32_e32 v1, v1
	s_nop 0
	v_readfirstlane_b32 s4, v1
	s_mul_i32 s3, s3, s4
	s_mul_hi_u32 s3, s4, s3
	s_add_i32 s4, s4, s3
	s_mul_hi_u32 s3, s30, s4
	s_mul_i32 s19, s3, s6
	s_sub_i32 s19, s30, s19
	s_add_i32 s4, s3, 1
	s_sub_i32 s25, s19, s6
	s_cmp_ge_u32 s19, s6
	s_cselect_b32 s3, s4, s3
	s_cselect_b32 s19, s25, s19
	s_add_i32 s4, s3, 1
	s_cmp_ge_u32 s19, s6
	s_cselect_b32 s4, s4, s3
.LBB28_7:
	s_mul_i32 s3, s4, s7
	s_mul_hi_u32 s7, s4, s6
	s_add_i32 s3, s7, s3
	s_mul_i32 s7, s5, s6
	s_add_i32 s3, s3, s7
	s_mul_i32 s6, s4, s6
	s_sub_u32 s33, s30, s6
	s_subb_u32 s3, s31, s3
	v_cmp_gt_i32_e32 vcc, s24, v0
	s_mul_hi_u32 s41, s4, s16
	s_mul_i32 s42, s5, s16
	s_mul_i32 s30, s4, s16
	s_mul_hi_u32 s40, s33, s17
	s_mul_i32 s5, s3, s17
	s_mul_i32 s6, s33, s17
	s_and_saveexec_b64 s[34:35], vcc
	s_cbranch_execz .LBB28_10
; %bb.8:
	s_mul_i32 s3, s2, s9
	s_mul_hi_u32 s7, s2, s8
	s_add_i32 s9, s7, s3
	s_mul_i32 s8, s2, s8
	s_ashr_i32 s25, s24, 31
	s_lshl_b64 s[38:39], s[8:9], 1
	s_add_u32 s8, s12, s38
	s_addc_u32 s9, s13, s39
	s_ashr_i32 s3, s16, 31
	s_mul_i32 s3, s4, s3
	s_add_i32 s3, s41, s3
	s_add_i32 s31, s3, s42
	s_ashr_i32 s3, s17, 31
	s_mul_i32 s3, s33, s3
	s_add_i32 s3, s40, s3
	s_add_i32 s7, s3, s5
	s_lshl_b64 s[36:37], s[30:31], 1
	s_lshl_b64 s[44:45], s[6:7], 1
	s_add_u32 s31, s36, s44
	s_addc_u32 s43, s37, s45
	s_load_dword s46, s[0:1], 0x8c
	s_add_u32 s3, s31, s20
	s_addc_u32 s7, s43, s21
	s_ashr_i32 s19, s18, 31
	s_lshl_b64 s[44:45], s[18:19], 1
	s_add_u32 s36, s3, s44
	s_addc_u32 s37, s7, s45
	s_waitcnt lgkmcnt(0)
	s_and_b32 s3, s46, 0xffff
	s_lshl_b32 s7, s3, 1
	s_lshl_b64 s[46:47], s[24:25], 1
	s_add_u32 s19, s28, s46
	s_addc_u32 s25, s29, s47
	s_add_u32 s26, s26, s19
	s_addc_u32 s27, s27, s25
	;; [unrolled: 2-line block ×6, first 2 shown]
	s_add_u32 s28, s20, s19
	v_lshlrev_b32_e32 v2, 1, v0
	v_mov_b32_e32 v3, 0
	s_addc_u32 s29, s21, s25
	s_mov_b64 s[38:39], 0
	v_mov_b32_e32 v1, v0
.LBB28_9:                               ; =>This Inner Loop Header: Depth=1
	v_lshl_add_u64 v[4:5], s[22:23], 0, v[2:3]
	v_lshl_add_u64 v[6:7], s[26:27], 0, v[2:3]
	;; [unrolled: 1-line block ×4, first 2 shown]
	global_load_ushort v12, v[4:5], off
	global_load_ushort v13, v[6:7], off
	;; [unrolled: 1-line block ×4, first 2 shown]
	s_add_u32 s22, s22, s7
	s_addc_u32 s23, s23, 0
	s_add_u32 s26, s26, s7
	s_addc_u32 s27, s27, 0
	;; [unrolled: 2-line block ×4, first 2 shown]
	v_lshl_add_u64 v[6:7], s[28:29], 0, v[2:3]
	s_add_u32 s28, s28, s7
	s_addc_u32 s29, s29, 0
	v_lshl_add_u64 v[4:5], s[36:37], 0, v[2:3]
	v_add_u32_e32 v1, s3, v1
	s_add_u32 s36, s36, s7
	v_cmp_le_i32_e32 vcc, s24, v1
	s_addc_u32 s37, s37, 0
	s_or_b64 s[38:39], vcc, s[38:39]
	s_waitcnt vmcnt(3)
	v_lshlrev_b32_e32 v12, 16, v12
	s_waitcnt vmcnt(2)
	v_lshlrev_b32_e32 v13, 16, v13
	v_cvt_f16_f32_e32 v13, v13
	v_cvt_f16_f32_e32 v12, v12
	s_waitcnt vmcnt(1)
	v_mul_f16_e32 v16, v14, v13
	s_waitcnt vmcnt(0)
	v_mul_f16_e32 v13, v15, v13
	v_fma_f16 v15, v15, v12, -v16
	v_fma_f16 v12, v14, v12, v13
	global_store_short v[8:9], v15, off
	global_store_short v[10:11], v12, off
	;; [unrolled: 1-line block ×4, first 2 shown]
	s_andn2_b64 exec, exec, s[38:39]
	s_cbranch_execnz .LBB28_9
.LBB28_10:
	s_or_b64 exec, exec, s[34:35]
	v_cmp_gt_i32_e32 vcc, s18, v0
	s_and_saveexec_b64 s[8:9], vcc
	s_cbranch_execz .LBB28_13
; %bb.11:
	s_mul_i32 s3, s2, s11
	s_mul_hi_u32 s7, s2, s10
	s_add_i32 s3, s7, s3
	s_mul_i32 s2, s2, s10
	s_lshl_b64 s[2:3], s[2:3], 1
	s_add_u32 s2, s14, s2
	s_addc_u32 s3, s15, s3
	s_ashr_i32 s7, s16, 31
	s_mul_i32 s4, s4, s7
	s_add_i32 s4, s41, s4
	s_add_i32 s31, s4, s42
	s_lshl_b64 s[8:9], s[30:31], 1
	s_add_u32 s4, s20, s8
	s_addc_u32 s8, s21, s9
	s_ashr_i32 s7, s17, 31
	s_mul_i32 s33, s33, s7
	s_load_dword s9, s[0:1], 0x8c
	s_add_i32 s7, s40, s33
	s_add_i32 s7, s7, s5
	s_lshl_b64 s[0:1], s[6:7], 1
	s_add_u32 s0, s4, s0
	s_addc_u32 s1, s8, s1
	s_waitcnt lgkmcnt(0)
	s_and_b32 s6, s9, 0xffff
	s_mov_b64 s[4:5], 0
.LBB28_12:                              ; =>This Inner Loop Header: Depth=1
	v_ashrrev_i32_e32 v1, 31, v0
	v_lshlrev_b64 v[2:3], 1, v[0:1]
	v_lshl_add_u64 v[4:5], s[2:3], 0, v[2:3]
	global_load_ushort v1, v[4:5], off
	v_add_u32_e32 v0, s6, v0
	v_cmp_le_i32_e32 vcc, s18, v0
	v_lshl_add_u64 v[2:3], s[0:1], 0, v[2:3]
	s_or_b64 s[4:5], vcc, s[4:5]
	s_waitcnt vmcnt(0)
	global_store_short v[2:3], v1, off
	s_andn2_b64 exec, exec, s[4:5]
	s_cbranch_execnz .LBB28_12
.LBB28_13:
	s_endpgm
.LBB28_14:
                                        ; implicit-def: $sgpr4_sgpr5
	s_branch .LBB28_6
	.section	.rodata,"a",@progbits
	.p2align	6, 0x0
	.amdhsa_kernel _ZN4vllm38concat_and_cache_mla_rope_fused_kernelIN3c104HalfENS1_8BFloat16ELb1EttLNS_18Fp8KVCacheDataTypeE0EEEvPKlPT_S8_PKS7_PKT0_illlliPT3_S6_iiiiPKf
		.amdhsa_group_segment_fixed_size 0
		.amdhsa_private_segment_fixed_size 0
		.amdhsa_kernarg_size 384
		.amdhsa_user_sgpr_count 2
		.amdhsa_user_sgpr_dispatch_ptr 0
		.amdhsa_user_sgpr_queue_ptr 0
		.amdhsa_user_sgpr_kernarg_segment_ptr 1
		.amdhsa_user_sgpr_dispatch_id 0
		.amdhsa_user_sgpr_kernarg_preload_length 0
		.amdhsa_user_sgpr_kernarg_preload_offset 0
		.amdhsa_user_sgpr_private_segment_size 0
		.amdhsa_uses_dynamic_stack 0
		.amdhsa_enable_private_segment 0
		.amdhsa_system_sgpr_workgroup_id_x 1
		.amdhsa_system_sgpr_workgroup_id_y 0
		.amdhsa_system_sgpr_workgroup_id_z 0
		.amdhsa_system_sgpr_workgroup_info 0
		.amdhsa_system_vgpr_workitem_id 0
		.amdhsa_next_free_vgpr 17
		.amdhsa_next_free_sgpr 48
		.amdhsa_accum_offset 20
		.amdhsa_reserve_vcc 1
		.amdhsa_float_round_mode_32 0
		.amdhsa_float_round_mode_16_64 0
		.amdhsa_float_denorm_mode_32 3
		.amdhsa_float_denorm_mode_16_64 3
		.amdhsa_dx10_clamp 1
		.amdhsa_ieee_mode 1
		.amdhsa_fp16_overflow 0
		.amdhsa_tg_split 0
		.amdhsa_exception_fp_ieee_invalid_op 0
		.amdhsa_exception_fp_denorm_src 0
		.amdhsa_exception_fp_ieee_div_zero 0
		.amdhsa_exception_fp_ieee_overflow 0
		.amdhsa_exception_fp_ieee_underflow 0
		.amdhsa_exception_fp_ieee_inexact 0
		.amdhsa_exception_int_div_zero 0
	.end_amdhsa_kernel
	.section	.text._ZN4vllm38concat_and_cache_mla_rope_fused_kernelIN3c104HalfENS1_8BFloat16ELb1EttLNS_18Fp8KVCacheDataTypeE0EEEvPKlPT_S8_PKS7_PKT0_illlliPT3_S6_iiiiPKf,"axG",@progbits,_ZN4vllm38concat_and_cache_mla_rope_fused_kernelIN3c104HalfENS1_8BFloat16ELb1EttLNS_18Fp8KVCacheDataTypeE0EEEvPKlPT_S8_PKS7_PKT0_illlliPT3_S6_iiiiPKf,comdat
.Lfunc_end28:
	.size	_ZN4vllm38concat_and_cache_mla_rope_fused_kernelIN3c104HalfENS1_8BFloat16ELb1EttLNS_18Fp8KVCacheDataTypeE0EEEvPKlPT_S8_PKS7_PKT0_illlliPT3_S6_iiiiPKf, .Lfunc_end28-_ZN4vllm38concat_and_cache_mla_rope_fused_kernelIN3c104HalfENS1_8BFloat16ELb1EttLNS_18Fp8KVCacheDataTypeE0EEEvPKlPT_S8_PKS7_PKT0_illlliPT3_S6_iiiiPKf
                                        ; -- End function
	.section	.AMDGPU.csdata,"",@progbits
; Kernel info:
; codeLenInByte = 2016
; NumSgprs: 54
; NumVgprs: 17
; NumAgprs: 0
; TotalNumVgprs: 17
; ScratchSize: 0
; MemoryBound: 0
; FloatMode: 240
; IeeeMode: 1
; LDSByteSize: 0 bytes/workgroup (compile time only)
; SGPRBlocks: 6
; VGPRBlocks: 2
; NumSGPRsForWavesPerEU: 54
; NumVGPRsForWavesPerEU: 17
; AccumOffset: 20
; Occupancy: 8
; WaveLimiterHint : 1
; COMPUTE_PGM_RSRC2:SCRATCH_EN: 0
; COMPUTE_PGM_RSRC2:USER_SGPR: 2
; COMPUTE_PGM_RSRC2:TRAP_HANDLER: 0
; COMPUTE_PGM_RSRC2:TGID_X_EN: 1
; COMPUTE_PGM_RSRC2:TGID_Y_EN: 0
; COMPUTE_PGM_RSRC2:TGID_Z_EN: 0
; COMPUTE_PGM_RSRC2:TIDIG_COMP_CNT: 0
; COMPUTE_PGM_RSRC3_GFX90A:ACCUM_OFFSET: 4
; COMPUTE_PGM_RSRC3_GFX90A:TG_SPLIT: 0
	.section	.text._ZN4vllm38concat_and_cache_mla_rope_fused_kernelIN3c104HalfENS1_8BFloat16ELb0EttLNS_18Fp8KVCacheDataTypeE0EEEvPKlPT_S8_PKS7_PKT0_illlliPT3_S6_iiiiPKf,"axG",@progbits,_ZN4vllm38concat_and_cache_mla_rope_fused_kernelIN3c104HalfENS1_8BFloat16ELb0EttLNS_18Fp8KVCacheDataTypeE0EEEvPKlPT_S8_PKS7_PKT0_illlliPT3_S6_iiiiPKf,comdat
	.protected	_ZN4vllm38concat_and_cache_mla_rope_fused_kernelIN3c104HalfENS1_8BFloat16ELb0EttLNS_18Fp8KVCacheDataTypeE0EEEvPKlPT_S8_PKS7_PKT0_illlliPT3_S6_iiiiPKf ; -- Begin function _ZN4vllm38concat_and_cache_mla_rope_fused_kernelIN3c104HalfENS1_8BFloat16ELb0EttLNS_18Fp8KVCacheDataTypeE0EEEvPKlPT_S8_PKS7_PKT0_illlliPT3_S6_iiiiPKf
	.globl	_ZN4vllm38concat_and_cache_mla_rope_fused_kernelIN3c104HalfENS1_8BFloat16ELb0EttLNS_18Fp8KVCacheDataTypeE0EEEvPKlPT_S8_PKS7_PKT0_illlliPT3_S6_iiiiPKf
	.p2align	8
	.type	_ZN4vllm38concat_and_cache_mla_rope_fused_kernelIN3c104HalfENS1_8BFloat16ELb0EttLNS_18Fp8KVCacheDataTypeE0EEEvPKlPT_S8_PKS7_PKT0_illlliPT3_S6_iiiiPKf,@function
_ZN4vllm38concat_and_cache_mla_rope_fused_kernelIN3c104HalfENS1_8BFloat16ELb0EttLNS_18Fp8KVCacheDataTypeE0EEEvPKlPT_S8_PKS7_PKT0_illlliPT3_S6_iiiiPKf: ; @_ZN4vllm38concat_and_cache_mla_rope_fused_kernelIN3c104HalfENS1_8BFloat16ELb0EttLNS_18Fp8KVCacheDataTypeE0EEEvPKlPT_S8_PKS7_PKT0_illlliPT3_S6_iiiiPKf
; %bb.0:
	s_load_dwordx2 s[6:7], s[0:1], 0x60
	s_mov_b32 s3, 0
	s_lshl_b64 s[4:5], s[2:3], 3
	s_waitcnt lgkmcnt(0)
	s_add_u32 s6, s6, s4
	s_addc_u32 s7, s7, s5
	s_load_dwordx2 s[26:27], s[6:7], 0x0
	s_waitcnt lgkmcnt(0)
	v_cmp_lt_i64_e64 s[6:7], s[26:27], 0
	s_and_b64 vcc, exec, s[6:7]
	s_cbranch_vccnz .LBB29_13
; %bb.1:
	s_load_dword s3, s[0:1], 0x28
	s_load_dwordx2 s[6:7], s[0:1], 0x0
	s_load_dwordx4 s[12:15], s[0:1], 0x10
	v_lshlrev_b32_e32 v2, 1, v0
	s_waitcnt lgkmcnt(0)
	s_ashr_i32 s22, s3, 31
	s_add_u32 s16, s6, s4
	s_addc_u32 s17, s7, s5
	s_load_dwordx2 s[18:19], s[16:17], 0x0
	s_load_dwordx2 s[24:25], s[0:1], 0x20
	s_load_dwordx8 s[4:11], s[0:1], 0x30
	s_load_dwordx2 s[20:21], s[0:1], 0x58
	s_load_dword s23, s[0:1], 0x50
	s_waitcnt lgkmcnt(0)
	s_mul_i32 s16, s18, s22
	s_mul_hi_u32 s17, s18, s3
	s_mul_i32 s19, s19, s3
	s_add_i32 s16, s17, s16
	s_add_i32 s29, s16, s19
	s_lshr_b32 s16, s3, 31
	s_mul_i32 s28, s18, s3
	s_add_i32 s3, s3, s16
	s_ashr_i32 s22, s3, 1
	s_mul_i32 s3, s22, s23
	v_cmp_gt_i32_e32 vcc, s3, v0
	s_and_saveexec_b64 s[16:17], vcc
	s_cbranch_execz .LBB29_4
; %bb.2:
	s_load_dwordx2 s[30:31], s[0:1], 0x8
	s_load_dword s34, s[0:1], 0x8c
	s_lshl_b64 s[18:19], s[28:29], 1
	s_add_u32 s18, s24, s18
	s_mul_i32 s5, s2, s5
	s_mul_hi_u32 s33, s2, s4
	s_addc_u32 s19, s25, s19
	s_add_i32 s5, s33, s5
	s_mul_i32 s4, s2, s4
	s_ashr_i32 s23, s22, 31
	s_lshl_b64 s[4:5], s[4:5], 1
	s_waitcnt lgkmcnt(0)
	s_add_u32 s4, s30, s4
	s_addc_u32 s5, s31, s5
	s_abs_i32 s33, s22
	v_cvt_f32_u32_e32 v1, s33
	s_sub_i32 s30, 0, s33
	s_and_b32 s34, s34, 0xffff
	s_sub_i32 s35, 0, s22
	v_rcp_iflag_f32_e32 v1, v1
	s_lshl_b32 s37, s34, 1
	v_mov_b32_e32 v4, v2
	v_mov_b32_e32 v6, v0
	v_mul_f32_e32 v1, 0x4f7ffffe, v1
	v_cvt_u32_f32_e32 v1, v1
	v_mul_lo_u32 v3, s30, v1
	v_mul_hi_u32 v3, v1, v3
	s_lshl_b32 s30, s22, 1
	v_add_u32_e32 v1, v1, v3
	s_sub_i32 s36, 0, s30
	s_mov_b64 s[30:31], 0
.LBB29_3:                               ; =>This Inner Loop Header: Depth=1
	v_sub_u32_e32 v5, 0, v6
	v_max_i32_e32 v5, v6, v5
	v_mul_hi_u32 v7, v5, v1
	v_mul_lo_u32 v8, v7, s33
	v_sub_u32_e32 v5, v5, v8
	v_add_u32_e32 v9, 1, v7
	v_cmp_le_u32_e32 vcc, s33, v5
	v_subrev_u32_e32 v8, s33, v5
	v_ashrrev_i32_e32 v3, 31, v6
	v_cndmask_b32_e32 v7, v7, v9, vcc
	v_cndmask_b32_e32 v5, v5, v8, vcc
	v_add_u32_e32 v8, 1, v7
	v_cmp_le_u32_e32 vcc, s33, v5
	v_xor_b32_e32 v3, s23, v3
	s_nop 0
	v_cndmask_b32_e32 v5, v7, v8, vcc
	v_xor_b32_e32 v5, v5, v3
	v_sub_u32_e32 v3, v5, v3
	v_mad_u64_u32 v[8:9], s[38:39], s35, v3, v[6:7]
	v_ashrrev_i32_e32 v9, 31, v8
	v_ashrrev_i32_e32 v5, 31, v3
	v_lshl_add_u64 v[8:9], v[8:9], 1, s[18:19]
	v_mul_lo_u32 v7, v3, s7
	v_mad_u64_u32 v[10:11], s[38:39], v3, s6, 0
	v_mad_u64_u32 v[12:13], s[38:39], s36, v3, v[4:5]
	v_mul_lo_u32 v3, v5, s6
	v_lshl_add_u64 v[14:15], s[22:23], 1, v[8:9]
	v_add3_u32 v11, v11, v7, v3
	global_load_ushort v3, v[8:9], off
	global_load_ushort v5, v[14:15], off
	v_ashrrev_i32_e32 v13, 31, v12
	v_lshl_add_u64 v[8:9], v[10:11], 1, s[4:5]
	v_lshl_add_u64 v[8:9], v[12:13], 1, v[8:9]
	global_load_dword v7, v[8:9], off
	v_add_u32_e32 v6, s34, v6
	v_cmp_le_i32_e32 vcc, s3, v6
	v_add_u32_e32 v4, s37, v4
	s_or_b64 s[30:31], vcc, s[30:31]
	s_waitcnt vmcnt(2)
	v_lshlrev_b32_e32 v3, 16, v3
	s_waitcnt vmcnt(1)
	v_lshlrev_b32_e32 v5, 16, v5
	v_cvt_f16_f32_e32 v5, v5
	v_cvt_f16_f32_e32 v3, v3
	s_waitcnt vmcnt(0)
	v_lshrrev_b32_e32 v10, 16, v7
	v_mul_f16_e32 v11, v10, v5
	v_mul_f16_e32 v5, v7, v5
	v_fma_f16 v7, v7, v3, -v11
	v_fma_f16 v3, v10, v3, v5
	v_pack_b32_f16 v3, v7, v3
	global_store_dword v[8:9], v3, off
	s_andn2_b64 exec, exec, s[30:31]
	s_cbranch_execnz .LBB29_3
.LBB29_4:
	s_or_b64 exec, exec, s[16:17]
	s_load_dwordx4 s[16:19], s[0:1], 0x68
	s_waitcnt lgkmcnt(0)
	s_ashr_i32 s7, s19, 31
	s_mov_b32 s6, s19
	s_or_b64 s[4:5], s[26:27], s[6:7]
	s_mov_b32 s4, 0
	s_cmp_lg_u64 s[4:5], 0
	s_cbranch_scc0 .LBB29_14
; %bb.5:
	s_add_u32 s4, s6, s7
	s_mov_b32 s34, s7
	s_mov_b32 s35, s7
	s_addc_u32 s5, s7, s7
	s_xor_b64 s[36:37], s[4:5], s[34:35]
	v_cvt_f32_u32_e32 v1, s36
	v_cvt_f32_u32_e32 v3, s37
	s_sub_u32 s3, 0, s36
	s_subb_u32 s4, 0, s37
	v_fmamk_f32 v1, v3, 0x4f800000, v1
	v_rcp_f32_e32 v1, v1
	s_nop 0
	v_mul_f32_e32 v1, 0x5f7ffffc, v1
	v_mul_f32_e32 v3, 0x2f800000, v1
	v_trunc_f32_e32 v3, v3
	v_fmamk_f32 v1, v3, 0xcf800000, v1
	v_cvt_u32_f32_e32 v3, v3
	v_cvt_u32_f32_e32 v1, v1
	v_readfirstlane_b32 s5, v3
	v_readfirstlane_b32 s19, v1
	s_mul_i32 s23, s3, s5
	s_mul_hi_u32 s38, s3, s19
	s_mul_i32 s33, s4, s19
	s_add_i32 s23, s38, s23
	s_add_i32 s23, s23, s33
	s_mul_i32 s39, s3, s19
	s_mul_hi_u32 s33, s19, s23
	s_mul_i32 s38, s19, s23
	s_mul_hi_u32 s19, s19, s39
	s_add_u32 s19, s19, s38
	s_addc_u32 s33, 0, s33
	s_mul_hi_u32 s40, s5, s39
	s_mul_i32 s39, s5, s39
	s_add_u32 s19, s19, s39
	s_mul_hi_u32 s38, s5, s23
	s_addc_u32 s19, s33, s40
	s_addc_u32 s33, s38, 0
	s_mul_i32 s23, s5, s23
	s_add_u32 s19, s19, s23
	s_addc_u32 s23, 0, s33
	v_add_co_u32_e32 v1, vcc, s19, v1
	s_cmp_lg_u64 vcc, 0
	s_addc_u32 s5, s5, s23
	v_readfirstlane_b32 s23, v1
	s_mul_i32 s19, s3, s5
	s_mul_hi_u32 s33, s3, s23
	s_add_i32 s19, s33, s19
	s_mul_i32 s4, s4, s23
	s_add_i32 s19, s19, s4
	s_mul_i32 s3, s3, s23
	s_mul_hi_u32 s33, s5, s3
	s_mul_i32 s38, s5, s3
	s_mul_i32 s40, s23, s19
	s_mul_hi_u32 s3, s23, s3
	s_mul_hi_u32 s39, s23, s19
	s_add_u32 s3, s3, s40
	s_addc_u32 s23, 0, s39
	s_add_u32 s3, s3, s38
	s_mul_hi_u32 s4, s5, s19
	s_addc_u32 s3, s23, s33
	s_addc_u32 s4, s4, 0
	s_mul_i32 s19, s5, s19
	s_add_u32 s3, s3, s19
	s_addc_u32 s4, 0, s4
	v_add_co_u32_e32 v1, vcc, s3, v1
	s_cmp_lg_u64 vcc, 0
	s_addc_u32 s3, s5, s4
	s_ashr_i32 s38, s27, 31
	s_add_u32 s4, s26, s38
	s_mov_b32 s39, s38
	s_addc_u32 s5, s27, s38
	s_xor_b64 s[40:41], s[4:5], s[38:39]
	v_readfirstlane_b32 s19, v1
	s_mul_i32 s5, s40, s3
	s_mul_hi_u32 s23, s40, s19
	s_mul_hi_u32 s4, s40, s3
	s_add_u32 s5, s23, s5
	s_addc_u32 s4, 0, s4
	s_mul_hi_u32 s33, s41, s19
	s_mul_i32 s19, s41, s19
	s_add_u32 s5, s5, s19
	s_mul_hi_u32 s23, s41, s3
	s_addc_u32 s4, s4, s33
	s_addc_u32 s5, s23, 0
	s_mul_i32 s3, s41, s3
	s_add_u32 s3, s4, s3
	s_addc_u32 s19, 0, s5
	s_mul_i32 s4, s36, s19
	s_mul_hi_u32 s5, s36, s3
	s_add_i32 s4, s5, s4
	s_mul_i32 s5, s37, s3
	s_add_i32 s23, s4, s5
	s_mul_i32 s5, s36, s3
	v_mov_b32_e32 v1, s5
	s_sub_i32 s4, s41, s23
	v_sub_co_u32_e32 v1, vcc, s40, v1
	s_cmp_lg_u64 vcc, 0
	s_subb_u32 s33, s4, s37
	v_subrev_co_u32_e64 v3, s[4:5], s36, v1
	s_cmp_lg_u64 s[4:5], 0
	s_subb_u32 s4, s33, 0
	s_cmp_ge_u32 s4, s37
	v_readfirstlane_b32 s33, v3
	s_cselect_b32 s5, -1, 0
	s_cmp_ge_u32 s33, s36
	s_cselect_b32 s33, -1, 0
	s_cmp_eq_u32 s4, s37
	s_cselect_b32 s4, s33, s5
	s_add_u32 s5, s3, 1
	s_addc_u32 s33, s19, 0
	s_add_u32 s40, s3, 2
	s_addc_u32 s42, s19, 0
	s_cmp_lg_u32 s4, 0
	s_cselect_b32 s4, s40, s5
	s_cselect_b32 s5, s42, s33
	s_cmp_lg_u64 vcc, 0
	s_subb_u32 s23, s41, s23
	s_cmp_ge_u32 s23, s37
	v_readfirstlane_b32 s40, v1
	s_cselect_b32 s33, -1, 0
	s_cmp_ge_u32 s40, s36
	s_cselect_b32 s36, -1, 0
	s_cmp_eq_u32 s23, s37
	s_cselect_b32 s23, s36, s33
	s_cmp_lg_u32 s23, 0
	s_cselect_b32 s5, s5, s19
	s_cselect_b32 s4, s4, s3
	s_xor_b64 s[34:35], s[38:39], s[34:35]
	s_xor_b64 s[4:5], s[4:5], s[34:35]
	s_sub_u32 s4, s4, s34
	s_subb_u32 s5, s5, s35
	s_cbranch_execnz .LBB29_7
.LBB29_6:
	v_cvt_f32_u32_e32 v1, s6
	s_sub_i32 s3, 0, s6
	s_mov_b32 s5, 0
	v_rcp_iflag_f32_e32 v1, v1
	s_nop 0
	v_mul_f32_e32 v1, 0x4f7ffffe, v1
	v_cvt_u32_f32_e32 v1, v1
	s_nop 0
	v_readfirstlane_b32 s4, v1
	s_mul_i32 s3, s3, s4
	s_mul_hi_u32 s3, s4, s3
	s_add_i32 s4, s4, s3
	s_mul_hi_u32 s3, s26, s4
	s_mul_i32 s19, s3, s6
	s_sub_i32 s19, s26, s19
	s_add_i32 s4, s3, 1
	s_sub_i32 s23, s19, s6
	s_cmp_ge_u32 s19, s6
	s_cselect_b32 s3, s4, s3
	s_cselect_b32 s19, s23, s19
	s_add_i32 s4, s3, 1
	s_cmp_ge_u32 s19, s6
	s_cselect_b32 s4, s4, s3
.LBB29_7:
	s_mul_i32 s3, s4, s7
	s_mul_hi_u32 s7, s4, s6
	s_add_i32 s3, s7, s3
	s_mul_i32 s7, s5, s6
	s_add_i32 s3, s3, s7
	s_mul_i32 s6, s4, s6
	s_sub_u32 s33, s26, s6
	s_subb_u32 s3, s27, s3
	v_cmp_gt_i32_e32 vcc, s22, v0
	s_mul_hi_u32 s35, s4, s16
	s_mul_i32 s36, s5, s16
	s_mul_i32 s26, s4, s16
	s_mul_hi_u32 s34, s33, s17
	s_mul_i32 s5, s3, s17
	s_mul_i32 s6, s33, s17
	s_and_saveexec_b64 s[30:31], vcc
	s_cbranch_execz .LBB29_10
; %bb.8:
	s_load_dword s3, s[0:1], 0x8c
	s_ashr_i32 s23, s22, 31
	s_ashr_i32 s7, s16, 31
	;; [unrolled: 1-line block ×4, first 2 shown]
	s_waitcnt lgkmcnt(0)
	s_and_b32 s3, s3, 0xffff
	s_lshl_b64 s[38:39], s[28:29], 1
	s_add_u32 s24, s24, s38
	s_mul_i32 s7, s4, s7
	s_addc_u32 s25, s25, s39
	s_add_i32 s7, s35, s7
	s_add_i32 s27, s7, s36
	s_mul_i32 s7, s33, s37
	s_add_i32 s7, s34, s7
	v_mov_b32_e32 v3, 0
	s_add_i32 s7, s7, s5
	v_lshl_add_u64 v[4:5], s[24:25], 0, v[2:3]
	s_lshl_b32 s28, s3, 1
	s_lshl_b64 s[24:25], s[22:23], 1
	s_lshl_b64 s[38:39], s[26:27], 1
	;; [unrolled: 1-line block ×3, first 2 shown]
	s_add_u32 s7, s38, s40
	s_addc_u32 s23, s39, s41
	s_lshl_b64 s[38:39], s[18:19], 1
	s_add_u32 s19, s20, s38
	s_addc_u32 s27, s21, s39
	s_add_u32 s38, s19, s7
	s_mul_i32 s9, s9, s2
	s_mul_hi_u32 s19, s8, s2
	s_addc_u32 s39, s27, s23
	s_add_i32 s9, s19, s9
	s_mul_i32 s8, s8, s2
	s_lshl_b32 s7, s3, 2
	s_lshl_b64 s[8:9], s[8:9], 1
	v_lshlrev_b32_e32 v2, 2, v0
	s_add_u32 s8, s12, s8
	v_lshl_add_u64 v[6:7], s[38:39], 0, v[2:3]
	s_addc_u32 s9, s13, s9
	s_mov_b32 s29, 0
	v_lshl_add_u64 v[6:7], v[6:7], 0, 2
	v_lshl_add_u64 v[2:3], s[8:9], 0, v[2:3]
	s_mov_b64 s[8:9], 0
	s_mov_b64 s[12:13], 0
	v_mov_b32_e32 v1, v0
.LBB29_9:                               ; =>This Inner Loop Header: Depth=1
	v_lshl_add_u64 v[8:9], v[4:5], 0, s[24:25]
	global_load_ushort v12, v[4:5], off
	v_lshl_add_u64 v[10:11], v[2:3], 0, s[12:13]
	global_load_ushort v13, v[8:9], off
	global_load_dword v14, v[10:11], off
	v_lshl_add_u64 v[8:9], v[6:7], 0, s[12:13]
	v_add_u32_e32 v1, s3, v1
	s_add_u32 s12, s12, s7
	s_addc_u32 s13, s13, 0
	v_cmp_le_i32_e32 vcc, s22, v1
	v_lshl_add_u64 v[4:5], v[4:5], 0, s[28:29]
	s_or_b64 s[8:9], vcc, s[8:9]
	s_waitcnt vmcnt(2)
	v_lshlrev_b32_e32 v12, 16, v12
	s_waitcnt vmcnt(1)
	v_lshlrev_b32_e32 v13, 16, v13
	v_cvt_f16_f32_e32 v13, v13
	v_cvt_f16_f32_e32 v12, v12
	s_waitcnt vmcnt(0)
	v_lshrrev_b32_e32 v15, 16, v14
	v_mul_f16_e32 v16, v15, v13
	v_mul_f16_e32 v13, v14, v13
	v_fma_f16 v14, v14, v12, -v16
	v_fma_f16 v12, v15, v12, v13
	v_pack_b32_f16 v12, v14, v12
	global_store_dword v[10:11], v12, off
	global_store_dword v[8:9], v12, off offset:-2
	s_andn2_b64 exec, exec, s[8:9]
	s_cbranch_execnz .LBB29_9
.LBB29_10:
	s_or_b64 exec, exec, s[30:31]
	v_cmp_gt_i32_e32 vcc, s18, v0
	s_and_saveexec_b64 s[8:9], vcc
	s_cbranch_execz .LBB29_13
; %bb.11:
	s_mul_i32 s3, s2, s11
	s_mul_hi_u32 s7, s2, s10
	s_add_i32 s3, s7, s3
	s_mul_i32 s2, s2, s10
	s_lshl_b64 s[2:3], s[2:3], 1
	s_add_u32 s2, s14, s2
	s_addc_u32 s3, s15, s3
	s_ashr_i32 s7, s16, 31
	s_mul_i32 s4, s4, s7
	s_add_i32 s4, s35, s4
	s_add_i32 s27, s4, s36
	s_lshl_b64 s[8:9], s[26:27], 1
	s_add_u32 s4, s20, s8
	s_addc_u32 s8, s21, s9
	s_ashr_i32 s7, s17, 31
	s_mul_i32 s33, s33, s7
	s_load_dword s9, s[0:1], 0x8c
	s_add_i32 s7, s34, s33
	s_add_i32 s7, s7, s5
	s_lshl_b64 s[0:1], s[6:7], 1
	s_add_u32 s0, s4, s0
	s_addc_u32 s1, s8, s1
	s_waitcnt lgkmcnt(0)
	s_and_b32 s6, s9, 0xffff
	s_mov_b64 s[4:5], 0
.LBB29_12:                              ; =>This Inner Loop Header: Depth=1
	v_ashrrev_i32_e32 v1, 31, v0
	v_lshlrev_b64 v[2:3], 1, v[0:1]
	v_lshl_add_u64 v[4:5], s[2:3], 0, v[2:3]
	global_load_ushort v1, v[4:5], off
	v_add_u32_e32 v0, s6, v0
	v_cmp_le_i32_e32 vcc, s18, v0
	v_lshl_add_u64 v[2:3], s[0:1], 0, v[2:3]
	s_or_b64 s[4:5], vcc, s[4:5]
	s_waitcnt vmcnt(0)
	global_store_short v[2:3], v1, off
	s_andn2_b64 exec, exec, s[4:5]
	s_cbranch_execnz .LBB29_12
.LBB29_13:
	s_endpgm
.LBB29_14:
                                        ; implicit-def: $sgpr4_sgpr5
	s_branch .LBB29_6
	.section	.rodata,"a",@progbits
	.p2align	6, 0x0
	.amdhsa_kernel _ZN4vllm38concat_and_cache_mla_rope_fused_kernelIN3c104HalfENS1_8BFloat16ELb0EttLNS_18Fp8KVCacheDataTypeE0EEEvPKlPT_S8_PKS7_PKT0_illlliPT3_S6_iiiiPKf
		.amdhsa_group_segment_fixed_size 0
		.amdhsa_private_segment_fixed_size 0
		.amdhsa_kernarg_size 384
		.amdhsa_user_sgpr_count 2
		.amdhsa_user_sgpr_dispatch_ptr 0
		.amdhsa_user_sgpr_queue_ptr 0
		.amdhsa_user_sgpr_kernarg_segment_ptr 1
		.amdhsa_user_sgpr_dispatch_id 0
		.amdhsa_user_sgpr_kernarg_preload_length 0
		.amdhsa_user_sgpr_kernarg_preload_offset 0
		.amdhsa_user_sgpr_private_segment_size 0
		.amdhsa_uses_dynamic_stack 0
		.amdhsa_enable_private_segment 0
		.amdhsa_system_sgpr_workgroup_id_x 1
		.amdhsa_system_sgpr_workgroup_id_y 0
		.amdhsa_system_sgpr_workgroup_id_z 0
		.amdhsa_system_sgpr_workgroup_info 0
		.amdhsa_system_vgpr_workitem_id 0
		.amdhsa_next_free_vgpr 17
		.amdhsa_next_free_sgpr 43
		.amdhsa_accum_offset 20
		.amdhsa_reserve_vcc 1
		.amdhsa_float_round_mode_32 0
		.amdhsa_float_round_mode_16_64 0
		.amdhsa_float_denorm_mode_32 3
		.amdhsa_float_denorm_mode_16_64 3
		.amdhsa_dx10_clamp 1
		.amdhsa_ieee_mode 1
		.amdhsa_fp16_overflow 0
		.amdhsa_tg_split 0
		.amdhsa_exception_fp_ieee_invalid_op 0
		.amdhsa_exception_fp_denorm_src 0
		.amdhsa_exception_fp_ieee_div_zero 0
		.amdhsa_exception_fp_ieee_overflow 0
		.amdhsa_exception_fp_ieee_underflow 0
		.amdhsa_exception_fp_ieee_inexact 0
		.amdhsa_exception_int_div_zero 0
	.end_amdhsa_kernel
	.section	.text._ZN4vllm38concat_and_cache_mla_rope_fused_kernelIN3c104HalfENS1_8BFloat16ELb0EttLNS_18Fp8KVCacheDataTypeE0EEEvPKlPT_S8_PKS7_PKT0_illlliPT3_S6_iiiiPKf,"axG",@progbits,_ZN4vllm38concat_and_cache_mla_rope_fused_kernelIN3c104HalfENS1_8BFloat16ELb0EttLNS_18Fp8KVCacheDataTypeE0EEEvPKlPT_S8_PKS7_PKT0_illlliPT3_S6_iiiiPKf,comdat
.Lfunc_end29:
	.size	_ZN4vllm38concat_and_cache_mla_rope_fused_kernelIN3c104HalfENS1_8BFloat16ELb0EttLNS_18Fp8KVCacheDataTypeE0EEEvPKlPT_S8_PKS7_PKT0_illlliPT3_S6_iiiiPKf, .Lfunc_end29-_ZN4vllm38concat_and_cache_mla_rope_fused_kernelIN3c104HalfENS1_8BFloat16ELb0EttLNS_18Fp8KVCacheDataTypeE0EEEvPKlPT_S8_PKS7_PKT0_illlliPT3_S6_iiiiPKf
                                        ; -- End function
	.section	.AMDGPU.csdata,"",@progbits
; Kernel info:
; codeLenInByte = 1956
; NumSgprs: 49
; NumVgprs: 17
; NumAgprs: 0
; TotalNumVgprs: 17
; ScratchSize: 0
; MemoryBound: 0
; FloatMode: 240
; IeeeMode: 1
; LDSByteSize: 0 bytes/workgroup (compile time only)
; SGPRBlocks: 6
; VGPRBlocks: 2
; NumSGPRsForWavesPerEU: 49
; NumVGPRsForWavesPerEU: 17
; AccumOffset: 20
; Occupancy: 8
; WaveLimiterHint : 1
; COMPUTE_PGM_RSRC2:SCRATCH_EN: 0
; COMPUTE_PGM_RSRC2:USER_SGPR: 2
; COMPUTE_PGM_RSRC2:TRAP_HANDLER: 0
; COMPUTE_PGM_RSRC2:TGID_X_EN: 1
; COMPUTE_PGM_RSRC2:TGID_Y_EN: 0
; COMPUTE_PGM_RSRC2:TGID_Z_EN: 0
; COMPUTE_PGM_RSRC2:TIDIG_COMP_CNT: 0
; COMPUTE_PGM_RSRC3_GFX90A:ACCUM_OFFSET: 4
; COMPUTE_PGM_RSRC3_GFX90A:TG_SPLIT: 0
	.section	.text._ZN4vllm38concat_and_cache_mla_rope_fused_kernelIN3c108BFloat16EfLb1EttLNS_18Fp8KVCacheDataTypeE0EEEvPKlPT_S7_PKS6_PKT0_illlliPT3_S5_iiiiPKf,"axG",@progbits,_ZN4vllm38concat_and_cache_mla_rope_fused_kernelIN3c108BFloat16EfLb1EttLNS_18Fp8KVCacheDataTypeE0EEEvPKlPT_S7_PKS6_PKT0_illlliPT3_S5_iiiiPKf,comdat
	.protected	_ZN4vllm38concat_and_cache_mla_rope_fused_kernelIN3c108BFloat16EfLb1EttLNS_18Fp8KVCacheDataTypeE0EEEvPKlPT_S7_PKS6_PKT0_illlliPT3_S5_iiiiPKf ; -- Begin function _ZN4vllm38concat_and_cache_mla_rope_fused_kernelIN3c108BFloat16EfLb1EttLNS_18Fp8KVCacheDataTypeE0EEEvPKlPT_S7_PKS6_PKT0_illlliPT3_S5_iiiiPKf
	.globl	_ZN4vllm38concat_and_cache_mla_rope_fused_kernelIN3c108BFloat16EfLb1EttLNS_18Fp8KVCacheDataTypeE0EEEvPKlPT_S7_PKS6_PKT0_illlliPT3_S5_iiiiPKf
	.p2align	8
	.type	_ZN4vllm38concat_and_cache_mla_rope_fused_kernelIN3c108BFloat16EfLb1EttLNS_18Fp8KVCacheDataTypeE0EEEvPKlPT_S7_PKS6_PKT0_illlliPT3_S5_iiiiPKf,@function
_ZN4vllm38concat_and_cache_mla_rope_fused_kernelIN3c108BFloat16EfLb1EttLNS_18Fp8KVCacheDataTypeE0EEEvPKlPT_S7_PKS6_PKT0_illlliPT3_S5_iiiiPKf: ; @_ZN4vllm38concat_and_cache_mla_rope_fused_kernelIN3c108BFloat16EfLb1EttLNS_18Fp8KVCacheDataTypeE0EEEvPKlPT_S7_PKS6_PKT0_illlliPT3_S5_iiiiPKf
; %bb.0:
	s_load_dwordx2 s[6:7], s[0:1], 0x60
	s_mov_b32 s3, 0
	s_lshl_b64 s[4:5], s[2:3], 3
	s_waitcnt lgkmcnt(0)
	s_add_u32 s6, s6, s4
	s_addc_u32 s7, s7, s5
	s_load_dwordx2 s[34:35], s[6:7], 0x0
	s_waitcnt lgkmcnt(0)
	v_cmp_lt_i64_e64 s[6:7], s[34:35], 0
	s_and_b64 vcc, exec, s[6:7]
	s_cbranch_vccnz .LBB30_13
; %bb.1:
	s_load_dword s3, s[0:1], 0x28
	s_load_dwordx2 s[6:7], s[0:1], 0x0
	s_load_dwordx4 s[16:19], s[0:1], 0x10
	s_waitcnt lgkmcnt(0)
	s_ashr_i32 s20, s3, 31
	s_add_u32 s4, s6, s4
	s_addc_u32 s5, s7, s5
	s_load_dwordx2 s[6:7], s[4:5], 0x0
	s_load_dwordx2 s[28:29], s[0:1], 0x20
	s_load_dwordx8 s[8:15], s[0:1], 0x30
	s_load_dwordx2 s[24:25], s[0:1], 0x58
	s_load_dword s21, s[0:1], 0x50
	s_waitcnt lgkmcnt(0)
	s_mul_i32 s4, s6, s20
	s_mul_hi_u32 s5, s6, s3
	s_mul_i32 s7, s7, s3
	s_add_i32 s4, s5, s4
	s_add_i32 s31, s4, s7
	s_lshr_b32 s4, s3, 31
	s_mul_i32 s30, s6, s3
	s_add_i32 s3, s3, s4
	s_ashr_i32 s26, s3, 1
	s_mul_i32 s3, s26, s21
	v_cmp_gt_i32_e32 vcc, s3, v0
	s_and_saveexec_b64 s[20:21], vcc
	s_cbranch_execz .LBB30_4
; %bb.2:
	s_lshl_b64 s[4:5], s[30:31], 2
	s_add_u32 s22, s28, s4
	s_addc_u32 s23, s29, s5
	s_load_dwordx2 s[4:5], s[0:1], 0x8
	s_mul_i32 s6, s2, s9
	s_mul_hi_u32 s7, s2, s8
	s_add_i32 s7, s7, s6
	s_mul_i32 s6, s2, s8
	s_load_dword s8, s[0:1], 0x8c
	s_ashr_i32 s27, s26, 31
	s_lshl_b64 s[6:7], s[6:7], 1
	s_waitcnt lgkmcnt(0)
	s_add_u32 s36, s4, s6
	s_addc_u32 s37, s5, s7
	s_abs_i32 s33, s26
	v_cvt_f32_u32_e32 v1, s33
	s_sub_i32 s4, 0, s33
	s_and_b32 s40, s8, 0xffff
	s_sub_i32 s41, 0, s26
	v_rcp_iflag_f32_e32 v1, v1
	s_mov_b64 s[38:39], 0
	s_movk_i32 s42, 0x7fff
	v_mov_b32_e32 v3, 0x7fc00000
	v_mul_f32_e32 v1, 0x4f7ffffe, v1
	v_cvt_u32_f32_e32 v1, v1
	v_mov_b32_e32 v4, 0x7fc0
	v_mul_lo_u32 v2, s4, v1
	v_mul_hi_u32 v2, v1, v2
	v_add_u32_e32 v1, v1, v2
	v_mov_b32_e32 v2, v0
.LBB30_3:                               ; =>This Inner Loop Header: Depth=1
	v_sub_u32_e32 v6, 0, v2
	v_max_i32_e32 v6, v2, v6
	v_mul_hi_u32 v7, v6, v1
	v_mul_lo_u32 v8, v7, s33
	v_sub_u32_e32 v6, v6, v8
	v_add_u32_e32 v9, 1, v7
	v_cmp_le_u32_e32 vcc, s33, v6
	v_subrev_u32_e32 v8, s33, v6
	v_ashrrev_i32_e32 v5, 31, v2
	v_cndmask_b32_e32 v7, v7, v9, vcc
	v_cndmask_b32_e32 v6, v6, v8, vcc
	v_add_u32_e32 v8, 1, v7
	v_cmp_le_u32_e32 vcc, s33, v6
	v_xor_b32_e32 v5, s27, v5
	s_nop 0
	v_cndmask_b32_e32 v6, v7, v8, vcc
	v_xor_b32_e32 v6, v6, v5
	v_sub_u32_e32 v5, v6, v5
	v_mad_u64_u32 v[6:7], s[4:5], s41, v5, v[2:3]
	v_ashrrev_i32_e32 v10, 31, v5
	v_mul_lo_u32 v12, v5, s11
	v_mad_u64_u32 v[8:9], s[4:5], v5, s10, 0
	v_ashrrev_i32_e32 v7, 31, v6
	v_mul_lo_u32 v5, v10, s10
	v_lshl_add_u64 v[10:11], v[6:7], 2, s[22:23]
	v_add3_u32 v9, v9, v12, v5
	v_lshl_add_u64 v[12:13], s[26:27], 2, v[10:11]
	v_lshl_add_u64 v[8:9], v[8:9], 1, s[36:37]
	global_load_dword v5, v[10:11], off
	global_load_dword v14, v[12:13], off
	v_lshl_add_u64 v[6:7], v[6:7], 1, v[8:9]
	v_lshl_add_u64 v[8:9], s[26:27], 1, v[6:7]
	global_load_ushort v10, v[6:7], off
	global_load_ushort v12, v[8:9], off
	v_add_u32_e32 v2, s40, v2
	v_cmp_le_i32_e32 vcc, s3, v2
	s_or_b64 s[38:39], vcc, s[38:39]
	s_waitcnt vmcnt(3)
	v_bfe_u32 v11, v5, 16, 1
	s_waitcnt vmcnt(2)
	v_bfe_u32 v13, v14, 16, 1
	v_add3_u32 v11, v5, v11, s42
	v_add3_u32 v13, v14, v13, s42
	v_and_b32_e32 v15, 0xffff0000, v11
	v_cmp_o_f32_e32 vcc, v5, v5
	v_and_b32_e32 v5, 0xffff0000, v13
	s_waitcnt vmcnt(1)
	v_lshlrev_b32_e32 v11, 16, v10
	s_waitcnt vmcnt(0)
	v_lshlrev_b32_e32 v10, 16, v12
	v_cndmask_b32_e32 v12, v3, v15, vcc
	v_cmp_o_f32_e32 vcc, v14, v14
	v_mov_b32_e32 v14, v11
	v_mov_b32_e32 v15, v10
	v_cndmask_b32_e32 v13, v3, v5, vcc
	v_pk_mul_f32 v[14:15], v[12:13], v[14:15]
	v_pk_mul_f32 v[10:11], v[12:13], v[10:11]
	v_bfe_u32 v5, v14, 16, 1
	v_bfe_u32 v12, v15, 16, 1
	;; [unrolled: 1-line block ×4, first 2 shown]
	v_add3_u32 v12, v15, v12, s42
	v_add3_u32 v5, v14, v5, s42
	;; [unrolled: 1-line block ×4, first 2 shown]
	v_and_b32_e32 v5, 0xffff0000, v5
	v_and_b32_e32 v12, 0xffff0000, v12
	v_cmp_o_f32_e32 vcc, v14, v14
	v_cmp_o_f32_e64 s[8:9], v15, v15
	v_and_b32_e32 v13, 0xffff0000, v13
	v_and_b32_e32 v14, 0xffff0000, v16
	v_cmp_o_f32_e64 s[4:5], v11, v11
	v_cmp_o_f32_e64 s[6:7], v10, v10
	v_cndmask_b32_e64 v10, v3, v12, s[8:9]
	v_cndmask_b32_e32 v5, v3, v5, vcc
	v_cndmask_b32_e64 v11, v3, v14, s[4:5]
	v_cndmask_b32_e64 v12, v3, v13, s[6:7]
	v_sub_f32_e32 v5, v5, v10
	v_add_f32_e32 v10, v12, v11
	v_bfe_u32 v11, v5, 16, 1
	v_bfe_u32 v12, v10, 16, 1
	v_add3_u32 v11, v5, v11, s42
	v_add3_u32 v12, v10, v12, s42
	v_lshrrev_b32_e32 v11, 16, v11
	v_cmp_o_f32_e64 s[4:5], v5, v5
	v_lshrrev_b32_e32 v12, 16, v12
	v_cmp_o_f32_e32 vcc, v10, v10
	v_cndmask_b32_e64 v5, v4, v11, s[4:5]
	s_nop 0
	v_cndmask_b32_e32 v10, v4, v12, vcc
	global_store_short v[6:7], v5, off
	global_store_short v[8:9], v10, off
	s_andn2_b64 exec, exec, s[38:39]
	s_cbranch_execnz .LBB30_3
.LBB30_4:
	s_or_b64 exec, exec, s[20:21]
	s_load_dwordx4 s[20:23], s[0:1], 0x68
	s_waitcnt lgkmcnt(0)
	s_ashr_i32 s7, s23, 31
	s_mov_b32 s6, s23
	s_or_b64 s[4:5], s[34:35], s[6:7]
	s_mov_b32 s4, 0
	s_cmp_lg_u64 s[4:5], 0
	s_cbranch_scc0 .LBB30_14
; %bb.5:
	s_add_u32 s4, s6, s7
	s_mov_b32 s10, s7
	s_mov_b32 s11, s7
	s_addc_u32 s5, s7, s7
	s_xor_b64 s[36:37], s[4:5], s[10:11]
	v_cvt_f32_u32_e32 v1, s36
	v_cvt_f32_u32_e32 v2, s37
	s_sub_u32 s3, 0, s36
	s_subb_u32 s4, 0, s37
	v_fmamk_f32 v1, v2, 0x4f800000, v1
	v_rcp_f32_e32 v1, v1
	s_nop 0
	v_mul_f32_e32 v1, 0x5f7ffffc, v1
	v_mul_f32_e32 v2, 0x2f800000, v1
	v_trunc_f32_e32 v2, v2
	v_fmamk_f32 v1, v2, 0xcf800000, v1
	v_cvt_u32_f32_e32 v2, v2
	v_cvt_u32_f32_e32 v1, v1
	v_readfirstlane_b32 s5, v2
	v_readfirstlane_b32 s23, v1
	s_mul_i32 s27, s3, s5
	s_mul_hi_u32 s38, s3, s23
	s_mul_i32 s33, s4, s23
	s_add_i32 s27, s38, s27
	s_add_i32 s27, s27, s33
	s_mul_i32 s39, s3, s23
	s_mul_hi_u32 s33, s23, s27
	s_mul_i32 s38, s23, s27
	s_mul_hi_u32 s23, s23, s39
	s_add_u32 s23, s23, s38
	s_addc_u32 s33, 0, s33
	s_mul_hi_u32 s40, s5, s39
	s_mul_i32 s39, s5, s39
	s_add_u32 s23, s23, s39
	s_mul_hi_u32 s38, s5, s27
	s_addc_u32 s23, s33, s40
	s_addc_u32 s33, s38, 0
	s_mul_i32 s27, s5, s27
	s_add_u32 s23, s23, s27
	s_addc_u32 s27, 0, s33
	v_add_co_u32_e32 v1, vcc, s23, v1
	s_cmp_lg_u64 vcc, 0
	s_addc_u32 s5, s5, s27
	v_readfirstlane_b32 s27, v1
	s_mul_i32 s23, s3, s5
	s_mul_hi_u32 s33, s3, s27
	s_add_i32 s23, s33, s23
	s_mul_i32 s4, s4, s27
	s_add_i32 s23, s23, s4
	s_mul_i32 s3, s3, s27
	s_mul_hi_u32 s33, s5, s3
	s_mul_i32 s38, s5, s3
	s_mul_i32 s40, s27, s23
	s_mul_hi_u32 s3, s27, s3
	s_mul_hi_u32 s39, s27, s23
	s_add_u32 s3, s3, s40
	s_addc_u32 s27, 0, s39
	s_add_u32 s3, s3, s38
	s_mul_hi_u32 s4, s5, s23
	s_addc_u32 s3, s27, s33
	s_addc_u32 s4, s4, 0
	s_mul_i32 s23, s5, s23
	s_add_u32 s3, s3, s23
	s_addc_u32 s4, 0, s4
	v_add_co_u32_e32 v1, vcc, s3, v1
	s_cmp_lg_u64 vcc, 0
	s_addc_u32 s3, s5, s4
	s_ashr_i32 s38, s35, 31
	s_add_u32 s4, s34, s38
	s_mov_b32 s39, s38
	s_addc_u32 s5, s35, s38
	s_xor_b64 s[40:41], s[4:5], s[38:39]
	v_readfirstlane_b32 s23, v1
	s_mul_i32 s5, s40, s3
	s_mul_hi_u32 s27, s40, s23
	s_mul_hi_u32 s4, s40, s3
	s_add_u32 s5, s27, s5
	s_addc_u32 s4, 0, s4
	s_mul_hi_u32 s33, s41, s23
	s_mul_i32 s23, s41, s23
	s_add_u32 s5, s5, s23
	s_mul_hi_u32 s27, s41, s3
	s_addc_u32 s4, s4, s33
	s_addc_u32 s5, s27, 0
	s_mul_i32 s3, s41, s3
	s_add_u32 s3, s4, s3
	s_addc_u32 s23, 0, s5
	s_mul_i32 s4, s36, s23
	s_mul_hi_u32 s5, s36, s3
	s_add_i32 s4, s5, s4
	s_mul_i32 s5, s37, s3
	s_add_i32 s27, s4, s5
	s_mul_i32 s5, s36, s3
	v_mov_b32_e32 v1, s5
	s_sub_i32 s4, s41, s27
	v_sub_co_u32_e32 v1, vcc, s40, v1
	s_cmp_lg_u64 vcc, 0
	s_subb_u32 s33, s4, s37
	v_subrev_co_u32_e64 v2, s[4:5], s36, v1
	s_cmp_lg_u64 s[4:5], 0
	s_subb_u32 s4, s33, 0
	s_cmp_ge_u32 s4, s37
	v_readfirstlane_b32 s33, v2
	s_cselect_b32 s5, -1, 0
	s_cmp_ge_u32 s33, s36
	s_cselect_b32 s33, -1, 0
	s_cmp_eq_u32 s4, s37
	s_cselect_b32 s4, s33, s5
	s_add_u32 s5, s3, 1
	s_addc_u32 s33, s23, 0
	s_add_u32 s40, s3, 2
	s_addc_u32 s42, s23, 0
	s_cmp_lg_u32 s4, 0
	s_cselect_b32 s4, s40, s5
	s_cselect_b32 s5, s42, s33
	s_cmp_lg_u64 vcc, 0
	s_subb_u32 s27, s41, s27
	s_cmp_ge_u32 s27, s37
	v_readfirstlane_b32 s40, v1
	s_cselect_b32 s33, -1, 0
	s_cmp_ge_u32 s40, s36
	s_cselect_b32 s36, -1, 0
	s_cmp_eq_u32 s27, s37
	s_cselect_b32 s27, s36, s33
	s_cmp_lg_u32 s27, 0
	s_cselect_b32 s5, s5, s23
	s_cselect_b32 s4, s4, s3
	s_xor_b64 s[10:11], s[38:39], s[10:11]
	s_xor_b64 s[4:5], s[4:5], s[10:11]
	s_sub_u32 s10, s4, s10
	s_subb_u32 s11, s5, s11
	s_cbranch_execnz .LBB30_7
.LBB30_6:
	v_cvt_f32_u32_e32 v1, s6
	s_sub_i32 s3, 0, s6
	s_mov_b32 s11, 0
	v_rcp_iflag_f32_e32 v1, v1
	s_nop 0
	v_mul_f32_e32 v1, 0x4f7ffffe, v1
	v_cvt_u32_f32_e32 v1, v1
	s_nop 0
	v_readfirstlane_b32 s4, v1
	s_mul_i32 s3, s3, s4
	s_mul_hi_u32 s3, s4, s3
	s_add_i32 s4, s4, s3
	s_mul_hi_u32 s3, s34, s4
	s_mul_i32 s5, s3, s6
	s_sub_i32 s5, s34, s5
	s_add_i32 s4, s3, 1
	s_sub_i32 s8, s5, s6
	s_cmp_ge_u32 s5, s6
	s_cselect_b32 s3, s4, s3
	s_cselect_b32 s5, s8, s5
	s_add_i32 s4, s3, 1
	s_cmp_ge_u32 s5, s6
	s_cselect_b32 s10, s4, s3
.LBB30_7:
	s_mul_i32 s3, s10, s7
	s_mul_hi_u32 s4, s10, s6
	s_add_i32 s3, s4, s3
	s_mul_i32 s4, s11, s6
	s_add_i32 s3, s3, s4
	s_mul_i32 s4, s10, s6
	s_sub_u32 s33, s34, s4
	s_subb_u32 s3, s35, s3
	v_cmp_gt_i32_e32 vcc, s26, v0
	s_mul_hi_u32 s47, s10, s20
	s_mul_i32 s48, s11, s20
	s_mul_i32 s36, s10, s20
	s_mul_hi_u32 s46, s33, s21
	s_mul_i32 s11, s3, s21
	s_mul_i32 s34, s33, s21
	s_and_saveexec_b64 s[38:39], vcc
	s_cbranch_execz .LBB30_10
; %bb.8:
	s_mul_i32 s3, s2, s13
	s_mul_hi_u32 s4, s2, s12
	s_add_i32 s5, s4, s3
	s_mul_i32 s4, s2, s12
	s_ashr_i32 s27, s26, 31
	s_lshl_b64 s[4:5], s[4:5], 1
	s_add_u32 s12, s16, s4
	s_addc_u32 s13, s17, s5
	s_ashr_i32 s3, s20, 31
	s_mul_i32 s3, s10, s3
	s_add_i32 s3, s47, s3
	s_add_i32 s37, s3, s48
	s_ashr_i32 s3, s21, 31
	s_mul_i32 s3, s33, s3
	s_add_i32 s3, s46, s3
	s_add_i32 s35, s3, s11
	s_lshl_b64 s[6:7], s[36:37], 1
	s_lshl_b64 s[8:9], s[34:35], 1
	s_add_u32 s35, s6, s8
	s_addc_u32 s37, s7, s9
	s_load_dword s9, s[0:1], 0x8c
	s_add_u32 s3, s35, s24
	s_addc_u32 s8, s37, s25
	s_ashr_i32 s23, s22, 31
	s_lshl_b64 s[6:7], s[22:23], 1
	s_add_u32 s40, s3, s6
	s_addc_u32 s41, s8, s7
	s_waitcnt lgkmcnt(0)
	s_and_b32 s3, s9, 0xffff
	s_lshl_b64 s[8:9], s[30:31], 2
	s_add_u32 s8, s28, s8
	v_lshlrev_b32_e32 v2, 2, v0
	v_mov_b32_e32 v3, 0
	s_addc_u32 s9, s29, s9
	v_lshl_add_u64 v[4:5], s[8:9], 0, v[2:3]
	s_lshl_b32 s30, s3, 2
	s_lshl_b64 s[28:29], s[26:27], 2
	s_lshl_b64 s[8:9], s[26:27], 1
	s_add_u32 s4, s4, s8
	s_addc_u32 s5, s5, s9
	s_add_u32 s16, s16, s4
	s_addc_u32 s17, s17, s5
	s_lshl_b32 s23, s3, 1
	s_add_u32 s4, s35, s8
	s_addc_u32 s5, s37, s9
	s_add_u32 s4, s4, s6
	s_addc_u32 s5, s5, s7
	s_add_u32 s42, s24, s4
	s_mov_b32 s31, 0
	v_lshlrev_b32_e32 v2, 1, v0
	s_addc_u32 s43, s25, s5
	s_mov_b64 s[44:45], 0
	s_movk_i32 s27, 0x7fff
	v_mov_b32_e32 v1, 0x7fc00000
	v_mov_b32_e32 v10, 0x7fc0
	;; [unrolled: 1-line block ×3, first 2 shown]
.LBB30_9:                               ; =>This Inner Loop Header: Depth=1
	global_load_dword v20, v[4:5], off
	v_lshl_add_u64 v[12:13], v[4:5], 0, s[28:29]
	v_lshl_add_u64 v[6:7], s[12:13], 0, v[2:3]
	v_lshl_add_u64 v[8:9], s[16:17], 0, v[2:3]
	global_load_dword v21, v[12:13], off
	global_load_ushort v16, v[6:7], off
	global_load_ushort v18, v[8:9], off
	s_add_u32 s16, s16, s23
	s_addc_u32 s17, s17, 0
	s_add_u32 s12, s12, s23
	s_addc_u32 s13, s13, 0
	v_lshl_add_u64 v[14:15], s[42:43], 0, v[2:3]
	s_add_u32 s42, s42, s23
	s_addc_u32 s43, s43, 0
	v_lshl_add_u64 v[12:13], s[40:41], 0, v[2:3]
	v_add_u32_e32 v11, s3, v11
	s_add_u32 s40, s40, s23
	v_cmp_le_i32_e32 vcc, s26, v11
	s_addc_u32 s41, s41, 0
	s_or_b64 s[44:45], vcc, s[44:45]
	v_lshl_add_u64 v[4:5], v[4:5], 0, s[30:31]
	s_waitcnt vmcnt(3)
	v_bfe_u32 v17, v20, 16, 1
	v_add3_u32 v22, v20, v17, s27
	s_waitcnt vmcnt(2)
	v_bfe_u32 v19, v21, 16, 1
	v_add3_u32 v23, v21, v19, s27
	v_and_b32_e32 v22, 0xffff0000, v22
	v_cmp_o_f32_e32 vcc, v20, v20
	s_waitcnt vmcnt(1)
	v_lshlrev_b32_e32 v17, 16, v16
	s_waitcnt vmcnt(0)
	v_lshlrev_b32_e32 v16, 16, v18
	v_and_b32_e32 v23, 0xffff0000, v23
	v_cndmask_b32_e32 v20, v1, v22, vcc
	v_cmp_o_f32_e32 vcc, v21, v21
	v_mov_b32_e32 v18, v17
	v_mov_b32_e32 v19, v16
	v_cndmask_b32_e32 v21, v1, v23, vcc
	v_pk_mul_f32 v[18:19], v[20:21], v[18:19]
	v_pk_mul_f32 v[16:17], v[20:21], v[16:17]
	v_bfe_u32 v20, v18, 16, 1
	v_bfe_u32 v21, v19, 16, 1
	;; [unrolled: 1-line block ×4, first 2 shown]
	v_add3_u32 v21, v19, v21, s27
	v_add3_u32 v20, v18, v20, s27
	;; [unrolled: 1-line block ×4, first 2 shown]
	v_and_b32_e32 v20, 0xffff0000, v20
	v_and_b32_e32 v21, 0xffff0000, v21
	v_cmp_o_f32_e32 vcc, v18, v18
	v_cmp_o_f32_e64 s[8:9], v19, v19
	v_and_b32_e32 v18, 0xffff0000, v22
	v_and_b32_e32 v22, 0xffff0000, v23
	v_cmp_o_f32_e64 s[4:5], v17, v17
	v_cmp_o_f32_e64 s[6:7], v16, v16
	v_cndmask_b32_e64 v16, v1, v21, s[8:9]
	v_cndmask_b32_e32 v17, v1, v20, vcc
	v_cndmask_b32_e64 v19, v1, v22, s[4:5]
	v_cndmask_b32_e64 v18, v1, v18, s[6:7]
	v_sub_f32_e32 v16, v17, v16
	v_add_f32_e32 v17, v18, v19
	v_bfe_u32 v18, v16, 16, 1
	v_bfe_u32 v19, v17, 16, 1
	v_add3_u32 v18, v16, v18, s27
	v_add3_u32 v19, v17, v19, s27
	v_lshrrev_b32_e32 v18, 16, v18
	v_cmp_o_f32_e64 s[4:5], v16, v16
	v_lshrrev_b32_e32 v19, 16, v19
	v_cmp_o_f32_e32 vcc, v17, v17
	v_cndmask_b32_e64 v16, v10, v18, s[4:5]
	s_nop 0
	v_cndmask_b32_e32 v17, v10, v19, vcc
	global_store_short v[6:7], v16, off
	global_store_short v[8:9], v17, off
	;; [unrolled: 1-line block ×4, first 2 shown]
	s_andn2_b64 exec, exec, s[44:45]
	s_cbranch_execnz .LBB30_9
.LBB30_10:
	s_or_b64 exec, exec, s[38:39]
	v_cmp_gt_i32_e32 vcc, s22, v0
	s_and_saveexec_b64 s[4:5], vcc
	s_cbranch_execz .LBB30_13
; %bb.11:
	s_mul_i32 s3, s2, s15
	s_mul_hi_u32 s4, s2, s14
	s_add_i32 s3, s4, s3
	s_mul_i32 s2, s2, s14
	s_lshl_b64 s[2:3], s[2:3], 1
	s_add_u32 s2, s18, s2
	s_addc_u32 s3, s19, s3
	s_ashr_i32 s4, s20, 31
	s_mul_i32 s4, s10, s4
	s_add_i32 s4, s47, s4
	s_add_i32 s37, s4, s48
	s_lshl_b64 s[4:5], s[36:37], 1
	s_add_u32 s4, s24, s4
	s_addc_u32 s5, s25, s5
	s_ashr_i32 s6, s21, 31
	s_mul_i32 s33, s33, s6
	s_load_dword s7, s[0:1], 0x8c
	s_add_i32 s6, s46, s33
	s_add_i32 s35, s6, s11
	s_lshl_b64 s[0:1], s[34:35], 1
	s_add_u32 s0, s4, s0
	s_addc_u32 s1, s5, s1
	s_waitcnt lgkmcnt(0)
	s_and_b32 s6, s7, 0xffff
	s_mov_b64 s[4:5], 0
.LBB30_12:                              ; =>This Inner Loop Header: Depth=1
	v_ashrrev_i32_e32 v1, 31, v0
	v_lshlrev_b64 v[2:3], 1, v[0:1]
	v_lshl_add_u64 v[4:5], s[2:3], 0, v[2:3]
	global_load_ushort v1, v[4:5], off
	v_add_u32_e32 v0, s6, v0
	v_cmp_le_i32_e32 vcc, s22, v0
	v_lshl_add_u64 v[2:3], s[0:1], 0, v[2:3]
	s_or_b64 s[4:5], vcc, s[4:5]
	s_waitcnt vmcnt(0)
	global_store_short v[2:3], v1, off
	s_andn2_b64 exec, exec, s[4:5]
	s_cbranch_execnz .LBB30_12
.LBB30_13:
	s_endpgm
.LBB30_14:
                                        ; implicit-def: $sgpr10_sgpr11
	s_branch .LBB30_6
	.section	.rodata,"a",@progbits
	.p2align	6, 0x0
	.amdhsa_kernel _ZN4vllm38concat_and_cache_mla_rope_fused_kernelIN3c108BFloat16EfLb1EttLNS_18Fp8KVCacheDataTypeE0EEEvPKlPT_S7_PKS6_PKT0_illlliPT3_S5_iiiiPKf
		.amdhsa_group_segment_fixed_size 0
		.amdhsa_private_segment_fixed_size 0
		.amdhsa_kernarg_size 384
		.amdhsa_user_sgpr_count 2
		.amdhsa_user_sgpr_dispatch_ptr 0
		.amdhsa_user_sgpr_queue_ptr 0
		.amdhsa_user_sgpr_kernarg_segment_ptr 1
		.amdhsa_user_sgpr_dispatch_id 0
		.amdhsa_user_sgpr_kernarg_preload_length 0
		.amdhsa_user_sgpr_kernarg_preload_offset 0
		.amdhsa_user_sgpr_private_segment_size 0
		.amdhsa_uses_dynamic_stack 0
		.amdhsa_enable_private_segment 0
		.amdhsa_system_sgpr_workgroup_id_x 1
		.amdhsa_system_sgpr_workgroup_id_y 0
		.amdhsa_system_sgpr_workgroup_id_z 0
		.amdhsa_system_sgpr_workgroup_info 0
		.amdhsa_system_vgpr_workitem_id 0
		.amdhsa_next_free_vgpr 24
		.amdhsa_next_free_sgpr 49
		.amdhsa_accum_offset 24
		.amdhsa_reserve_vcc 1
		.amdhsa_float_round_mode_32 0
		.amdhsa_float_round_mode_16_64 0
		.amdhsa_float_denorm_mode_32 3
		.amdhsa_float_denorm_mode_16_64 3
		.amdhsa_dx10_clamp 1
		.amdhsa_ieee_mode 1
		.amdhsa_fp16_overflow 0
		.amdhsa_tg_split 0
		.amdhsa_exception_fp_ieee_invalid_op 0
		.amdhsa_exception_fp_denorm_src 0
		.amdhsa_exception_fp_ieee_div_zero 0
		.amdhsa_exception_fp_ieee_overflow 0
		.amdhsa_exception_fp_ieee_underflow 0
		.amdhsa_exception_fp_ieee_inexact 0
		.amdhsa_exception_int_div_zero 0
	.end_amdhsa_kernel
	.section	.text._ZN4vllm38concat_and_cache_mla_rope_fused_kernelIN3c108BFloat16EfLb1EttLNS_18Fp8KVCacheDataTypeE0EEEvPKlPT_S7_PKS6_PKT0_illlliPT3_S5_iiiiPKf,"axG",@progbits,_ZN4vllm38concat_and_cache_mla_rope_fused_kernelIN3c108BFloat16EfLb1EttLNS_18Fp8KVCacheDataTypeE0EEEvPKlPT_S7_PKS6_PKT0_illlliPT3_S5_iiiiPKf,comdat
.Lfunc_end30:
	.size	_ZN4vllm38concat_and_cache_mla_rope_fused_kernelIN3c108BFloat16EfLb1EttLNS_18Fp8KVCacheDataTypeE0EEEvPKlPT_S7_PKS6_PKT0_illlliPT3_S5_iiiiPKf, .Lfunc_end30-_ZN4vllm38concat_and_cache_mla_rope_fused_kernelIN3c108BFloat16EfLb1EttLNS_18Fp8KVCacheDataTypeE0EEEvPKlPT_S7_PKS6_PKT0_illlliPT3_S5_iiiiPKf
                                        ; -- End function
	.section	.AMDGPU.csdata,"",@progbits
; Kernel info:
; codeLenInByte = 2620
; NumSgprs: 55
; NumVgprs: 24
; NumAgprs: 0
; TotalNumVgprs: 24
; ScratchSize: 0
; MemoryBound: 0
; FloatMode: 240
; IeeeMode: 1
; LDSByteSize: 0 bytes/workgroup (compile time only)
; SGPRBlocks: 6
; VGPRBlocks: 2
; NumSGPRsForWavesPerEU: 55
; NumVGPRsForWavesPerEU: 24
; AccumOffset: 24
; Occupancy: 8
; WaveLimiterHint : 1
; COMPUTE_PGM_RSRC2:SCRATCH_EN: 0
; COMPUTE_PGM_RSRC2:USER_SGPR: 2
; COMPUTE_PGM_RSRC2:TRAP_HANDLER: 0
; COMPUTE_PGM_RSRC2:TGID_X_EN: 1
; COMPUTE_PGM_RSRC2:TGID_Y_EN: 0
; COMPUTE_PGM_RSRC2:TGID_Z_EN: 0
; COMPUTE_PGM_RSRC2:TIDIG_COMP_CNT: 0
; COMPUTE_PGM_RSRC3_GFX90A:ACCUM_OFFSET: 5
; COMPUTE_PGM_RSRC3_GFX90A:TG_SPLIT: 0
	.section	.text._ZN4vllm38concat_and_cache_mla_rope_fused_kernelIN3c108BFloat16EfLb0EttLNS_18Fp8KVCacheDataTypeE0EEEvPKlPT_S7_PKS6_PKT0_illlliPT3_S5_iiiiPKf,"axG",@progbits,_ZN4vllm38concat_and_cache_mla_rope_fused_kernelIN3c108BFloat16EfLb0EttLNS_18Fp8KVCacheDataTypeE0EEEvPKlPT_S7_PKS6_PKT0_illlliPT3_S5_iiiiPKf,comdat
	.protected	_ZN4vllm38concat_and_cache_mla_rope_fused_kernelIN3c108BFloat16EfLb0EttLNS_18Fp8KVCacheDataTypeE0EEEvPKlPT_S7_PKS6_PKT0_illlliPT3_S5_iiiiPKf ; -- Begin function _ZN4vllm38concat_and_cache_mla_rope_fused_kernelIN3c108BFloat16EfLb0EttLNS_18Fp8KVCacheDataTypeE0EEEvPKlPT_S7_PKS6_PKT0_illlliPT3_S5_iiiiPKf
	.globl	_ZN4vllm38concat_and_cache_mla_rope_fused_kernelIN3c108BFloat16EfLb0EttLNS_18Fp8KVCacheDataTypeE0EEEvPKlPT_S7_PKS6_PKT0_illlliPT3_S5_iiiiPKf
	.p2align	8
	.type	_ZN4vllm38concat_and_cache_mla_rope_fused_kernelIN3c108BFloat16EfLb0EttLNS_18Fp8KVCacheDataTypeE0EEEvPKlPT_S7_PKS6_PKT0_illlliPT3_S5_iiiiPKf,@function
_ZN4vllm38concat_and_cache_mla_rope_fused_kernelIN3c108BFloat16EfLb0EttLNS_18Fp8KVCacheDataTypeE0EEEvPKlPT_S7_PKS6_PKT0_illlliPT3_S5_iiiiPKf: ; @_ZN4vllm38concat_and_cache_mla_rope_fused_kernelIN3c108BFloat16EfLb0EttLNS_18Fp8KVCacheDataTypeE0EEEvPKlPT_S7_PKS6_PKT0_illlliPT3_S5_iiiiPKf
; %bb.0:
	s_load_dwordx2 s[6:7], s[0:1], 0x60
	s_mov_b32 s3, 0
	s_lshl_b64 s[4:5], s[2:3], 3
	s_waitcnt lgkmcnt(0)
	s_add_u32 s6, s6, s4
	s_addc_u32 s7, s7, s5
	s_load_dwordx2 s[26:27], s[6:7], 0x0
	s_waitcnt lgkmcnt(0)
	v_cmp_lt_i64_e64 s[6:7], s[26:27], 0
	s_and_b64 vcc, exec, s[6:7]
	s_cbranch_vccnz .LBB31_13
; %bb.1:
	s_load_dword s3, s[0:1], 0x28
	s_load_dwordx2 s[6:7], s[0:1], 0x0
	s_load_dwordx4 s[12:15], s[0:1], 0x10
	s_waitcnt lgkmcnt(0)
	s_ashr_i32 s22, s3, 31
	s_add_u32 s16, s6, s4
	s_addc_u32 s17, s7, s5
	s_load_dwordx2 s[18:19], s[16:17], 0x0
	s_load_dwordx2 s[24:25], s[0:1], 0x20
	s_load_dwordx8 s[4:11], s[0:1], 0x30
	s_load_dwordx2 s[20:21], s[0:1], 0x58
	s_load_dword s23, s[0:1], 0x50
	s_waitcnt lgkmcnt(0)
	s_mul_i32 s16, s18, s22
	s_mul_hi_u32 s17, s18, s3
	s_mul_i32 s19, s19, s3
	s_add_i32 s16, s17, s16
	s_add_i32 s29, s16, s19
	s_lshr_b32 s16, s3, 31
	s_mul_i32 s28, s18, s3
	s_add_i32 s3, s3, s16
	s_ashr_i32 s22, s3, 1
	s_mul_i32 s3, s22, s23
	v_cmp_gt_i32_e32 vcc, s3, v0
	s_and_saveexec_b64 s[16:17], vcc
	s_cbranch_execz .LBB31_4
; %bb.2:
	s_load_dwordx2 s[30:31], s[0:1], 0x8
	s_load_dword s34, s[0:1], 0x8c
	s_lshl_b64 s[18:19], s[28:29], 2
	s_add_u32 s18, s24, s18
	s_mul_i32 s5, s2, s5
	s_mul_hi_u32 s33, s2, s4
	s_addc_u32 s19, s25, s19
	s_add_i32 s5, s33, s5
	s_mul_i32 s4, s2, s4
	s_ashr_i32 s23, s22, 31
	s_lshl_b64 s[4:5], s[4:5], 1
	s_waitcnt lgkmcnt(0)
	s_add_u32 s30, s30, s4
	s_addc_u32 s31, s31, s5
	s_abs_i32 s33, s22
	v_cvt_f32_u32_e32 v1, s33
	s_sub_i32 s4, 0, s33
	s_and_b32 s36, s34, 0xffff
	s_sub_i32 s37, 0, s22
	v_rcp_iflag_f32_e32 v1, v1
	s_lshl_b32 s39, s36, 1
	s_mov_b64 s[34:35], 0
	s_movk_i32 s40, 0x7fff
	v_mul_f32_e32 v1, 0x4f7ffffe, v1
	v_cvt_u32_f32_e32 v1, v1
	v_mov_b32_e32 v3, 0x7fc00000
	v_mov_b32_e32 v5, 0x7fc0
	s_mov_b32 s41, 0x5040100
	v_mul_lo_u32 v2, s4, v1
	v_mul_hi_u32 v2, v1, v2
	s_lshl_b32 s4, s22, 1
	v_add_u32_e32 v1, v1, v2
	s_sub_i32 s38, 0, s4
	v_lshlrev_b32_e32 v2, 1, v0
	v_mov_b32_e32 v4, v0
.LBB31_3:                               ; =>This Inner Loop Header: Depth=1
	v_sub_u32_e32 v7, 0, v4
	v_max_i32_e32 v7, v4, v7
	v_mul_hi_u32 v8, v7, v1
	v_mul_lo_u32 v9, v8, s33
	v_sub_u32_e32 v7, v7, v9
	v_add_u32_e32 v10, 1, v8
	v_cmp_le_u32_e32 vcc, s33, v7
	v_subrev_u32_e32 v9, s33, v7
	v_ashrrev_i32_e32 v6, 31, v4
	v_cndmask_b32_e32 v8, v8, v10, vcc
	v_cndmask_b32_e32 v7, v7, v9, vcc
	v_add_u32_e32 v9, 1, v8
	v_cmp_le_u32_e32 vcc, s33, v7
	v_xor_b32_e32 v6, s23, v6
	s_nop 0
	v_cndmask_b32_e32 v7, v8, v9, vcc
	v_xor_b32_e32 v7, v7, v6
	v_sub_u32_e32 v10, v7, v6
	v_mad_u64_u32 v[6:7], s[4:5], s37, v10, v[4:5]
	v_ashrrev_i32_e32 v12, 31, v10
	v_ashrrev_i32_e32 v7, 31, v6
	v_mul_lo_u32 v13, v10, s7
	v_mad_u64_u32 v[8:9], s[4:5], v10, s6, 0
	v_mul_lo_u32 v12, v12, s6
	v_lshl_add_u64 v[6:7], v[6:7], 2, s[18:19]
	v_mad_u64_u32 v[10:11], s[4:5], s38, v10, v[2:3]
	v_add3_u32 v9, v9, v13, v12
	v_lshl_add_u64 v[12:13], s[22:23], 2, v[6:7]
	global_load_dword v14, v[6:7], off
	v_ashrrev_i32_e32 v11, 31, v10
	global_load_dword v12, v[12:13], off
	v_lshl_add_u64 v[6:7], v[8:9], 1, s[30:31]
	v_lshl_add_u64 v[6:7], v[10:11], 1, v[6:7]
	global_load_dword v8, v[6:7], off
	v_add_u32_e32 v4, s36, v4
	v_cmp_le_i32_e32 vcc, s3, v4
	s_or_b64 s[34:35], vcc, s[34:35]
	v_add_u32_e32 v2, s39, v2
	s_waitcnt vmcnt(2)
	v_bfe_u32 v9, v14, 16, 1
	v_add3_u32 v9, v14, v9, s40
	s_waitcnt vmcnt(1)
	v_bfe_u32 v10, v12, 16, 1
	v_and_b32_e32 v11, 0xffff0000, v9
	v_add3_u32 v10, v12, v10, s40
	v_cmp_o_f32_e32 vcc, v14, v14
	s_waitcnt vmcnt(0)
	v_and_b32_e32 v9, 0xffff0000, v8
	v_lshlrev_b32_e32 v8, 16, v8
	v_and_b32_e32 v13, 0xffff0000, v10
	v_cndmask_b32_e32 v10, v3, v11, vcc
	v_cmp_o_f32_e32 vcc, v12, v12
	v_pk_mul_f32 v[10:11], v[10:11], v[8:9] op_sel_hi:[0,1]
	v_bfe_u32 v14, v11, 16, 1
	v_cndmask_b32_e32 v12, v3, v13, vcc
	v_bfe_u32 v13, v10, 16, 1
	v_pk_mul_f32 v[8:9], v[12:13], v[8:9] op_sel_hi:[0,1]
	v_add3_u32 v12, v11, v14, s40
	v_add3_u32 v13, v10, v13, s40
	v_bfe_u32 v14, v9, 16, 1
	v_bfe_u32 v15, v8, 16, 1
	v_and_b32_e32 v13, 0xffff0000, v13
	v_and_b32_e32 v12, 0xffff0000, v12
	v_add3_u32 v15, v8, v15, s40
	v_add3_u32 v14, v9, v14, s40
	v_cmp_o_f32_e32 vcc, v10, v10
	v_cmp_o_f32_e64 s[4:5], v11, v11
	v_and_b32_e32 v14, 0xffff0000, v14
	v_and_b32_e32 v15, 0xffff0000, v15
	v_cndmask_b32_e64 v11, v3, v12, s[4:5]
	v_cndmask_b32_e32 v10, v3, v13, vcc
	v_cmp_o_f32_e32 vcc, v9, v9
	v_cmp_o_f32_e64 s[4:5], v8, v8
	s_nop 0
	v_cndmask_b32_e32 v8, v3, v14, vcc
	v_cndmask_b32_e64 v9, v3, v15, s[4:5]
	v_pk_add_f32 v[12:13], v[10:11], v[8:9] neg_lo:[0,1] neg_hi:[0,1]
	v_pk_add_f32 v[8:9], v[10:11], v[8:9]
	v_cmp_o_f32_e64 s[4:5], v12, v12
	v_bfe_u32 v8, v12, 16, 1
	v_bfe_u32 v10, v9, 16, 1
	v_add3_u32 v10, v9, v10, s40
	v_add3_u32 v8, v12, v8, s40
	v_lshrrev_b32_e32 v8, 16, v8
	v_lshrrev_b32_e32 v10, 16, v10
	v_cmp_o_f32_e32 vcc, v9, v9
	v_cndmask_b32_e64 v8, v5, v8, s[4:5]
	s_nop 0
	v_cndmask_b32_e32 v9, v5, v10, vcc
	v_perm_b32 v8, v9, v8, s41
	global_store_dword v[6:7], v8, off
	s_andn2_b64 exec, exec, s[34:35]
	s_cbranch_execnz .LBB31_3
.LBB31_4:
	s_or_b64 exec, exec, s[16:17]
	s_load_dwordx4 s[16:19], s[0:1], 0x68
	s_waitcnt lgkmcnt(0)
	s_ashr_i32 s7, s19, 31
	s_mov_b32 s6, s19
	s_or_b64 s[4:5], s[26:27], s[6:7]
	s_mov_b32 s4, 0
	s_cmp_lg_u64 s[4:5], 0
	s_cbranch_scc0 .LBB31_14
; %bb.5:
	s_add_u32 s4, s6, s7
	s_mov_b32 s30, s7
	s_mov_b32 s31, s7
	s_addc_u32 s5, s7, s7
	s_xor_b64 s[36:37], s[4:5], s[30:31]
	v_cvt_f32_u32_e32 v1, s36
	v_cvt_f32_u32_e32 v2, s37
	s_sub_u32 s3, 0, s36
	s_subb_u32 s4, 0, s37
	v_fmamk_f32 v1, v2, 0x4f800000, v1
	v_rcp_f32_e32 v1, v1
	s_nop 0
	v_mul_f32_e32 v1, 0x5f7ffffc, v1
	v_mul_f32_e32 v2, 0x2f800000, v1
	v_trunc_f32_e32 v2, v2
	v_fmamk_f32 v1, v2, 0xcf800000, v1
	v_cvt_u32_f32_e32 v2, v2
	v_cvt_u32_f32_e32 v1, v1
	v_readfirstlane_b32 s5, v2
	v_readfirstlane_b32 s19, v1
	s_mul_i32 s23, s3, s5
	s_mul_hi_u32 s38, s3, s19
	s_mul_i32 s33, s4, s19
	s_add_i32 s23, s38, s23
	s_add_i32 s23, s23, s33
	s_mul_i32 s39, s3, s19
	s_mul_hi_u32 s33, s19, s23
	s_mul_i32 s38, s19, s23
	s_mul_hi_u32 s19, s19, s39
	s_add_u32 s19, s19, s38
	s_addc_u32 s33, 0, s33
	s_mul_hi_u32 s40, s5, s39
	s_mul_i32 s39, s5, s39
	s_add_u32 s19, s19, s39
	s_mul_hi_u32 s38, s5, s23
	s_addc_u32 s19, s33, s40
	s_addc_u32 s33, s38, 0
	s_mul_i32 s23, s5, s23
	s_add_u32 s19, s19, s23
	s_addc_u32 s23, 0, s33
	v_add_co_u32_e32 v1, vcc, s19, v1
	s_cmp_lg_u64 vcc, 0
	s_addc_u32 s5, s5, s23
	v_readfirstlane_b32 s23, v1
	s_mul_i32 s19, s3, s5
	s_mul_hi_u32 s33, s3, s23
	s_add_i32 s19, s33, s19
	s_mul_i32 s4, s4, s23
	s_add_i32 s19, s19, s4
	s_mul_i32 s3, s3, s23
	s_mul_hi_u32 s33, s5, s3
	s_mul_i32 s38, s5, s3
	s_mul_i32 s40, s23, s19
	s_mul_hi_u32 s3, s23, s3
	s_mul_hi_u32 s39, s23, s19
	s_add_u32 s3, s3, s40
	s_addc_u32 s23, 0, s39
	s_add_u32 s3, s3, s38
	s_mul_hi_u32 s4, s5, s19
	s_addc_u32 s3, s23, s33
	s_addc_u32 s4, s4, 0
	s_mul_i32 s19, s5, s19
	s_add_u32 s3, s3, s19
	s_addc_u32 s4, 0, s4
	v_add_co_u32_e32 v1, vcc, s3, v1
	s_cmp_lg_u64 vcc, 0
	s_addc_u32 s3, s5, s4
	s_ashr_i32 s38, s27, 31
	s_add_u32 s4, s26, s38
	s_mov_b32 s39, s38
	s_addc_u32 s5, s27, s38
	s_xor_b64 s[40:41], s[4:5], s[38:39]
	v_readfirstlane_b32 s19, v1
	s_mul_i32 s5, s40, s3
	s_mul_hi_u32 s23, s40, s19
	s_mul_hi_u32 s4, s40, s3
	s_add_u32 s5, s23, s5
	s_addc_u32 s4, 0, s4
	s_mul_hi_u32 s33, s41, s19
	s_mul_i32 s19, s41, s19
	s_add_u32 s5, s5, s19
	s_mul_hi_u32 s23, s41, s3
	s_addc_u32 s4, s4, s33
	s_addc_u32 s5, s23, 0
	s_mul_i32 s3, s41, s3
	s_add_u32 s3, s4, s3
	s_addc_u32 s19, 0, s5
	s_mul_i32 s4, s36, s19
	s_mul_hi_u32 s5, s36, s3
	s_add_i32 s4, s5, s4
	s_mul_i32 s5, s37, s3
	s_add_i32 s23, s4, s5
	s_mul_i32 s5, s36, s3
	v_mov_b32_e32 v1, s5
	s_sub_i32 s4, s41, s23
	v_sub_co_u32_e32 v1, vcc, s40, v1
	s_cmp_lg_u64 vcc, 0
	s_subb_u32 s33, s4, s37
	v_subrev_co_u32_e64 v2, s[4:5], s36, v1
	s_cmp_lg_u64 s[4:5], 0
	s_subb_u32 s4, s33, 0
	s_cmp_ge_u32 s4, s37
	v_readfirstlane_b32 s33, v2
	s_cselect_b32 s5, -1, 0
	s_cmp_ge_u32 s33, s36
	s_cselect_b32 s33, -1, 0
	s_cmp_eq_u32 s4, s37
	s_cselect_b32 s4, s33, s5
	s_add_u32 s5, s3, 1
	s_addc_u32 s33, s19, 0
	s_add_u32 s40, s3, 2
	s_addc_u32 s42, s19, 0
	s_cmp_lg_u32 s4, 0
	s_cselect_b32 s4, s40, s5
	s_cselect_b32 s5, s42, s33
	s_cmp_lg_u64 vcc, 0
	s_subb_u32 s23, s41, s23
	s_cmp_ge_u32 s23, s37
	v_readfirstlane_b32 s40, v1
	s_cselect_b32 s33, -1, 0
	s_cmp_ge_u32 s40, s36
	s_cselect_b32 s36, -1, 0
	s_cmp_eq_u32 s23, s37
	s_cselect_b32 s23, s36, s33
	s_cmp_lg_u32 s23, 0
	s_cselect_b32 s5, s5, s19
	s_cselect_b32 s4, s4, s3
	s_xor_b64 s[30:31], s[38:39], s[30:31]
	s_xor_b64 s[4:5], s[4:5], s[30:31]
	s_sub_u32 s30, s4, s30
	s_subb_u32 s31, s5, s31
	s_cbranch_execnz .LBB31_7
.LBB31_6:
	v_cvt_f32_u32_e32 v1, s6
	s_sub_i32 s3, 0, s6
	s_mov_b32 s31, 0
	v_rcp_iflag_f32_e32 v1, v1
	s_nop 0
	v_mul_f32_e32 v1, 0x4f7ffffe, v1
	v_cvt_u32_f32_e32 v1, v1
	s_nop 0
	v_readfirstlane_b32 s4, v1
	s_mul_i32 s3, s3, s4
	s_mul_hi_u32 s3, s4, s3
	s_add_i32 s4, s4, s3
	s_mul_hi_u32 s3, s26, s4
	s_mul_i32 s5, s3, s6
	s_sub_i32 s5, s26, s5
	s_add_i32 s4, s3, 1
	s_sub_i32 s19, s5, s6
	s_cmp_ge_u32 s5, s6
	s_cselect_b32 s3, s4, s3
	s_cselect_b32 s5, s19, s5
	s_add_i32 s4, s3, 1
	s_cmp_ge_u32 s5, s6
	s_cselect_b32 s30, s4, s3
.LBB31_7:
	s_mul_i32 s3, s30, s7
	s_mul_hi_u32 s4, s30, s6
	s_add_i32 s3, s4, s3
	s_mul_i32 s4, s31, s6
	s_add_i32 s3, s3, s4
	s_mul_i32 s4, s30, s6
	s_sub_u32 s33, s26, s4
	s_subb_u32 s3, s27, s3
	v_cmp_gt_i32_e32 vcc, s22, v0
	s_mul_hi_u32 s39, s30, s16
	s_mul_i32 s40, s31, s16
	s_mul_i32 s34, s30, s16
	s_mul_hi_u32 s38, s33, s17
	s_mul_i32 s31, s3, s17
	s_mul_i32 s26, s33, s17
	s_and_saveexec_b64 s[36:37], vcc
	s_cbranch_execz .LBB31_10
; %bb.8:
	s_load_dword s3, s[0:1], 0x8c
	s_ashr_i32 s23, s22, 31
	s_ashr_i32 s6, s16, 31
	;; [unrolled: 1-line block ×4, first 2 shown]
	s_waitcnt lgkmcnt(0)
	s_and_b32 s3, s3, 0xffff
	s_lshl_b64 s[4:5], s[28:29], 2
	s_add_u32 s4, s24, s4
	v_lshlrev_b32_e32 v8, 2, v0
	v_mov_b32_e32 v9, 0
	s_addc_u32 s5, s25, s5
	v_lshl_add_u64 v[2:3], s[4:5], 0, v[8:9]
	s_mul_i32 s4, s9, s2
	s_mul_hi_u32 s5, s8, s2
	s_add_i32 s5, s5, s4
	s_mul_i32 s4, s8, s2
	s_lshl_b32 s28, s3, 2
	s_lshl_b64 s[4:5], s[4:5], 1
	s_add_u32 s4, s12, s4
	s_addc_u32 s5, s13, s5
	v_lshl_add_u64 v[6:7], s[4:5], 0, v[8:9]
	s_mul_i32 s4, s30, s6
	s_mul_i32 s6, s33, s7
	s_add_i32 s4, s39, s4
	s_add_i32 s6, s38, s6
	;; [unrolled: 1-line block ×4, first 2 shown]
	s_lshl_b64 s[4:5], s[34:35], 1
	s_lshl_b64 s[6:7], s[26:27], 1
	s_add_u32 s6, s4, s6
	s_addc_u32 s7, s5, s7
	s_lshl_b64 s[4:5], s[18:19], 1
	s_add_u32 s4, s20, s4
	s_addc_u32 s5, s21, s5
	s_add_u32 s4, s4, s6
	s_addc_u32 s5, s5, s7
	v_lshl_add_u64 v[4:5], s[22:23], 2, v[2:3]
	v_lshl_add_u64 v[8:9], s[4:5], 0, v[8:9]
	s_mov_b64 s[12:13], 0
	s_movk_i32 s19, 0x7fff
	v_mov_b32_e32 v1, 0x7fc00000
	v_mov_b32_e32 v10, 0x7fc0
	s_mov_b32 s23, 0x5040100
	s_mov_b64 s[24:25], 0
	v_mov_b32_e32 v11, v0
.LBB31_9:                               ; =>This Inner Loop Header: Depth=1
	v_lshl_add_u64 v[12:13], v[2:3], 0, s[24:25]
	v_lshl_add_u64 v[14:15], v[4:5], 0, s[24:25]
	;; [unrolled: 1-line block ×3, first 2 shown]
	global_load_dword v18, v[12:13], off
	global_load_dword v19, v[14:15], off
	;; [unrolled: 1-line block ×3, first 2 shown]
	v_lshl_add_u64 v[12:13], v[8:9], 0, s[24:25]
	v_add_u32_e32 v11, s3, v11
	s_add_u32 s24, s24, s28
	s_addc_u32 s25, s25, 0
	v_cmp_le_i32_e32 vcc, s22, v11
	s_or_b64 s[12:13], vcc, s[12:13]
	s_waitcnt vmcnt(2)
	v_bfe_u32 v21, v18, 16, 1
	s_waitcnt vmcnt(1)
	v_bfe_u32 v22, v19, 16, 1
	s_waitcnt vmcnt(0)
	v_and_b32_e32 v15, 0xffff0000, v20
	v_lshlrev_b32_e32 v14, 16, v20
	v_add3_u32 v20, v18, v21, s19
	v_add3_u32 v21, v19, v22, s19
	v_and_b32_e32 v20, 0xffff0000, v20
	v_and_b32_e32 v21, 0xffff0000, v21
	v_cmp_o_f32_e32 vcc, v19, v19
	v_cmp_o_f32_e64 s[4:5], v18, v18
	s_nop 1
	v_cndmask_b32_e64 v18, v1, v20, s[4:5]
	v_cndmask_b32_e32 v20, v1, v21, vcc
	v_pk_mul_f32 v[18:19], v[18:19], v[14:15] op_sel_hi:[0,1]
	v_pk_mul_f32 v[14:15], v[20:21], v[14:15] op_sel_hi:[0,1]
	v_bfe_u32 v20, v18, 16, 1
	v_bfe_u32 v21, v19, 16, 1
	;; [unrolled: 1-line block ×4, first 2 shown]
	v_add3_u32 v21, v19, v21, s19
	v_add3_u32 v20, v18, v20, s19
	;; [unrolled: 1-line block ×4, first 2 shown]
	v_and_b32_e32 v20, 0xffff0000, v20
	v_and_b32_e32 v21, 0xffff0000, v21
	v_and_b32_e32 v22, 0xffff0000, v22
	v_and_b32_e32 v23, 0xffff0000, v23
	v_cmp_o_f32_e32 vcc, v18, v18
	v_cmp_o_f32_e64 s[4:5], v14, v14
	v_cmp_o_f32_e64 s[6:7], v15, v15
	;; [unrolled: 1-line block ×3, first 2 shown]
	v_cndmask_b32_e32 v14, v1, v20, vcc
	v_cndmask_b32_e64 v19, v1, v23, s[4:5]
	v_cndmask_b32_e64 v15, v1, v21, s[8:9]
	;; [unrolled: 1-line block ×3, first 2 shown]
	v_pk_add_f32 v[20:21], v[14:15], v[18:19] neg_lo:[0,1] neg_hi:[0,1]
	v_pk_add_f32 v[14:15], v[14:15], v[18:19]
	v_cmp_o_f32_e64 s[4:5], v20, v20
	v_bfe_u32 v14, v20, 16, 1
	v_bfe_u32 v18, v15, 16, 1
	v_add3_u32 v18, v15, v18, s19
	v_add3_u32 v14, v20, v14, s19
	v_lshrrev_b32_e32 v14, 16, v14
	v_lshrrev_b32_e32 v18, 16, v18
	v_cmp_o_f32_e32 vcc, v15, v15
	v_cndmask_b32_e64 v14, v10, v14, s[4:5]
	s_nop 0
	v_cndmask_b32_e32 v15, v10, v18, vcc
	v_perm_b32 v14, v15, v14, s23
	global_store_dword v[16:17], v14, off
	global_store_dword v[12:13], v14, off
	s_andn2_b64 exec, exec, s[12:13]
	s_cbranch_execnz .LBB31_9
.LBB31_10:
	s_or_b64 exec, exec, s[36:37]
	v_cmp_gt_i32_e32 vcc, s18, v0
	s_and_saveexec_b64 s[4:5], vcc
	s_cbranch_execz .LBB31_13
; %bb.11:
	s_mul_i32 s3, s2, s11
	s_mul_hi_u32 s4, s2, s10
	s_add_i32 s3, s4, s3
	s_mul_i32 s2, s2, s10
	s_lshl_b64 s[2:3], s[2:3], 1
	s_add_u32 s2, s14, s2
	s_addc_u32 s3, s15, s3
	s_ashr_i32 s4, s16, 31
	s_mul_i32 s4, s30, s4
	s_add_i32 s4, s39, s4
	s_add_i32 s35, s4, s40
	s_lshl_b64 s[4:5], s[34:35], 1
	s_add_u32 s4, s20, s4
	s_addc_u32 s5, s21, s5
	s_ashr_i32 s6, s17, 31
	s_mul_i32 s33, s33, s6
	s_load_dword s7, s[0:1], 0x8c
	s_add_i32 s6, s38, s33
	s_add_i32 s27, s6, s31
	s_lshl_b64 s[0:1], s[26:27], 1
	s_add_u32 s0, s4, s0
	s_addc_u32 s1, s5, s1
	s_waitcnt lgkmcnt(0)
	s_and_b32 s6, s7, 0xffff
	s_mov_b64 s[4:5], 0
.LBB31_12:                              ; =>This Inner Loop Header: Depth=1
	v_ashrrev_i32_e32 v1, 31, v0
	v_lshlrev_b64 v[2:3], 1, v[0:1]
	v_lshl_add_u64 v[4:5], s[2:3], 0, v[2:3]
	global_load_ushort v1, v[4:5], off
	v_add_u32_e32 v0, s6, v0
	v_cmp_le_i32_e32 vcc, s18, v0
	v_lshl_add_u64 v[2:3], s[0:1], 0, v[2:3]
	s_or_b64 s[4:5], vcc, s[4:5]
	s_waitcnt vmcnt(0)
	global_store_short v[2:3], v1, off
	s_andn2_b64 exec, exec, s[4:5]
	s_cbranch_execnz .LBB31_12
.LBB31_13:
	s_endpgm
.LBB31_14:
                                        ; implicit-def: $sgpr30_sgpr31
	s_branch .LBB31_6
	.section	.rodata,"a",@progbits
	.p2align	6, 0x0
	.amdhsa_kernel _ZN4vllm38concat_and_cache_mla_rope_fused_kernelIN3c108BFloat16EfLb0EttLNS_18Fp8KVCacheDataTypeE0EEEvPKlPT_S7_PKS6_PKT0_illlliPT3_S5_iiiiPKf
		.amdhsa_group_segment_fixed_size 0
		.amdhsa_private_segment_fixed_size 0
		.amdhsa_kernarg_size 384
		.amdhsa_user_sgpr_count 2
		.amdhsa_user_sgpr_dispatch_ptr 0
		.amdhsa_user_sgpr_queue_ptr 0
		.amdhsa_user_sgpr_kernarg_segment_ptr 1
		.amdhsa_user_sgpr_dispatch_id 0
		.amdhsa_user_sgpr_kernarg_preload_length 0
		.amdhsa_user_sgpr_kernarg_preload_offset 0
		.amdhsa_user_sgpr_private_segment_size 0
		.amdhsa_uses_dynamic_stack 0
		.amdhsa_enable_private_segment 0
		.amdhsa_system_sgpr_workgroup_id_x 1
		.amdhsa_system_sgpr_workgroup_id_y 0
		.amdhsa_system_sgpr_workgroup_id_z 0
		.amdhsa_system_sgpr_workgroup_info 0
		.amdhsa_system_vgpr_workitem_id 0
		.amdhsa_next_free_vgpr 24
		.amdhsa_next_free_sgpr 43
		.amdhsa_accum_offset 24
		.amdhsa_reserve_vcc 1
		.amdhsa_float_round_mode_32 0
		.amdhsa_float_round_mode_16_64 0
		.amdhsa_float_denorm_mode_32 3
		.amdhsa_float_denorm_mode_16_64 3
		.amdhsa_dx10_clamp 1
		.amdhsa_ieee_mode 1
		.amdhsa_fp16_overflow 0
		.amdhsa_tg_split 0
		.amdhsa_exception_fp_ieee_invalid_op 0
		.amdhsa_exception_fp_denorm_src 0
		.amdhsa_exception_fp_ieee_div_zero 0
		.amdhsa_exception_fp_ieee_overflow 0
		.amdhsa_exception_fp_ieee_underflow 0
		.amdhsa_exception_fp_ieee_inexact 0
		.amdhsa_exception_int_div_zero 0
	.end_amdhsa_kernel
	.section	.text._ZN4vllm38concat_and_cache_mla_rope_fused_kernelIN3c108BFloat16EfLb0EttLNS_18Fp8KVCacheDataTypeE0EEEvPKlPT_S7_PKS6_PKT0_illlliPT3_S5_iiiiPKf,"axG",@progbits,_ZN4vllm38concat_and_cache_mla_rope_fused_kernelIN3c108BFloat16EfLb0EttLNS_18Fp8KVCacheDataTypeE0EEEvPKlPT_S7_PKS6_PKT0_illlliPT3_S5_iiiiPKf,comdat
.Lfunc_end31:
	.size	_ZN4vllm38concat_and_cache_mla_rope_fused_kernelIN3c108BFloat16EfLb0EttLNS_18Fp8KVCacheDataTypeE0EEEvPKlPT_S7_PKS6_PKT0_illlliPT3_S5_iiiiPKf, .Lfunc_end31-_ZN4vllm38concat_and_cache_mla_rope_fused_kernelIN3c108BFloat16EfLb0EttLNS_18Fp8KVCacheDataTypeE0EEEvPKlPT_S7_PKS6_PKT0_illlliPT3_S5_iiiiPKf
                                        ; -- End function
	.section	.AMDGPU.csdata,"",@progbits
; Kernel info:
; codeLenInByte = 2572
; NumSgprs: 49
; NumVgprs: 24
; NumAgprs: 0
; TotalNumVgprs: 24
; ScratchSize: 0
; MemoryBound: 0
; FloatMode: 240
; IeeeMode: 1
; LDSByteSize: 0 bytes/workgroup (compile time only)
; SGPRBlocks: 6
; VGPRBlocks: 2
; NumSGPRsForWavesPerEU: 49
; NumVGPRsForWavesPerEU: 24
; AccumOffset: 24
; Occupancy: 8
; WaveLimiterHint : 1
; COMPUTE_PGM_RSRC2:SCRATCH_EN: 0
; COMPUTE_PGM_RSRC2:USER_SGPR: 2
; COMPUTE_PGM_RSRC2:TRAP_HANDLER: 0
; COMPUTE_PGM_RSRC2:TGID_X_EN: 1
; COMPUTE_PGM_RSRC2:TGID_Y_EN: 0
; COMPUTE_PGM_RSRC2:TGID_Z_EN: 0
; COMPUTE_PGM_RSRC2:TIDIG_COMP_CNT: 0
; COMPUTE_PGM_RSRC3_GFX90A:ACCUM_OFFSET: 5
; COMPUTE_PGM_RSRC3_GFX90A:TG_SPLIT: 0
	.section	.text._ZN4vllm38concat_and_cache_mla_rope_fused_kernelIN3c108BFloat16ENS1_4HalfELb1EttLNS_18Fp8KVCacheDataTypeE0EEEvPKlPT_S8_PKS7_PKT0_illlliPT3_S6_iiiiPKf,"axG",@progbits,_ZN4vllm38concat_and_cache_mla_rope_fused_kernelIN3c108BFloat16ENS1_4HalfELb1EttLNS_18Fp8KVCacheDataTypeE0EEEvPKlPT_S8_PKS7_PKT0_illlliPT3_S6_iiiiPKf,comdat
	.protected	_ZN4vllm38concat_and_cache_mla_rope_fused_kernelIN3c108BFloat16ENS1_4HalfELb1EttLNS_18Fp8KVCacheDataTypeE0EEEvPKlPT_S8_PKS7_PKT0_illlliPT3_S6_iiiiPKf ; -- Begin function _ZN4vllm38concat_and_cache_mla_rope_fused_kernelIN3c108BFloat16ENS1_4HalfELb1EttLNS_18Fp8KVCacheDataTypeE0EEEvPKlPT_S8_PKS7_PKT0_illlliPT3_S6_iiiiPKf
	.globl	_ZN4vllm38concat_and_cache_mla_rope_fused_kernelIN3c108BFloat16ENS1_4HalfELb1EttLNS_18Fp8KVCacheDataTypeE0EEEvPKlPT_S8_PKS7_PKT0_illlliPT3_S6_iiiiPKf
	.p2align	8
	.type	_ZN4vllm38concat_and_cache_mla_rope_fused_kernelIN3c108BFloat16ENS1_4HalfELb1EttLNS_18Fp8KVCacheDataTypeE0EEEvPKlPT_S8_PKS7_PKT0_illlliPT3_S6_iiiiPKf,@function
_ZN4vllm38concat_and_cache_mla_rope_fused_kernelIN3c108BFloat16ENS1_4HalfELb1EttLNS_18Fp8KVCacheDataTypeE0EEEvPKlPT_S8_PKS7_PKT0_illlliPT3_S6_iiiiPKf: ; @_ZN4vllm38concat_and_cache_mla_rope_fused_kernelIN3c108BFloat16ENS1_4HalfELb1EttLNS_18Fp8KVCacheDataTypeE0EEEvPKlPT_S8_PKS7_PKT0_illlliPT3_S6_iiiiPKf
; %bb.0:
	s_load_dwordx2 s[6:7], s[0:1], 0x60
	s_mov_b32 s3, 0
	s_lshl_b64 s[4:5], s[2:3], 3
	s_waitcnt lgkmcnt(0)
	s_add_u32 s6, s6, s4
	s_addc_u32 s7, s7, s5
	s_load_dwordx2 s[36:37], s[6:7], 0x0
	s_waitcnt lgkmcnt(0)
	v_cmp_lt_i64_e64 s[6:7], s[36:37], 0
	s_and_b64 vcc, exec, s[6:7]
	s_cbranch_vccnz .LBB32_13
; %bb.1:
	s_load_dword s3, s[0:1], 0x28
	s_load_dwordx2 s[6:7], s[0:1], 0x0
	s_load_dwordx4 s[16:19], s[0:1], 0x10
	s_waitcnt lgkmcnt(0)
	s_ashr_i32 s20, s3, 31
	s_add_u32 s4, s6, s4
	s_addc_u32 s5, s7, s5
	s_load_dwordx2 s[6:7], s[4:5], 0x0
	s_load_dwordx2 s[30:31], s[0:1], 0x20
	s_load_dwordx8 s[8:15], s[0:1], 0x30
	s_load_dwordx2 s[24:25], s[0:1], 0x58
	s_load_dword s21, s[0:1], 0x50
	s_waitcnt lgkmcnt(0)
	s_mul_i32 s4, s6, s20
	s_mul_hi_u32 s5, s6, s3
	s_mul_i32 s7, s7, s3
	s_add_i32 s4, s5, s4
	s_add_i32 s5, s4, s7
	s_mul_i32 s4, s6, s3
	s_lshl_b64 s[34:35], s[4:5], 1
	s_add_u32 s26, s30, s34
	s_addc_u32 s27, s31, s35
	s_lshr_b32 s4, s3, 31
	s_add_i32 s3, s3, s4
	s_ashr_i32 s28, s3, 1
	s_mul_i32 s3, s28, s21
	v_cmp_gt_i32_e32 vcc, s3, v0
	s_and_saveexec_b64 s[20:21], vcc
	s_cbranch_execz .LBB32_4
; %bb.2:
	s_load_dwordx2 s[4:5], s[0:1], 0x8
	s_mul_i32 s6, s2, s9
	s_mul_hi_u32 s7, s2, s8
	s_add_i32 s7, s7, s6
	s_mul_i32 s6, s2, s8
	s_load_dword s8, s[0:1], 0x8c
	s_ashr_i32 s29, s28, 31
	s_lshl_b64 s[6:7], s[6:7], 1
	s_waitcnt lgkmcnt(0)
	s_add_u32 s22, s4, s6
	s_addc_u32 s23, s5, s7
	s_abs_i32 s33, s28
	v_cvt_f32_u32_e32 v1, s33
	s_sub_i32 s4, 0, s33
	s_mov_b64 s[38:39], 0
	s_and_b32 s42, s8, 0xffff
	v_rcp_iflag_f32_e32 v1, v1
	s_sub_i32 s43, 0, s28
	s_lshl_b64 s[40:41], s[28:29], 1
	s_movk_i32 s44, 0x7fff
	v_mul_f32_e32 v1, 0x4f7ffffe, v1
	v_cvt_u32_f32_e32 v1, v1
	v_mov_b32_e32 v3, 0x7fc00000
	v_mov_b32_e32 v4, 0x7fc0
	v_mul_lo_u32 v2, s4, v1
	v_mul_hi_u32 v2, v1, v2
	v_add_u32_e32 v1, v1, v2
	v_mov_b32_e32 v2, v0
.LBB32_3:                               ; =>This Inner Loop Header: Depth=1
	v_sub_u32_e32 v6, 0, v2
	v_max_i32_e32 v6, v2, v6
	v_mul_hi_u32 v7, v6, v1
	v_mul_lo_u32 v8, v7, s33
	v_sub_u32_e32 v6, v6, v8
	v_add_u32_e32 v9, 1, v7
	v_cmp_le_u32_e32 vcc, s33, v6
	v_subrev_u32_e32 v8, s33, v6
	v_ashrrev_i32_e32 v5, 31, v2
	v_cndmask_b32_e32 v7, v7, v9, vcc
	v_cndmask_b32_e32 v6, v6, v8, vcc
	v_add_u32_e32 v8, 1, v7
	v_cmp_le_u32_e32 vcc, s33, v6
	v_xor_b32_e32 v5, s29, v5
	s_nop 0
	v_cndmask_b32_e32 v6, v7, v8, vcc
	v_xor_b32_e32 v6, v6, v5
	v_sub_u32_e32 v5, v6, v5
	v_mad_u64_u32 v[6:7], s[4:5], s43, v5, v[2:3]
	v_ashrrev_i32_e32 v10, 31, v5
	v_ashrrev_i32_e32 v7, 31, v6
	v_mul_lo_u32 v11, v5, s11
	v_mad_u64_u32 v[8:9], s[4:5], v5, s10, 0
	v_mul_lo_u32 v5, v10, s10
	v_lshlrev_b64 v[6:7], 1, v[6:7]
	v_add3_u32 v9, v9, v11, v5
	v_lshl_add_u64 v[10:11], s[26:27], 0, v[6:7]
	v_lshl_add_u64 v[12:13], v[10:11], 0, s[40:41]
	global_load_ushort v5, v[10:11], off
	global_load_ushort v15, v[12:13], off
	v_lshl_add_u64 v[8:9], v[8:9], 1, s[22:23]
	v_lshl_add_u64 v[6:7], v[8:9], 0, v[6:7]
	;; [unrolled: 1-line block ×3, first 2 shown]
	global_load_ushort v10, v[6:7], off
	global_load_ushort v12, v[8:9], off
	v_add_u32_e32 v2, s42, v2
	v_cmp_le_i32_e32 vcc, s3, v2
	s_or_b64 s[38:39], vcc, s[38:39]
	s_waitcnt vmcnt(3)
	v_cvt_f32_f16_e32 v14, v5
	s_waitcnt vmcnt(2)
	v_cvt_f32_f16_e32 v16, v15
	v_cmp_o_f16_e32 vcc, v5, v5
	v_bfe_u32 v17, v14, 16, 1
	v_bfe_u32 v18, v16, 16, 1
	v_add3_u32 v14, v14, v17, s44
	v_add3_u32 v16, v16, v18, s44
	v_and_b32_e32 v14, 0xffff0000, v14
	s_waitcnt vmcnt(1)
	v_lshlrev_b32_e32 v11, 16, v10
	s_waitcnt vmcnt(0)
	v_lshlrev_b32_e32 v10, 16, v12
	v_and_b32_e32 v5, 0xffff0000, v16
	v_cndmask_b32_e32 v14, v3, v14, vcc
	v_cmp_o_f16_e32 vcc, v15, v15
	v_mov_b32_e32 v12, v11
	v_mov_b32_e32 v13, v10
	v_cndmask_b32_e32 v15, v3, v5, vcc
	v_pk_mul_f32 v[12:13], v[14:15], v[12:13]
	v_pk_mul_f32 v[10:11], v[14:15], v[10:11]
	v_bfe_u32 v5, v12, 16, 1
	v_bfe_u32 v14, v13, 16, 1
	;; [unrolled: 1-line block ×4, first 2 shown]
	v_add3_u32 v14, v13, v14, s44
	v_add3_u32 v5, v12, v5, s44
	;; [unrolled: 1-line block ×4, first 2 shown]
	v_and_b32_e32 v5, 0xffff0000, v5
	v_and_b32_e32 v14, 0xffff0000, v14
	v_cmp_o_f32_e32 vcc, v12, v12
	v_cmp_o_f32_e64 s[8:9], v13, v13
	v_and_b32_e32 v12, 0xffff0000, v15
	v_and_b32_e32 v15, 0xffff0000, v16
	v_cmp_o_f32_e64 s[4:5], v11, v11
	v_cmp_o_f32_e64 s[6:7], v10, v10
	v_cndmask_b32_e64 v10, v3, v14, s[8:9]
	v_cndmask_b32_e32 v5, v3, v5, vcc
	v_cndmask_b32_e64 v11, v3, v15, s[4:5]
	v_cndmask_b32_e64 v12, v3, v12, s[6:7]
	v_sub_f32_e32 v5, v5, v10
	v_add_f32_e32 v10, v12, v11
	v_bfe_u32 v11, v5, 16, 1
	v_bfe_u32 v12, v10, 16, 1
	v_add3_u32 v11, v5, v11, s44
	v_add3_u32 v12, v10, v12, s44
	v_lshrrev_b32_e32 v11, 16, v11
	v_cmp_o_f32_e64 s[4:5], v5, v5
	v_lshrrev_b32_e32 v12, 16, v12
	v_cmp_o_f32_e32 vcc, v10, v10
	v_cndmask_b32_e64 v5, v4, v11, s[4:5]
	s_nop 0
	v_cndmask_b32_e32 v10, v4, v12, vcc
	global_store_short v[6:7], v5, off
	global_store_short v[8:9], v10, off
	s_andn2_b64 exec, exec, s[38:39]
	s_cbranch_execnz .LBB32_3
.LBB32_4:
	s_or_b64 exec, exec, s[20:21]
	s_load_dwordx4 s[20:23], s[0:1], 0x68
	s_waitcnt lgkmcnt(0)
	s_ashr_i32 s7, s23, 31
	s_mov_b32 s6, s23
	s_or_b64 s[4:5], s[36:37], s[6:7]
	s_mov_b32 s4, 0
	s_cmp_lg_u64 s[4:5], 0
	s_cbranch_scc0 .LBB32_14
; %bb.5:
	s_add_u32 s4, s6, s7
	s_mov_b32 s10, s7
	s_mov_b32 s11, s7
	s_addc_u32 s5, s7, s7
	s_xor_b64 s[38:39], s[4:5], s[10:11]
	v_cvt_f32_u32_e32 v1, s38
	v_cvt_f32_u32_e32 v2, s39
	s_sub_u32 s3, 0, s38
	s_subb_u32 s4, 0, s39
	v_fmamk_f32 v1, v2, 0x4f800000, v1
	v_rcp_f32_e32 v1, v1
	s_nop 0
	v_mul_f32_e32 v1, 0x5f7ffffc, v1
	v_mul_f32_e32 v2, 0x2f800000, v1
	v_trunc_f32_e32 v2, v2
	v_fmamk_f32 v1, v2, 0xcf800000, v1
	v_cvt_u32_f32_e32 v2, v2
	v_cvt_u32_f32_e32 v1, v1
	v_readfirstlane_b32 s5, v2
	v_readfirstlane_b32 s23, v1
	s_mul_i32 s29, s3, s5
	s_mul_hi_u32 s40, s3, s23
	s_mul_i32 s33, s4, s23
	s_add_i32 s29, s40, s29
	s_add_i32 s29, s29, s33
	s_mul_i32 s41, s3, s23
	s_mul_hi_u32 s33, s23, s29
	s_mul_i32 s40, s23, s29
	s_mul_hi_u32 s23, s23, s41
	s_add_u32 s23, s23, s40
	s_addc_u32 s33, 0, s33
	s_mul_hi_u32 s42, s5, s41
	s_mul_i32 s41, s5, s41
	s_add_u32 s23, s23, s41
	s_mul_hi_u32 s40, s5, s29
	s_addc_u32 s23, s33, s42
	s_addc_u32 s33, s40, 0
	s_mul_i32 s29, s5, s29
	s_add_u32 s23, s23, s29
	s_addc_u32 s29, 0, s33
	v_add_co_u32_e32 v1, vcc, s23, v1
	s_cmp_lg_u64 vcc, 0
	s_addc_u32 s5, s5, s29
	v_readfirstlane_b32 s29, v1
	s_mul_i32 s23, s3, s5
	s_mul_hi_u32 s33, s3, s29
	s_add_i32 s23, s33, s23
	s_mul_i32 s4, s4, s29
	s_add_i32 s23, s23, s4
	s_mul_i32 s3, s3, s29
	s_mul_hi_u32 s33, s5, s3
	s_mul_i32 s40, s5, s3
	s_mul_i32 s42, s29, s23
	s_mul_hi_u32 s3, s29, s3
	s_mul_hi_u32 s41, s29, s23
	s_add_u32 s3, s3, s42
	s_addc_u32 s29, 0, s41
	s_add_u32 s3, s3, s40
	s_mul_hi_u32 s4, s5, s23
	s_addc_u32 s3, s29, s33
	s_addc_u32 s4, s4, 0
	s_mul_i32 s23, s5, s23
	s_add_u32 s3, s3, s23
	s_addc_u32 s4, 0, s4
	v_add_co_u32_e32 v1, vcc, s3, v1
	s_cmp_lg_u64 vcc, 0
	s_addc_u32 s3, s5, s4
	s_ashr_i32 s40, s37, 31
	s_add_u32 s4, s36, s40
	s_mov_b32 s41, s40
	s_addc_u32 s5, s37, s40
	s_xor_b64 s[42:43], s[4:5], s[40:41]
	v_readfirstlane_b32 s23, v1
	s_mul_i32 s5, s42, s3
	s_mul_hi_u32 s29, s42, s23
	s_mul_hi_u32 s4, s42, s3
	s_add_u32 s5, s29, s5
	s_addc_u32 s4, 0, s4
	s_mul_hi_u32 s33, s43, s23
	s_mul_i32 s23, s43, s23
	s_add_u32 s5, s5, s23
	s_mul_hi_u32 s29, s43, s3
	s_addc_u32 s4, s4, s33
	s_addc_u32 s5, s29, 0
	s_mul_i32 s3, s43, s3
	s_add_u32 s3, s4, s3
	s_addc_u32 s23, 0, s5
	s_mul_i32 s4, s38, s23
	s_mul_hi_u32 s5, s38, s3
	s_add_i32 s4, s5, s4
	s_mul_i32 s5, s39, s3
	s_add_i32 s29, s4, s5
	s_mul_i32 s5, s38, s3
	v_mov_b32_e32 v1, s5
	s_sub_i32 s4, s43, s29
	v_sub_co_u32_e32 v1, vcc, s42, v1
	s_cmp_lg_u64 vcc, 0
	s_subb_u32 s33, s4, s39
	v_subrev_co_u32_e64 v2, s[4:5], s38, v1
	s_cmp_lg_u64 s[4:5], 0
	s_subb_u32 s4, s33, 0
	s_cmp_ge_u32 s4, s39
	v_readfirstlane_b32 s33, v2
	s_cselect_b32 s5, -1, 0
	s_cmp_ge_u32 s33, s38
	s_cselect_b32 s33, -1, 0
	s_cmp_eq_u32 s4, s39
	s_cselect_b32 s4, s33, s5
	s_add_u32 s5, s3, 1
	s_addc_u32 s33, s23, 0
	s_add_u32 s42, s3, 2
	s_addc_u32 s44, s23, 0
	s_cmp_lg_u32 s4, 0
	s_cselect_b32 s4, s42, s5
	s_cselect_b32 s5, s44, s33
	s_cmp_lg_u64 vcc, 0
	s_subb_u32 s29, s43, s29
	s_cmp_ge_u32 s29, s39
	v_readfirstlane_b32 s42, v1
	s_cselect_b32 s33, -1, 0
	s_cmp_ge_u32 s42, s38
	s_cselect_b32 s38, -1, 0
	s_cmp_eq_u32 s29, s39
	s_cselect_b32 s29, s38, s33
	s_cmp_lg_u32 s29, 0
	s_cselect_b32 s5, s5, s23
	s_cselect_b32 s4, s4, s3
	s_xor_b64 s[10:11], s[40:41], s[10:11]
	s_xor_b64 s[4:5], s[4:5], s[10:11]
	s_sub_u32 s10, s4, s10
	s_subb_u32 s11, s5, s11
	s_cbranch_execnz .LBB32_7
.LBB32_6:
	v_cvt_f32_u32_e32 v1, s6
	s_sub_i32 s3, 0, s6
	s_mov_b32 s11, 0
	v_rcp_iflag_f32_e32 v1, v1
	s_nop 0
	v_mul_f32_e32 v1, 0x4f7ffffe, v1
	v_cvt_u32_f32_e32 v1, v1
	s_nop 0
	v_readfirstlane_b32 s4, v1
	s_mul_i32 s3, s3, s4
	s_mul_hi_u32 s3, s4, s3
	s_add_i32 s4, s4, s3
	s_mul_hi_u32 s3, s36, s4
	s_mul_i32 s5, s3, s6
	s_sub_i32 s5, s36, s5
	s_add_i32 s4, s3, 1
	s_sub_i32 s8, s5, s6
	s_cmp_ge_u32 s5, s6
	s_cselect_b32 s3, s4, s3
	s_cselect_b32 s5, s8, s5
	s_add_i32 s4, s3, 1
	s_cmp_ge_u32 s5, s6
	s_cselect_b32 s10, s4, s3
.LBB32_7:
	s_mul_i32 s3, s10, s7
	s_mul_hi_u32 s4, s10, s6
	s_add_i32 s3, s4, s3
	s_mul_i32 s4, s11, s6
	s_add_i32 s3, s3, s4
	s_mul_i32 s4, s10, s6
	s_sub_u32 s33, s36, s4
	s_subb_u32 s3, s37, s3
	v_cmp_gt_i32_e32 vcc, s28, v0
	s_mul_hi_u32 s47, s10, s20
	s_mul_i32 s48, s11, s20
	s_mul_i32 s38, s10, s20
	s_mul_hi_u32 s46, s33, s21
	s_mul_i32 s11, s3, s21
	s_mul_i32 s36, s33, s21
	s_and_saveexec_b64 s[40:41], vcc
	s_cbranch_execz .LBB32_10
; %bb.8:
	s_mul_i32 s3, s2, s13
	s_mul_hi_u32 s4, s2, s12
	s_add_i32 s5, s4, s3
	s_mul_i32 s4, s2, s12
	s_ashr_i32 s29, s28, 31
	s_lshl_b64 s[4:5], s[4:5], 1
	s_add_u32 s12, s16, s4
	s_addc_u32 s13, s17, s5
	s_ashr_i32 s3, s20, 31
	s_mul_i32 s3, s10, s3
	s_add_i32 s3, s47, s3
	s_add_i32 s39, s3, s48
	s_ashr_i32 s3, s21, 31
	s_mul_i32 s3, s33, s3
	s_add_i32 s3, s46, s3
	s_add_i32 s37, s3, s11
	s_lshl_b64 s[6:7], s[38:39], 1
	s_lshl_b64 s[8:9], s[36:37], 1
	s_add_u32 s37, s6, s8
	s_addc_u32 s39, s7, s9
	s_load_dword s9, s[0:1], 0x8c
	s_add_u32 s3, s37, s24
	s_addc_u32 s8, s39, s25
	s_ashr_i32 s23, s22, 31
	s_lshl_b64 s[6:7], s[22:23], 1
	s_add_u32 s42, s3, s6
	s_addc_u32 s43, s8, s7
	s_waitcnt lgkmcnt(0)
	s_and_b32 s3, s9, 0xffff
	s_lshl_b32 s23, s3, 1
	s_lshl_b64 s[8:9], s[28:29], 1
	s_add_u32 s29, s34, s8
	s_addc_u32 s34, s35, s9
	s_add_u32 s30, s30, s29
	s_addc_u32 s31, s31, s34
	;; [unrolled: 2-line block ×6, first 2 shown]
	s_add_u32 s34, s24, s4
	v_lshlrev_b32_e32 v2, 1, v0
	v_mov_b32_e32 v3, 0
	s_addc_u32 s35, s25, s5
	s_mov_b64 s[44:45], 0
	s_movk_i32 s29, 0x7fff
	v_mov_b32_e32 v1, 0x7fc00000
	v_mov_b32_e32 v8, 0x7fc0
	;; [unrolled: 1-line block ×3, first 2 shown]
.LBB32_9:                               ; =>This Inner Loop Header: Depth=1
	v_lshl_add_u64 v[12:13], s[30:31], 0, v[2:3]
	v_lshl_add_u64 v[10:11], s[26:27], 0, v[2:3]
	;; [unrolled: 1-line block ×4, first 2 shown]
	global_load_ushort v18, v[12:13], off
	global_load_ushort v19, v[10:11], off
	global_load_ushort v14, v[4:5], off
	global_load_ushort v16, v[6:7], off
	s_add_u32 s26, s26, s23
	s_addc_u32 s27, s27, 0
	s_add_u32 s30, s30, s23
	s_addc_u32 s31, s31, 0
	;; [unrolled: 2-line block ×4, first 2 shown]
	v_lshl_add_u64 v[12:13], s[34:35], 0, v[2:3]
	s_add_u32 s34, s34, s23
	s_addc_u32 s35, s35, 0
	v_lshl_add_u64 v[10:11], s[42:43], 0, v[2:3]
	v_add_u32_e32 v9, s3, v9
	s_add_u32 s42, s42, s23
	v_cmp_le_i32_e32 vcc, s28, v9
	s_addc_u32 s43, s43, 0
	s_or_b64 s[44:45], vcc, s[44:45]
	s_waitcnt vmcnt(3)
	v_cvt_f32_f16_e32 v20, v18
	s_waitcnt vmcnt(2)
	v_cvt_f32_f16_e32 v21, v19
	s_waitcnt vmcnt(1)
	v_lshlrev_b32_e32 v15, 16, v14
	s_waitcnt vmcnt(0)
	v_lshlrev_b32_e32 v14, 16, v16
	v_bfe_u32 v23, v20, 16, 1
	v_bfe_u32 v22, v21, 16, 1
	v_add3_u32 v20, v20, v23, s29
	v_add3_u32 v21, v21, v22, s29
	v_and_b32_e32 v21, 0xffff0000, v21
	v_and_b32_e32 v20, 0xffff0000, v20
	v_cmp_o_f16_e32 vcc, v19, v19
	v_cmp_o_f16_e64 s[4:5], v18, v18
	v_mov_b32_e32 v16, v15
	v_mov_b32_e32 v17, v14
	v_cndmask_b32_e64 v19, v1, v20, s[4:5]
	v_cndmask_b32_e32 v18, v1, v21, vcc
	v_pk_mul_f32 v[16:17], v[18:19], v[16:17]
	v_pk_mul_f32 v[14:15], v[18:19], v[14:15]
	v_bfe_u32 v18, v16, 16, 1
	v_bfe_u32 v19, v17, 16, 1
	;; [unrolled: 1-line block ×4, first 2 shown]
	v_add3_u32 v19, v17, v19, s29
	v_add3_u32 v18, v16, v18, s29
	;; [unrolled: 1-line block ×4, first 2 shown]
	v_and_b32_e32 v18, 0xffff0000, v18
	v_and_b32_e32 v19, 0xffff0000, v19
	v_cmp_o_f32_e32 vcc, v16, v16
	v_cmp_o_f32_e64 s[8:9], v17, v17
	v_and_b32_e32 v16, 0xffff0000, v20
	v_and_b32_e32 v20, 0xffff0000, v21
	v_cmp_o_f32_e64 s[4:5], v15, v15
	v_cmp_o_f32_e64 s[6:7], v14, v14
	v_cndmask_b32_e64 v14, v1, v19, s[8:9]
	v_cndmask_b32_e32 v15, v1, v18, vcc
	v_cndmask_b32_e64 v17, v1, v20, s[4:5]
	v_cndmask_b32_e64 v16, v1, v16, s[6:7]
	v_sub_f32_e32 v14, v15, v14
	v_add_f32_e32 v15, v16, v17
	v_bfe_u32 v16, v14, 16, 1
	v_bfe_u32 v17, v15, 16, 1
	v_add3_u32 v16, v14, v16, s29
	v_add3_u32 v17, v15, v17, s29
	v_lshrrev_b32_e32 v16, 16, v16
	v_cmp_o_f32_e64 s[4:5], v14, v14
	v_lshrrev_b32_e32 v17, 16, v17
	v_cmp_o_f32_e32 vcc, v15, v15
	v_cndmask_b32_e64 v14, v8, v16, s[4:5]
	s_nop 0
	v_cndmask_b32_e32 v15, v8, v17, vcc
	global_store_short v[4:5], v14, off
	global_store_short v[6:7], v15, off
	;; [unrolled: 1-line block ×4, first 2 shown]
	s_andn2_b64 exec, exec, s[44:45]
	s_cbranch_execnz .LBB32_9
.LBB32_10:
	s_or_b64 exec, exec, s[40:41]
	v_cmp_gt_i32_e32 vcc, s22, v0
	s_and_saveexec_b64 s[4:5], vcc
	s_cbranch_execz .LBB32_13
; %bb.11:
	s_mul_i32 s3, s2, s15
	s_mul_hi_u32 s4, s2, s14
	s_add_i32 s3, s4, s3
	s_mul_i32 s2, s2, s14
	s_lshl_b64 s[2:3], s[2:3], 1
	s_add_u32 s2, s18, s2
	s_addc_u32 s3, s19, s3
	s_ashr_i32 s4, s20, 31
	s_mul_i32 s4, s10, s4
	s_add_i32 s4, s47, s4
	s_add_i32 s39, s4, s48
	s_lshl_b64 s[4:5], s[38:39], 1
	s_add_u32 s4, s24, s4
	s_addc_u32 s5, s25, s5
	s_ashr_i32 s6, s21, 31
	s_mul_i32 s33, s33, s6
	s_load_dword s7, s[0:1], 0x8c
	s_add_i32 s6, s46, s33
	s_add_i32 s37, s6, s11
	s_lshl_b64 s[0:1], s[36:37], 1
	s_add_u32 s0, s4, s0
	s_addc_u32 s1, s5, s1
	s_waitcnt lgkmcnt(0)
	s_and_b32 s6, s7, 0xffff
	s_mov_b64 s[4:5], 0
.LBB32_12:                              ; =>This Inner Loop Header: Depth=1
	v_ashrrev_i32_e32 v1, 31, v0
	v_lshlrev_b64 v[2:3], 1, v[0:1]
	v_lshl_add_u64 v[4:5], s[2:3], 0, v[2:3]
	global_load_ushort v1, v[4:5], off
	v_add_u32_e32 v0, s6, v0
	v_cmp_le_i32_e32 vcc, s22, v0
	v_lshl_add_u64 v[2:3], s[0:1], 0, v[2:3]
	s_or_b64 s[4:5], vcc, s[4:5]
	s_waitcnt vmcnt(0)
	global_store_short v[2:3], v1, off
	s_andn2_b64 exec, exec, s[4:5]
	s_cbranch_execnz .LBB32_12
.LBB32_13:
	s_endpgm
.LBB32_14:
                                        ; implicit-def: $sgpr10_sgpr11
	s_branch .LBB32_6
	.section	.rodata,"a",@progbits
	.p2align	6, 0x0
	.amdhsa_kernel _ZN4vllm38concat_and_cache_mla_rope_fused_kernelIN3c108BFloat16ENS1_4HalfELb1EttLNS_18Fp8KVCacheDataTypeE0EEEvPKlPT_S8_PKS7_PKT0_illlliPT3_S6_iiiiPKf
		.amdhsa_group_segment_fixed_size 0
		.amdhsa_private_segment_fixed_size 0
		.amdhsa_kernarg_size 384
		.amdhsa_user_sgpr_count 2
		.amdhsa_user_sgpr_dispatch_ptr 0
		.amdhsa_user_sgpr_queue_ptr 0
		.amdhsa_user_sgpr_kernarg_segment_ptr 1
		.amdhsa_user_sgpr_dispatch_id 0
		.amdhsa_user_sgpr_kernarg_preload_length 0
		.amdhsa_user_sgpr_kernarg_preload_offset 0
		.amdhsa_user_sgpr_private_segment_size 0
		.amdhsa_uses_dynamic_stack 0
		.amdhsa_enable_private_segment 0
		.amdhsa_system_sgpr_workgroup_id_x 1
		.amdhsa_system_sgpr_workgroup_id_y 0
		.amdhsa_system_sgpr_workgroup_id_z 0
		.amdhsa_system_sgpr_workgroup_info 0
		.amdhsa_system_vgpr_workitem_id 0
		.amdhsa_next_free_vgpr 24
		.amdhsa_next_free_sgpr 49
		.amdhsa_accum_offset 24
		.amdhsa_reserve_vcc 1
		.amdhsa_float_round_mode_32 0
		.amdhsa_float_round_mode_16_64 0
		.amdhsa_float_denorm_mode_32 3
		.amdhsa_float_denorm_mode_16_64 3
		.amdhsa_dx10_clamp 1
		.amdhsa_ieee_mode 1
		.amdhsa_fp16_overflow 0
		.amdhsa_tg_split 0
		.amdhsa_exception_fp_ieee_invalid_op 0
		.amdhsa_exception_fp_denorm_src 0
		.amdhsa_exception_fp_ieee_div_zero 0
		.amdhsa_exception_fp_ieee_overflow 0
		.amdhsa_exception_fp_ieee_underflow 0
		.amdhsa_exception_fp_ieee_inexact 0
		.amdhsa_exception_int_div_zero 0
	.end_amdhsa_kernel
	.section	.text._ZN4vllm38concat_and_cache_mla_rope_fused_kernelIN3c108BFloat16ENS1_4HalfELb1EttLNS_18Fp8KVCacheDataTypeE0EEEvPKlPT_S8_PKS7_PKT0_illlliPT3_S6_iiiiPKf,"axG",@progbits,_ZN4vllm38concat_and_cache_mla_rope_fused_kernelIN3c108BFloat16ENS1_4HalfELb1EttLNS_18Fp8KVCacheDataTypeE0EEEvPKlPT_S8_PKS7_PKT0_illlliPT3_S6_iiiiPKf,comdat
.Lfunc_end32:
	.size	_ZN4vllm38concat_and_cache_mla_rope_fused_kernelIN3c108BFloat16ENS1_4HalfELb1EttLNS_18Fp8KVCacheDataTypeE0EEEvPKlPT_S8_PKS7_PKT0_illlliPT3_S6_iiiiPKf, .Lfunc_end32-_ZN4vllm38concat_and_cache_mla_rope_fused_kernelIN3c108BFloat16ENS1_4HalfELb1EttLNS_18Fp8KVCacheDataTypeE0EEEvPKlPT_S8_PKS7_PKT0_illlliPT3_S6_iiiiPKf
                                        ; -- End function
	.section	.AMDGPU.csdata,"",@progbits
; Kernel info:
; codeLenInByte = 2652
; NumSgprs: 55
; NumVgprs: 24
; NumAgprs: 0
; TotalNumVgprs: 24
; ScratchSize: 0
; MemoryBound: 0
; FloatMode: 240
; IeeeMode: 1
; LDSByteSize: 0 bytes/workgroup (compile time only)
; SGPRBlocks: 6
; VGPRBlocks: 2
; NumSGPRsForWavesPerEU: 55
; NumVGPRsForWavesPerEU: 24
; AccumOffset: 24
; Occupancy: 8
; WaveLimiterHint : 1
; COMPUTE_PGM_RSRC2:SCRATCH_EN: 0
; COMPUTE_PGM_RSRC2:USER_SGPR: 2
; COMPUTE_PGM_RSRC2:TRAP_HANDLER: 0
; COMPUTE_PGM_RSRC2:TGID_X_EN: 1
; COMPUTE_PGM_RSRC2:TGID_Y_EN: 0
; COMPUTE_PGM_RSRC2:TGID_Z_EN: 0
; COMPUTE_PGM_RSRC2:TIDIG_COMP_CNT: 0
; COMPUTE_PGM_RSRC3_GFX90A:ACCUM_OFFSET: 5
; COMPUTE_PGM_RSRC3_GFX90A:TG_SPLIT: 0
	.section	.text._ZN4vllm38concat_and_cache_mla_rope_fused_kernelIN3c108BFloat16ENS1_4HalfELb0EttLNS_18Fp8KVCacheDataTypeE0EEEvPKlPT_S8_PKS7_PKT0_illlliPT3_S6_iiiiPKf,"axG",@progbits,_ZN4vllm38concat_and_cache_mla_rope_fused_kernelIN3c108BFloat16ENS1_4HalfELb0EttLNS_18Fp8KVCacheDataTypeE0EEEvPKlPT_S8_PKS7_PKT0_illlliPT3_S6_iiiiPKf,comdat
	.protected	_ZN4vllm38concat_and_cache_mla_rope_fused_kernelIN3c108BFloat16ENS1_4HalfELb0EttLNS_18Fp8KVCacheDataTypeE0EEEvPKlPT_S8_PKS7_PKT0_illlliPT3_S6_iiiiPKf ; -- Begin function _ZN4vllm38concat_and_cache_mla_rope_fused_kernelIN3c108BFloat16ENS1_4HalfELb0EttLNS_18Fp8KVCacheDataTypeE0EEEvPKlPT_S8_PKS7_PKT0_illlliPT3_S6_iiiiPKf
	.globl	_ZN4vllm38concat_and_cache_mla_rope_fused_kernelIN3c108BFloat16ENS1_4HalfELb0EttLNS_18Fp8KVCacheDataTypeE0EEEvPKlPT_S8_PKS7_PKT0_illlliPT3_S6_iiiiPKf
	.p2align	8
	.type	_ZN4vllm38concat_and_cache_mla_rope_fused_kernelIN3c108BFloat16ENS1_4HalfELb0EttLNS_18Fp8KVCacheDataTypeE0EEEvPKlPT_S8_PKS7_PKT0_illlliPT3_S6_iiiiPKf,@function
_ZN4vllm38concat_and_cache_mla_rope_fused_kernelIN3c108BFloat16ENS1_4HalfELb0EttLNS_18Fp8KVCacheDataTypeE0EEEvPKlPT_S8_PKS7_PKT0_illlliPT3_S6_iiiiPKf: ; @_ZN4vllm38concat_and_cache_mla_rope_fused_kernelIN3c108BFloat16ENS1_4HalfELb0EttLNS_18Fp8KVCacheDataTypeE0EEEvPKlPT_S8_PKS7_PKT0_illlliPT3_S6_iiiiPKf
; %bb.0:
	s_load_dwordx2 s[6:7], s[0:1], 0x60
	s_mov_b32 s3, 0
	s_lshl_b64 s[4:5], s[2:3], 3
	s_waitcnt lgkmcnt(0)
	s_add_u32 s6, s6, s4
	s_addc_u32 s7, s7, s5
	s_load_dwordx2 s[26:27], s[6:7], 0x0
	s_waitcnt lgkmcnt(0)
	v_cmp_lt_i64_e64 s[6:7], s[26:27], 0
	s_and_b64 vcc, exec, s[6:7]
	s_cbranch_vccnz .LBB33_13
; %bb.1:
	s_load_dword s3, s[0:1], 0x28
	s_load_dwordx2 s[6:7], s[0:1], 0x0
	s_load_dwordx4 s[12:15], s[0:1], 0x10
	v_lshlrev_b32_e32 v2, 1, v0
	s_waitcnt lgkmcnt(0)
	s_ashr_i32 s22, s3, 31
	s_add_u32 s16, s6, s4
	s_addc_u32 s17, s7, s5
	s_load_dwordx2 s[18:19], s[16:17], 0x0
	s_load_dwordx2 s[24:25], s[0:1], 0x20
	s_load_dwordx8 s[4:11], s[0:1], 0x30
	s_load_dwordx2 s[20:21], s[0:1], 0x58
	s_load_dword s23, s[0:1], 0x50
	s_waitcnt lgkmcnt(0)
	s_mul_i32 s16, s18, s22
	s_mul_hi_u32 s17, s18, s3
	s_mul_i32 s19, s19, s3
	s_add_i32 s16, s17, s16
	s_add_i32 s29, s16, s19
	s_lshr_b32 s16, s3, 31
	s_mul_i32 s28, s18, s3
	s_add_i32 s3, s3, s16
	s_ashr_i32 s22, s3, 1
	s_mul_i32 s3, s22, s23
	v_cmp_gt_i32_e32 vcc, s3, v0
	s_and_saveexec_b64 s[16:17], vcc
	s_cbranch_execz .LBB33_4
; %bb.2:
	s_load_dwordx2 s[30:31], s[0:1], 0x8
	s_load_dword s34, s[0:1], 0x8c
	s_lshl_b64 s[18:19], s[28:29], 1
	s_add_u32 s18, s24, s18
	s_mul_i32 s5, s2, s5
	s_mul_hi_u32 s33, s2, s4
	s_addc_u32 s19, s25, s19
	s_add_i32 s5, s33, s5
	s_mul_i32 s4, s2, s4
	s_ashr_i32 s23, s22, 31
	s_lshl_b64 s[4:5], s[4:5], 1
	s_waitcnt lgkmcnt(0)
	s_add_u32 s30, s30, s4
	s_addc_u32 s31, s31, s5
	s_abs_i32 s33, s22
	v_cvt_f32_u32_e32 v1, s33
	s_sub_i32 s4, 0, s33
	s_and_b32 s36, s34, 0xffff
	s_sub_i32 s37, 0, s22
	v_rcp_iflag_f32_e32 v1, v1
	s_lshl_b32 s39, s36, 1
	s_mov_b64 s[34:35], 0
	s_movk_i32 s40, 0x7fff
	v_mul_f32_e32 v1, 0x4f7ffffe, v1
	v_cvt_u32_f32_e32 v1, v1
	v_mov_b32_e32 v5, 0x7fc0
	s_mov_b32 s41, 0x5040100
	v_mov_b32_e32 v4, v2
	v_mul_lo_u32 v3, s4, v1
	v_mul_hi_u32 v3, v1, v3
	s_lshl_b32 s4, s22, 1
	v_add_u32_e32 v1, v1, v3
	s_sub_i32 s38, 0, s4
	v_mov_b32_e32 v3, 0x7fc00000
	v_mov_b32_e32 v6, v0
.LBB33_3:                               ; =>This Inner Loop Header: Depth=1
	v_sub_u32_e32 v8, 0, v6
	v_max_i32_e32 v8, v6, v8
	v_mul_hi_u32 v9, v8, v1
	v_mul_lo_u32 v10, v9, s33
	v_sub_u32_e32 v8, v8, v10
	v_add_u32_e32 v11, 1, v9
	v_cmp_le_u32_e32 vcc, s33, v8
	v_subrev_u32_e32 v10, s33, v8
	v_ashrrev_i32_e32 v7, 31, v6
	v_cndmask_b32_e32 v9, v9, v11, vcc
	v_cndmask_b32_e32 v8, v8, v10, vcc
	v_add_u32_e32 v10, 1, v9
	v_cmp_le_u32_e32 vcc, s33, v8
	v_xor_b32_e32 v7, s23, v7
	s_nop 0
	v_cndmask_b32_e32 v8, v9, v10, vcc
	v_xor_b32_e32 v8, v8, v7
	v_sub_u32_e32 v7, v8, v7
	v_mad_u64_u32 v[8:9], s[4:5], s37, v7, v[6:7]
	v_ashrrev_i32_e32 v14, 31, v7
	v_ashrrev_i32_e32 v9, 31, v8
	v_mul_lo_u32 v15, v7, s7
	v_mad_u64_u32 v[10:11], s[4:5], v7, s6, 0
	v_mad_u64_u32 v[12:13], s[4:5], s38, v7, v[4:5]
	v_mul_lo_u32 v7, v14, s6
	v_lshl_add_u64 v[8:9], v[8:9], 1, s[18:19]
	v_add3_u32 v11, v11, v15, v7
	v_lshl_add_u64 v[14:15], s[22:23], 1, v[8:9]
	global_load_ushort v7, v[8:9], off
	global_load_ushort v16, v[14:15], off
	v_ashrrev_i32_e32 v13, 31, v12
	v_lshl_add_u64 v[10:11], v[10:11], 1, s[30:31]
	v_lshl_add_u64 v[8:9], v[12:13], 1, v[10:11]
	global_load_dword v10, v[8:9], off
	v_add_u32_e32 v6, s36, v6
	v_cmp_le_i32_e32 vcc, s3, v6
	s_or_b64 s[34:35], vcc, s[34:35]
	v_add_u32_e32 v4, s39, v4
	s_waitcnt vmcnt(2)
	v_cvt_f32_f16_e32 v12, v7
	s_waitcnt vmcnt(1)
	v_cvt_f32_f16_e32 v13, v16
	v_cmp_o_f16_e32 vcc, v7, v7
	v_bfe_u32 v14, v12, 16, 1
	v_add3_u32 v12, v12, v14, s40
	v_bfe_u32 v14, v13, 16, 1
	v_and_b32_e32 v12, 0xffff0000, v12
	s_waitcnt vmcnt(0)
	v_and_b32_e32 v11, 0xffff0000, v10
	v_lshlrev_b32_e32 v10, 16, v10
	v_add3_u32 v13, v13, v14, s40
	v_cndmask_b32_e32 v12, v3, v12, vcc
	v_and_b32_e32 v7, 0xffff0000, v13
	v_cmp_o_f16_e32 vcc, v16, v16
	v_pk_mul_f32 v[12:13], v[12:13], v[10:11] op_sel_hi:[0,1]
	v_bfe_u32 v15, v13, 16, 1
	v_cndmask_b32_e32 v14, v3, v7, vcc
	v_bfe_u32 v7, v12, 16, 1
	v_pk_mul_f32 v[10:11], v[14:15], v[10:11] op_sel_hi:[0,1]
	v_add3_u32 v14, v13, v15, s40
	v_add3_u32 v7, v12, v7, s40
	v_bfe_u32 v15, v11, 16, 1
	v_bfe_u32 v16, v10, 16, 1
	v_and_b32_e32 v7, 0xffff0000, v7
	v_and_b32_e32 v14, 0xffff0000, v14
	v_add3_u32 v16, v10, v16, s40
	v_add3_u32 v15, v11, v15, s40
	v_cmp_o_f32_e32 vcc, v12, v12
	v_cmp_o_f32_e64 s[4:5], v13, v13
	v_and_b32_e32 v15, 0xffff0000, v15
	v_and_b32_e32 v16, 0xffff0000, v16
	v_cndmask_b32_e64 v13, v3, v14, s[4:5]
	v_cndmask_b32_e32 v12, v3, v7, vcc
	v_cmp_o_f32_e32 vcc, v11, v11
	v_cmp_o_f32_e64 s[4:5], v10, v10
	s_nop 0
	v_cndmask_b32_e32 v10, v3, v15, vcc
	v_cndmask_b32_e64 v11, v3, v16, s[4:5]
	v_pk_add_f32 v[14:15], v[12:13], v[10:11] neg_lo:[0,1] neg_hi:[0,1]
	v_pk_add_f32 v[10:11], v[12:13], v[10:11]
	v_bfe_u32 v7, v14, 16, 1
	v_bfe_u32 v10, v11, 16, 1
	v_add3_u32 v10, v11, v10, s40
	v_add3_u32 v7, v14, v7, s40
	v_lshrrev_b32_e32 v7, 16, v7
	v_lshrrev_b32_e32 v10, 16, v10
	v_cmp_o_f32_e32 vcc, v11, v11
	v_cmp_o_f32_e64 s[4:5], v14, v14
	s_nop 0
	v_cndmask_b32_e32 v10, v5, v10, vcc
	v_cndmask_b32_e64 v7, v5, v7, s[4:5]
	v_perm_b32 v7, v10, v7, s41
	global_store_dword v[8:9], v7, off
	s_andn2_b64 exec, exec, s[34:35]
	s_cbranch_execnz .LBB33_3
.LBB33_4:
	s_or_b64 exec, exec, s[16:17]
	s_load_dwordx4 s[16:19], s[0:1], 0x68
	s_waitcnt lgkmcnt(0)
	s_ashr_i32 s31, s19, 31
	s_mov_b32 s30, s19
	s_or_b64 s[4:5], s[26:27], s[30:31]
	s_mov_b32 s4, 0
	s_cmp_lg_u64 s[4:5], 0
	s_cbranch_scc0 .LBB33_14
; %bb.5:
	s_add_u32 s4, s30, s31
	s_mov_b32 s6, s31
	s_mov_b32 s7, s31
	s_addc_u32 s5, s31, s31
	s_xor_b64 s[36:37], s[4:5], s[6:7]
	v_cvt_f32_u32_e32 v1, s36
	v_cvt_f32_u32_e32 v3, s37
	s_sub_u32 s3, 0, s36
	s_subb_u32 s4, 0, s37
	v_fmamk_f32 v1, v3, 0x4f800000, v1
	v_rcp_f32_e32 v1, v1
	s_nop 0
	v_mul_f32_e32 v1, 0x5f7ffffc, v1
	v_mul_f32_e32 v3, 0x2f800000, v1
	v_trunc_f32_e32 v3, v3
	v_fmamk_f32 v1, v3, 0xcf800000, v1
	v_cvt_u32_f32_e32 v3, v3
	v_cvt_u32_f32_e32 v1, v1
	v_readfirstlane_b32 s5, v3
	v_readfirstlane_b32 s19, v1
	s_mul_i32 s23, s3, s5
	s_mul_hi_u32 s38, s3, s19
	s_mul_i32 s33, s4, s19
	s_add_i32 s23, s38, s23
	s_add_i32 s23, s23, s33
	s_mul_i32 s39, s3, s19
	s_mul_hi_u32 s33, s19, s23
	s_mul_i32 s38, s19, s23
	s_mul_hi_u32 s19, s19, s39
	s_add_u32 s19, s19, s38
	s_addc_u32 s33, 0, s33
	s_mul_hi_u32 s40, s5, s39
	s_mul_i32 s39, s5, s39
	s_add_u32 s19, s19, s39
	s_mul_hi_u32 s38, s5, s23
	s_addc_u32 s19, s33, s40
	s_addc_u32 s33, s38, 0
	s_mul_i32 s23, s5, s23
	s_add_u32 s19, s19, s23
	s_addc_u32 s23, 0, s33
	v_add_co_u32_e32 v1, vcc, s19, v1
	s_cmp_lg_u64 vcc, 0
	s_addc_u32 s5, s5, s23
	v_readfirstlane_b32 s23, v1
	s_mul_i32 s19, s3, s5
	s_mul_hi_u32 s33, s3, s23
	s_add_i32 s19, s33, s19
	s_mul_i32 s4, s4, s23
	s_add_i32 s19, s19, s4
	s_mul_i32 s3, s3, s23
	s_mul_hi_u32 s33, s5, s3
	s_mul_i32 s38, s5, s3
	s_mul_i32 s40, s23, s19
	s_mul_hi_u32 s3, s23, s3
	s_mul_hi_u32 s39, s23, s19
	s_add_u32 s3, s3, s40
	s_addc_u32 s23, 0, s39
	s_add_u32 s3, s3, s38
	s_mul_hi_u32 s4, s5, s19
	s_addc_u32 s3, s23, s33
	s_addc_u32 s4, s4, 0
	s_mul_i32 s19, s5, s19
	s_add_u32 s3, s3, s19
	s_addc_u32 s4, 0, s4
	v_add_co_u32_e32 v1, vcc, s3, v1
	s_cmp_lg_u64 vcc, 0
	s_addc_u32 s3, s5, s4
	s_ashr_i32 s38, s27, 31
	s_add_u32 s4, s26, s38
	s_mov_b32 s39, s38
	s_addc_u32 s5, s27, s38
	s_xor_b64 s[40:41], s[4:5], s[38:39]
	v_readfirstlane_b32 s19, v1
	s_mul_i32 s5, s40, s3
	s_mul_hi_u32 s23, s40, s19
	s_mul_hi_u32 s4, s40, s3
	s_add_u32 s5, s23, s5
	s_addc_u32 s4, 0, s4
	s_mul_hi_u32 s33, s41, s19
	s_mul_i32 s19, s41, s19
	s_add_u32 s5, s5, s19
	s_mul_hi_u32 s23, s41, s3
	s_addc_u32 s4, s4, s33
	s_addc_u32 s5, s23, 0
	s_mul_i32 s3, s41, s3
	s_add_u32 s3, s4, s3
	s_addc_u32 s19, 0, s5
	s_mul_i32 s4, s36, s19
	s_mul_hi_u32 s5, s36, s3
	s_add_i32 s4, s5, s4
	s_mul_i32 s5, s37, s3
	s_add_i32 s23, s4, s5
	s_mul_i32 s5, s36, s3
	v_mov_b32_e32 v1, s5
	s_sub_i32 s4, s41, s23
	v_sub_co_u32_e32 v1, vcc, s40, v1
	s_cmp_lg_u64 vcc, 0
	s_subb_u32 s33, s4, s37
	v_subrev_co_u32_e64 v3, s[4:5], s36, v1
	s_cmp_lg_u64 s[4:5], 0
	s_subb_u32 s4, s33, 0
	s_cmp_ge_u32 s4, s37
	v_readfirstlane_b32 s33, v3
	s_cselect_b32 s5, -1, 0
	s_cmp_ge_u32 s33, s36
	s_cselect_b32 s33, -1, 0
	s_cmp_eq_u32 s4, s37
	s_cselect_b32 s4, s33, s5
	s_add_u32 s5, s3, 1
	s_addc_u32 s33, s19, 0
	s_add_u32 s40, s3, 2
	s_addc_u32 s42, s19, 0
	s_cmp_lg_u32 s4, 0
	s_cselect_b32 s4, s40, s5
	s_cselect_b32 s5, s42, s33
	s_cmp_lg_u64 vcc, 0
	s_subb_u32 s23, s41, s23
	s_cmp_ge_u32 s23, s37
	v_readfirstlane_b32 s40, v1
	s_cselect_b32 s33, -1, 0
	s_cmp_ge_u32 s40, s36
	s_cselect_b32 s36, -1, 0
	s_cmp_eq_u32 s23, s37
	s_cselect_b32 s23, s36, s33
	s_cmp_lg_u32 s23, 0
	s_cselect_b32 s5, s5, s19
	s_cselect_b32 s4, s4, s3
	s_xor_b64 s[6:7], s[38:39], s[6:7]
	s_xor_b64 s[4:5], s[4:5], s[6:7]
	s_sub_u32 s6, s4, s6
	s_subb_u32 s7, s5, s7
	s_cbranch_execnz .LBB33_7
.LBB33_6:
	v_cvt_f32_u32_e32 v1, s30
	s_sub_i32 s3, 0, s30
	s_mov_b32 s7, 0
	v_rcp_iflag_f32_e32 v1, v1
	s_nop 0
	v_mul_f32_e32 v1, 0x4f7ffffe, v1
	v_cvt_u32_f32_e32 v1, v1
	s_nop 0
	v_readfirstlane_b32 s4, v1
	s_mul_i32 s3, s3, s4
	s_mul_hi_u32 s3, s4, s3
	s_add_i32 s4, s4, s3
	s_mul_hi_u32 s3, s26, s4
	s_mul_i32 s5, s3, s30
	s_sub_i32 s5, s26, s5
	s_add_i32 s4, s3, 1
	s_sub_i32 s6, s5, s30
	s_cmp_ge_u32 s5, s30
	s_cselect_b32 s3, s4, s3
	s_cselect_b32 s5, s6, s5
	s_add_i32 s4, s3, 1
	s_cmp_ge_u32 s5, s30
	s_cselect_b32 s6, s4, s3
.LBB33_7:
	s_mul_i32 s3, s6, s31
	s_mul_hi_u32 s4, s6, s30
	s_add_i32 s3, s4, s3
	s_mul_i32 s4, s7, s30
	s_add_i32 s3, s3, s4
	s_mul_i32 s4, s6, s30
	s_sub_u32 s33, s26, s4
	s_subb_u32 s3, s27, s3
	v_cmp_gt_i32_e32 vcc, s22, v0
	s_mul_hi_u32 s37, s6, s16
	s_mul_i32 s38, s7, s16
	s_mul_i32 s30, s6, s16
	s_mul_hi_u32 s36, s33, s17
	s_mul_i32 s7, s3, s17
	s_mul_i32 s26, s33, s17
	s_and_saveexec_b64 s[34:35], vcc
	s_cbranch_execz .LBB33_10
; %bb.8:
	s_load_dword s3, s[0:1], 0x8c
	s_ashr_i32 s23, s22, 31
	s_ashr_i32 s27, s16, 31
	;; [unrolled: 1-line block ×4, first 2 shown]
	s_waitcnt lgkmcnt(0)
	s_and_b32 s3, s3, 0xffff
	s_lshl_b64 s[4:5], s[28:29], 1
	s_add_u32 s4, s24, s4
	v_mov_b32_e32 v3, 0
	s_addc_u32 s5, s25, s5
	v_lshl_add_u64 v[4:5], s[4:5], 0, v[2:3]
	s_mul_i32 s4, s9, s2
	s_mul_hi_u32 s5, s8, s2
	s_add_i32 s5, s5, s4
	s_mul_i32 s4, s8, s2
	s_lshl_b32 s28, s3, 1
	s_lshl_b64 s[24:25], s[22:23], 1
	s_lshl_b64 s[4:5], s[4:5], 1
	s_add_u32 s4, s12, s4
	v_lshlrev_b32_e32 v2, 2, v0
	s_addc_u32 s5, s13, s5
	v_lshl_add_u64 v[6:7], s[4:5], 0, v[2:3]
	s_mul_i32 s4, s6, s27
	s_mul_i32 s8, s33, s39
	s_add_i32 s4, s37, s4
	s_add_i32 s8, s36, s8
	;; [unrolled: 1-line block ×4, first 2 shown]
	s_lshl_b32 s23, s3, 2
	s_lshl_b64 s[4:5], s[30:31], 1
	s_lshl_b64 s[8:9], s[26:27], 1
	s_add_u32 s8, s4, s8
	s_addc_u32 s9, s5, s9
	s_lshl_b64 s[4:5], s[18:19], 1
	s_add_u32 s4, s20, s4
	s_addc_u32 s5, s21, s5
	s_add_u32 s4, s4, s8
	s_addc_u32 s5, s5, s9
	s_mov_b32 s29, 0
	v_lshl_add_u64 v[2:3], s[4:5], 0, v[2:3]
	s_mov_b64 s[8:9], 0
	s_movk_i32 s19, 0x7fff
	v_mov_b32_e32 v1, 0x7fc00000
	v_mov_b32_e32 v8, 0x7fc0
	s_mov_b32 s27, 0x5040100
	s_mov_b64 s[12:13], 0
	v_mov_b32_e32 v9, v0
.LBB33_9:                               ; =>This Inner Loop Header: Depth=1
	global_load_ushort v16, v[4:5], off
	v_lshl_add_u64 v[10:11], v[4:5], 0, s[24:25]
	v_lshl_add_u64 v[12:13], v[6:7], 0, s[12:13]
	global_load_ushort v17, v[10:11], off
	global_load_dword v14, v[12:13], off
	v_lshl_add_u64 v[10:11], v[2:3], 0, s[12:13]
	v_add_u32_e32 v9, s3, v9
	s_add_u32 s12, s12, s23
	s_addc_u32 s13, s13, 0
	v_cmp_le_i32_e32 vcc, s22, v9
	s_or_b64 s[8:9], vcc, s[8:9]
	v_lshl_add_u64 v[4:5], v[4:5], 0, s[28:29]
	s_waitcnt vmcnt(2)
	v_cvt_f32_f16_e32 v18, v16
	v_cmp_o_f16_e32 vcc, v16, v16
	s_waitcnt vmcnt(1)
	v_cvt_f32_f16_e32 v19, v17
	s_waitcnt vmcnt(0)
	v_and_b32_e32 v15, 0xffff0000, v14
	v_bfe_u32 v20, v18, 16, 1
	v_add3_u32 v18, v18, v20, s19
	v_bfe_u32 v20, v19, 16, 1
	v_and_b32_e32 v18, 0xffff0000, v18
	v_lshlrev_b32_e32 v14, 16, v14
	v_add3_u32 v19, v19, v20, s19
	v_cndmask_b32_e32 v16, v1, v18, vcc
	v_and_b32_e32 v19, 0xffff0000, v19
	v_cmp_o_f16_e32 vcc, v17, v17
	v_pk_mul_f32 v[16:17], v[16:17], v[14:15] op_sel_hi:[0,1]
	v_bfe_u32 v20, v17, 16, 1
	v_cndmask_b32_e32 v18, v1, v19, vcc
	v_bfe_u32 v19, v16, 16, 1
	v_pk_mul_f32 v[14:15], v[18:19], v[14:15] op_sel_hi:[0,1]
	v_add3_u32 v18, v17, v20, s19
	v_add3_u32 v19, v16, v19, s19
	v_bfe_u32 v20, v15, 16, 1
	v_bfe_u32 v21, v14, 16, 1
	v_and_b32_e32 v19, 0xffff0000, v19
	v_and_b32_e32 v18, 0xffff0000, v18
	v_add3_u32 v21, v14, v21, s19
	v_add3_u32 v20, v15, v20, s19
	v_cmp_o_f32_e32 vcc, v16, v16
	v_cmp_o_f32_e64 s[4:5], v17, v17
	v_and_b32_e32 v20, 0xffff0000, v20
	v_and_b32_e32 v21, 0xffff0000, v21
	v_cndmask_b32_e64 v17, v1, v18, s[4:5]
	v_cndmask_b32_e32 v16, v1, v19, vcc
	v_cmp_o_f32_e32 vcc, v15, v15
	v_cmp_o_f32_e64 s[4:5], v14, v14
	s_nop 0
	v_cndmask_b32_e32 v14, v1, v20, vcc
	v_cndmask_b32_e64 v15, v1, v21, s[4:5]
	v_pk_add_f32 v[18:19], v[16:17], v[14:15] neg_lo:[0,1] neg_hi:[0,1]
	v_pk_add_f32 v[14:15], v[16:17], v[14:15]
	v_cmp_o_f32_e64 s[4:5], v18, v18
	v_bfe_u32 v14, v18, 16, 1
	v_bfe_u32 v16, v15, 16, 1
	v_add3_u32 v16, v15, v16, s19
	v_add3_u32 v14, v18, v14, s19
	v_lshrrev_b32_e32 v14, 16, v14
	v_lshrrev_b32_e32 v16, 16, v16
	v_cmp_o_f32_e32 vcc, v15, v15
	v_cndmask_b32_e64 v14, v8, v14, s[4:5]
	s_nop 0
	v_cndmask_b32_e32 v15, v8, v16, vcc
	v_perm_b32 v14, v15, v14, s27
	global_store_dword v[12:13], v14, off
	global_store_dword v[10:11], v14, off
	s_andn2_b64 exec, exec, s[8:9]
	s_cbranch_execnz .LBB33_9
.LBB33_10:
	s_or_b64 exec, exec, s[34:35]
	v_cmp_gt_i32_e32 vcc, s18, v0
	s_and_saveexec_b64 s[4:5], vcc
	s_cbranch_execz .LBB33_13
; %bb.11:
	s_mul_i32 s3, s2, s11
	s_mul_hi_u32 s4, s2, s10
	s_add_i32 s3, s4, s3
	s_mul_i32 s2, s2, s10
	s_lshl_b64 s[2:3], s[2:3], 1
	s_add_u32 s2, s14, s2
	s_addc_u32 s3, s15, s3
	s_ashr_i32 s4, s16, 31
	s_mul_i32 s4, s6, s4
	s_add_i32 s4, s37, s4
	s_add_i32 s31, s4, s38
	s_lshl_b64 s[4:5], s[30:31], 1
	s_add_u32 s4, s20, s4
	s_addc_u32 s5, s21, s5
	s_ashr_i32 s6, s17, 31
	s_mul_i32 s33, s33, s6
	s_load_dword s8, s[0:1], 0x8c
	s_add_i32 s6, s36, s33
	s_add_i32 s27, s6, s7
	s_lshl_b64 s[0:1], s[26:27], 1
	s_add_u32 s0, s4, s0
	s_addc_u32 s1, s5, s1
	s_waitcnt lgkmcnt(0)
	s_and_b32 s6, s8, 0xffff
	s_mov_b64 s[4:5], 0
.LBB33_12:                              ; =>This Inner Loop Header: Depth=1
	v_ashrrev_i32_e32 v1, 31, v0
	v_lshlrev_b64 v[2:3], 1, v[0:1]
	v_lshl_add_u64 v[4:5], s[2:3], 0, v[2:3]
	global_load_ushort v1, v[4:5], off
	v_add_u32_e32 v0, s6, v0
	v_cmp_le_i32_e32 vcc, s18, v0
	v_lshl_add_u64 v[2:3], s[0:1], 0, v[2:3]
	s_or_b64 s[4:5], vcc, s[4:5]
	s_waitcnt vmcnt(0)
	global_store_short v[2:3], v1, off
	s_andn2_b64 exec, exec, s[4:5]
	s_cbranch_execnz .LBB33_12
.LBB33_13:
	s_endpgm
.LBB33_14:
                                        ; implicit-def: $sgpr6_sgpr7
	s_branch .LBB33_6
	.section	.rodata,"a",@progbits
	.p2align	6, 0x0
	.amdhsa_kernel _ZN4vllm38concat_and_cache_mla_rope_fused_kernelIN3c108BFloat16ENS1_4HalfELb0EttLNS_18Fp8KVCacheDataTypeE0EEEvPKlPT_S8_PKS7_PKT0_illlliPT3_S6_iiiiPKf
		.amdhsa_group_segment_fixed_size 0
		.amdhsa_private_segment_fixed_size 0
		.amdhsa_kernarg_size 384
		.amdhsa_user_sgpr_count 2
		.amdhsa_user_sgpr_dispatch_ptr 0
		.amdhsa_user_sgpr_queue_ptr 0
		.amdhsa_user_sgpr_kernarg_segment_ptr 1
		.amdhsa_user_sgpr_dispatch_id 0
		.amdhsa_user_sgpr_kernarg_preload_length 0
		.amdhsa_user_sgpr_kernarg_preload_offset 0
		.amdhsa_user_sgpr_private_segment_size 0
		.amdhsa_uses_dynamic_stack 0
		.amdhsa_enable_private_segment 0
		.amdhsa_system_sgpr_workgroup_id_x 1
		.amdhsa_system_sgpr_workgroup_id_y 0
		.amdhsa_system_sgpr_workgroup_id_z 0
		.amdhsa_system_sgpr_workgroup_info 0
		.amdhsa_system_vgpr_workitem_id 0
		.amdhsa_next_free_vgpr 22
		.amdhsa_next_free_sgpr 43
		.amdhsa_accum_offset 24
		.amdhsa_reserve_vcc 1
		.amdhsa_float_round_mode_32 0
		.amdhsa_float_round_mode_16_64 0
		.amdhsa_float_denorm_mode_32 3
		.amdhsa_float_denorm_mode_16_64 3
		.amdhsa_dx10_clamp 1
		.amdhsa_ieee_mode 1
		.amdhsa_fp16_overflow 0
		.amdhsa_tg_split 0
		.amdhsa_exception_fp_ieee_invalid_op 0
		.amdhsa_exception_fp_denorm_src 0
		.amdhsa_exception_fp_ieee_div_zero 0
		.amdhsa_exception_fp_ieee_overflow 0
		.amdhsa_exception_fp_ieee_underflow 0
		.amdhsa_exception_fp_ieee_inexact 0
		.amdhsa_exception_int_div_zero 0
	.end_amdhsa_kernel
	.section	.text._ZN4vllm38concat_and_cache_mla_rope_fused_kernelIN3c108BFloat16ENS1_4HalfELb0EttLNS_18Fp8KVCacheDataTypeE0EEEvPKlPT_S8_PKS7_PKT0_illlliPT3_S6_iiiiPKf,"axG",@progbits,_ZN4vllm38concat_and_cache_mla_rope_fused_kernelIN3c108BFloat16ENS1_4HalfELb0EttLNS_18Fp8KVCacheDataTypeE0EEEvPKlPT_S8_PKS7_PKT0_illlliPT3_S6_iiiiPKf,comdat
.Lfunc_end33:
	.size	_ZN4vllm38concat_and_cache_mla_rope_fused_kernelIN3c108BFloat16ENS1_4HalfELb0EttLNS_18Fp8KVCacheDataTypeE0EEEvPKlPT_S8_PKS7_PKT0_illlliPT3_S6_iiiiPKf, .Lfunc_end33-_ZN4vllm38concat_and_cache_mla_rope_fused_kernelIN3c108BFloat16ENS1_4HalfELb0EttLNS_18Fp8KVCacheDataTypeE0EEEvPKlPT_S8_PKS7_PKT0_illlliPT3_S6_iiiiPKf
                                        ; -- End function
	.section	.AMDGPU.csdata,"",@progbits
; Kernel info:
; codeLenInByte = 2580
; NumSgprs: 49
; NumVgprs: 22
; NumAgprs: 0
; TotalNumVgprs: 22
; ScratchSize: 0
; MemoryBound: 0
; FloatMode: 240
; IeeeMode: 1
; LDSByteSize: 0 bytes/workgroup (compile time only)
; SGPRBlocks: 6
; VGPRBlocks: 2
; NumSGPRsForWavesPerEU: 49
; NumVGPRsForWavesPerEU: 22
; AccumOffset: 24
; Occupancy: 8
; WaveLimiterHint : 1
; COMPUTE_PGM_RSRC2:SCRATCH_EN: 0
; COMPUTE_PGM_RSRC2:USER_SGPR: 2
; COMPUTE_PGM_RSRC2:TRAP_HANDLER: 0
; COMPUTE_PGM_RSRC2:TGID_X_EN: 1
; COMPUTE_PGM_RSRC2:TGID_Y_EN: 0
; COMPUTE_PGM_RSRC2:TGID_Z_EN: 0
; COMPUTE_PGM_RSRC2:TIDIG_COMP_CNT: 0
; COMPUTE_PGM_RSRC3_GFX90A:ACCUM_OFFSET: 5
; COMPUTE_PGM_RSRC3_GFX90A:TG_SPLIT: 0
	.section	.text._ZN4vllm38concat_and_cache_mla_rope_fused_kernelIN3c108BFloat16ES2_Lb1EttLNS_18Fp8KVCacheDataTypeE0EEEvPKlPT_S7_PKS6_PKT0_illlliPT3_S5_iiiiPKf,"axG",@progbits,_ZN4vllm38concat_and_cache_mla_rope_fused_kernelIN3c108BFloat16ES2_Lb1EttLNS_18Fp8KVCacheDataTypeE0EEEvPKlPT_S7_PKS6_PKT0_illlliPT3_S5_iiiiPKf,comdat
	.protected	_ZN4vllm38concat_and_cache_mla_rope_fused_kernelIN3c108BFloat16ES2_Lb1EttLNS_18Fp8KVCacheDataTypeE0EEEvPKlPT_S7_PKS6_PKT0_illlliPT3_S5_iiiiPKf ; -- Begin function _ZN4vllm38concat_and_cache_mla_rope_fused_kernelIN3c108BFloat16ES2_Lb1EttLNS_18Fp8KVCacheDataTypeE0EEEvPKlPT_S7_PKS6_PKT0_illlliPT3_S5_iiiiPKf
	.globl	_ZN4vllm38concat_and_cache_mla_rope_fused_kernelIN3c108BFloat16ES2_Lb1EttLNS_18Fp8KVCacheDataTypeE0EEEvPKlPT_S7_PKS6_PKT0_illlliPT3_S5_iiiiPKf
	.p2align	8
	.type	_ZN4vllm38concat_and_cache_mla_rope_fused_kernelIN3c108BFloat16ES2_Lb1EttLNS_18Fp8KVCacheDataTypeE0EEEvPKlPT_S7_PKS6_PKT0_illlliPT3_S5_iiiiPKf,@function
_ZN4vllm38concat_and_cache_mla_rope_fused_kernelIN3c108BFloat16ES2_Lb1EttLNS_18Fp8KVCacheDataTypeE0EEEvPKlPT_S7_PKS6_PKT0_illlliPT3_S5_iiiiPKf: ; @_ZN4vllm38concat_and_cache_mla_rope_fused_kernelIN3c108BFloat16ES2_Lb1EttLNS_18Fp8KVCacheDataTypeE0EEEvPKlPT_S7_PKS6_PKT0_illlliPT3_S5_iiiiPKf
; %bb.0:
	s_load_dwordx2 s[6:7], s[0:1], 0x60
	s_mov_b32 s3, 0
	s_lshl_b64 s[4:5], s[2:3], 3
	s_waitcnt lgkmcnt(0)
	s_add_u32 s6, s6, s4
	s_addc_u32 s7, s7, s5
	s_load_dwordx2 s[30:31], s[6:7], 0x0
	s_waitcnt lgkmcnt(0)
	v_cmp_lt_i64_e64 s[6:7], s[30:31], 0
	s_and_b64 vcc, exec, s[6:7]
	s_cbranch_vccnz .LBB34_13
; %bb.1:
	s_load_dword s3, s[0:1], 0x28
	s_load_dwordx2 s[6:7], s[0:1], 0x0
	s_load_dwordx4 s[16:19], s[0:1], 0x10
	s_waitcnt lgkmcnt(0)
	s_ashr_i32 s22, s3, 31
	s_add_u32 s4, s6, s4
	s_addc_u32 s5, s7, s5
	s_load_dwordx2 s[6:7], s[4:5], 0x0
	s_load_dwordx2 s[26:27], s[0:1], 0x20
	s_load_dwordx8 s[8:15], s[0:1], 0x30
	s_load_dwordx2 s[20:21], s[0:1], 0x58
	s_load_dword s25, s[0:1], 0x50
	s_waitcnt lgkmcnt(0)
	s_mul_i32 s4, s6, s22
	s_mul_hi_u32 s5, s6, s3
	s_mul_i32 s7, s7, s3
	s_add_i32 s4, s5, s4
	s_add_i32 s5, s4, s7
	s_mul_i32 s4, s6, s3
	s_lshl_b64 s[28:29], s[4:5], 1
	s_add_u32 s22, s26, s28
	s_addc_u32 s23, s27, s29
	s_lshr_b32 s4, s3, 31
	s_add_i32 s3, s3, s4
	s_ashr_i32 s24, s3, 1
	s_mul_i32 s3, s24, s25
	v_cmp_gt_i32_e32 vcc, s3, v0
	s_and_saveexec_b64 s[34:35], vcc
	s_cbranch_execz .LBB34_4
; %bb.2:
	s_load_dwordx2 s[4:5], s[0:1], 0x8
	s_mul_i32 s6, s2, s9
	s_mul_hi_u32 s7, s2, s8
	s_add_i32 s7, s7, s6
	s_mul_i32 s6, s2, s8
	s_load_dword s8, s[0:1], 0x8c
	s_ashr_i32 s25, s24, 31
	s_lshl_b64 s[6:7], s[6:7], 1
	s_waitcnt lgkmcnt(0)
	s_add_u32 s36, s4, s6
	s_addc_u32 s37, s5, s7
	s_abs_i32 s33, s24
	v_cvt_f32_u32_e32 v1, s33
	s_sub_i32 s4, 0, s33
	s_mov_b64 s[38:39], 0
	s_and_b32 s42, s8, 0xffff
	v_rcp_iflag_f32_e32 v1, v1
	s_sub_i32 s43, 0, s24
	s_lshl_b64 s[40:41], s[24:25], 1
	s_movk_i32 s44, 0x7fff
	v_mul_f32_e32 v1, 0x4f7ffffe, v1
	v_cvt_u32_f32_e32 v1, v1
	v_mov_b32_e32 v3, 0x7fc00000
	v_mov_b32_e32 v4, 0x7fc0
	v_mul_lo_u32 v2, s4, v1
	v_mul_hi_u32 v2, v1, v2
	v_add_u32_e32 v1, v1, v2
	v_mov_b32_e32 v2, v0
.LBB34_3:                               ; =>This Inner Loop Header: Depth=1
	v_sub_u32_e32 v6, 0, v2
	v_max_i32_e32 v6, v2, v6
	v_mul_hi_u32 v7, v6, v1
	v_mul_lo_u32 v8, v7, s33
	v_sub_u32_e32 v6, v6, v8
	v_add_u32_e32 v9, 1, v7
	v_cmp_le_u32_e32 vcc, s33, v6
	v_subrev_u32_e32 v8, s33, v6
	v_ashrrev_i32_e32 v5, 31, v2
	v_cndmask_b32_e32 v7, v7, v9, vcc
	v_cndmask_b32_e32 v6, v6, v8, vcc
	v_add_u32_e32 v8, 1, v7
	v_cmp_le_u32_e32 vcc, s33, v6
	v_xor_b32_e32 v5, s25, v5
	s_nop 0
	v_cndmask_b32_e32 v6, v7, v8, vcc
	v_xor_b32_e32 v6, v6, v5
	v_sub_u32_e32 v5, v6, v5
	v_mad_u64_u32 v[6:7], s[4:5], s43, v5, v[2:3]
	v_ashrrev_i32_e32 v10, 31, v5
	v_ashrrev_i32_e32 v7, 31, v6
	v_mul_lo_u32 v11, v5, s11
	v_mad_u64_u32 v[8:9], s[4:5], v5, s10, 0
	v_mul_lo_u32 v5, v10, s10
	v_lshlrev_b64 v[6:7], 1, v[6:7]
	v_add3_u32 v9, v9, v11, v5
	v_lshl_add_u64 v[10:11], s[22:23], 0, v[6:7]
	v_lshl_add_u64 v[8:9], v[8:9], 1, s[36:37]
	;; [unrolled: 1-line block ×4, first 2 shown]
	global_load_ushort v5, v[12:13], off
	global_load_ushort v14, v[10:11], off
	v_lshl_add_u64 v[8:9], v[6:7], 0, s[40:41]
	global_load_ushort v12, v[6:7], off
	global_load_ushort v13, v[8:9], off
	v_add_u32_e32 v2, s42, v2
	v_cmp_le_i32_e32 vcc, s3, v2
	s_or_b64 s[38:39], vcc, s[38:39]
	s_waitcnt vmcnt(3)
	v_lshlrev_b32_e32 v10, 16, v5
	s_waitcnt vmcnt(2)
	v_lshlrev_b32_e32 v11, 16, v14
	;; [unrolled: 2-line block ×4, first 2 shown]
	v_mov_b32_e32 v14, v11
	v_mov_b32_e32 v15, v10
	v_pk_mul_f32 v[14:15], v[14:15], v[12:13]
	v_pk_mul_f32 v[10:11], v[10:11], v[12:13]
	v_bfe_u32 v5, v14, 16, 1
	v_bfe_u32 v12, v15, 16, 1
	;; [unrolled: 1-line block ×4, first 2 shown]
	v_add3_u32 v12, v15, v12, s44
	v_add3_u32 v5, v14, v5, s44
	;; [unrolled: 1-line block ×4, first 2 shown]
	v_and_b32_e32 v5, 0xffff0000, v5
	v_and_b32_e32 v12, 0xffff0000, v12
	v_cmp_o_f32_e32 vcc, v14, v14
	v_cmp_o_f32_e64 s[8:9], v15, v15
	v_and_b32_e32 v13, 0xffff0000, v13
	v_and_b32_e32 v14, 0xffff0000, v16
	v_cmp_o_f32_e64 s[4:5], v11, v11
	v_cmp_o_f32_e64 s[6:7], v10, v10
	v_cndmask_b32_e64 v10, v3, v12, s[8:9]
	v_cndmask_b32_e32 v5, v3, v5, vcc
	v_cndmask_b32_e64 v11, v3, v14, s[4:5]
	v_cndmask_b32_e64 v12, v3, v13, s[6:7]
	v_sub_f32_e32 v5, v5, v10
	v_add_f32_e32 v10, v12, v11
	v_bfe_u32 v11, v5, 16, 1
	v_bfe_u32 v12, v10, 16, 1
	v_add3_u32 v11, v5, v11, s44
	v_add3_u32 v12, v10, v12, s44
	v_lshrrev_b32_e32 v11, 16, v11
	v_cmp_o_f32_e64 s[4:5], v5, v5
	v_lshrrev_b32_e32 v12, 16, v12
	v_cmp_o_f32_e32 vcc, v10, v10
	v_cndmask_b32_e64 v5, v4, v11, s[4:5]
	s_nop 0
	v_cndmask_b32_e32 v10, v4, v12, vcc
	global_store_short v[6:7], v5, off
	global_store_short v[8:9], v10, off
	s_andn2_b64 exec, exec, s[38:39]
	s_cbranch_execnz .LBB34_3
.LBB34_4:
	s_or_b64 exec, exec, s[34:35]
	s_load_dwordx4 s[8:11], s[0:1], 0x68
	s_waitcnt lgkmcnt(0)
	s_ashr_i32 s7, s11, 31
	s_mov_b32 s6, s11
	s_or_b64 s[4:5], s[30:31], s[6:7]
	s_mov_b32 s4, 0
	s_cmp_lg_u64 s[4:5], 0
	s_cbranch_scc0 .LBB34_14
; %bb.5:
	s_add_u32 s4, s6, s7
	s_mov_b32 s34, s7
	s_mov_b32 s35, s7
	s_addc_u32 s5, s7, s7
	s_xor_b64 s[38:39], s[4:5], s[34:35]
	v_cvt_f32_u32_e32 v1, s38
	v_cvt_f32_u32_e32 v2, s39
	s_sub_u32 s3, 0, s38
	s_subb_u32 s4, 0, s39
	v_fmamk_f32 v1, v2, 0x4f800000, v1
	v_rcp_f32_e32 v1, v1
	s_nop 0
	v_mul_f32_e32 v1, 0x5f7ffffc, v1
	v_mul_f32_e32 v2, 0x2f800000, v1
	v_trunc_f32_e32 v2, v2
	v_fmamk_f32 v1, v2, 0xcf800000, v1
	v_cvt_u32_f32_e32 v2, v2
	v_cvt_u32_f32_e32 v1, v1
	v_readfirstlane_b32 s5, v2
	v_readfirstlane_b32 s11, v1
	s_mul_i32 s25, s3, s5
	s_mul_hi_u32 s40, s3, s11
	s_mul_i32 s33, s4, s11
	s_add_i32 s25, s40, s25
	s_add_i32 s25, s25, s33
	s_mul_i32 s41, s3, s11
	s_mul_hi_u32 s33, s11, s25
	s_mul_i32 s40, s11, s25
	s_mul_hi_u32 s11, s11, s41
	s_add_u32 s11, s11, s40
	s_addc_u32 s33, 0, s33
	s_mul_hi_u32 s42, s5, s41
	s_mul_i32 s41, s5, s41
	s_add_u32 s11, s11, s41
	s_mul_hi_u32 s40, s5, s25
	s_addc_u32 s11, s33, s42
	s_addc_u32 s33, s40, 0
	s_mul_i32 s25, s5, s25
	s_add_u32 s11, s11, s25
	s_addc_u32 s25, 0, s33
	v_add_co_u32_e32 v1, vcc, s11, v1
	s_cmp_lg_u64 vcc, 0
	s_addc_u32 s5, s5, s25
	v_readfirstlane_b32 s25, v1
	s_mul_i32 s11, s3, s5
	s_mul_hi_u32 s33, s3, s25
	s_add_i32 s11, s33, s11
	s_mul_i32 s4, s4, s25
	s_add_i32 s11, s11, s4
	s_mul_i32 s3, s3, s25
	s_mul_hi_u32 s33, s5, s3
	s_mul_i32 s40, s5, s3
	s_mul_i32 s42, s25, s11
	s_mul_hi_u32 s3, s25, s3
	s_mul_hi_u32 s41, s25, s11
	s_add_u32 s3, s3, s42
	s_addc_u32 s25, 0, s41
	s_add_u32 s3, s3, s40
	s_mul_hi_u32 s4, s5, s11
	s_addc_u32 s3, s25, s33
	s_addc_u32 s4, s4, 0
	s_mul_i32 s11, s5, s11
	s_add_u32 s3, s3, s11
	s_addc_u32 s4, 0, s4
	v_add_co_u32_e32 v1, vcc, s3, v1
	s_cmp_lg_u64 vcc, 0
	s_addc_u32 s3, s5, s4
	s_ashr_i32 s40, s31, 31
	s_add_u32 s4, s30, s40
	s_mov_b32 s41, s40
	s_addc_u32 s5, s31, s40
	s_xor_b64 s[42:43], s[4:5], s[40:41]
	v_readfirstlane_b32 s11, v1
	s_mul_i32 s5, s42, s3
	s_mul_hi_u32 s25, s42, s11
	s_mul_hi_u32 s4, s42, s3
	s_add_u32 s5, s25, s5
	s_addc_u32 s4, 0, s4
	s_mul_hi_u32 s33, s43, s11
	s_mul_i32 s11, s43, s11
	s_add_u32 s5, s5, s11
	s_mul_hi_u32 s25, s43, s3
	s_addc_u32 s4, s4, s33
	s_addc_u32 s5, s25, 0
	s_mul_i32 s3, s43, s3
	s_add_u32 s3, s4, s3
	s_addc_u32 s11, 0, s5
	s_mul_i32 s4, s38, s11
	s_mul_hi_u32 s5, s38, s3
	s_add_i32 s4, s5, s4
	s_mul_i32 s5, s39, s3
	s_add_i32 s25, s4, s5
	s_mul_i32 s5, s38, s3
	v_mov_b32_e32 v1, s5
	s_sub_i32 s4, s43, s25
	v_sub_co_u32_e32 v1, vcc, s42, v1
	s_cmp_lg_u64 vcc, 0
	s_subb_u32 s33, s4, s39
	v_subrev_co_u32_e64 v2, s[4:5], s38, v1
	s_cmp_lg_u64 s[4:5], 0
	s_subb_u32 s4, s33, 0
	s_cmp_ge_u32 s4, s39
	v_readfirstlane_b32 s33, v2
	s_cselect_b32 s5, -1, 0
	s_cmp_ge_u32 s33, s38
	s_cselect_b32 s33, -1, 0
	s_cmp_eq_u32 s4, s39
	s_cselect_b32 s4, s33, s5
	s_add_u32 s5, s3, 1
	s_addc_u32 s33, s11, 0
	s_add_u32 s42, s3, 2
	s_addc_u32 s44, s11, 0
	s_cmp_lg_u32 s4, 0
	s_cselect_b32 s4, s42, s5
	s_cselect_b32 s5, s44, s33
	s_cmp_lg_u64 vcc, 0
	s_subb_u32 s25, s43, s25
	s_cmp_ge_u32 s25, s39
	v_readfirstlane_b32 s42, v1
	s_cselect_b32 s33, -1, 0
	s_cmp_ge_u32 s42, s38
	s_cselect_b32 s38, -1, 0
	s_cmp_eq_u32 s25, s39
	s_cselect_b32 s25, s38, s33
	s_cmp_lg_u32 s25, 0
	s_cselect_b32 s5, s5, s11
	s_cselect_b32 s4, s4, s3
	s_xor_b64 s[34:35], s[40:41], s[34:35]
	s_xor_b64 s[4:5], s[4:5], s[34:35]
	s_sub_u32 s34, s4, s34
	s_subb_u32 s35, s5, s35
	s_cbranch_execnz .LBB34_7
.LBB34_6:
	v_cvt_f32_u32_e32 v1, s6
	s_sub_i32 s3, 0, s6
	s_mov_b32 s35, 0
	v_rcp_iflag_f32_e32 v1, v1
	s_nop 0
	v_mul_f32_e32 v1, 0x4f7ffffe, v1
	v_cvt_u32_f32_e32 v1, v1
	s_nop 0
	v_readfirstlane_b32 s4, v1
	s_mul_i32 s3, s3, s4
	s_mul_hi_u32 s3, s4, s3
	s_add_i32 s4, s4, s3
	s_mul_hi_u32 s3, s30, s4
	s_mul_i32 s5, s3, s6
	s_sub_i32 s5, s30, s5
	s_add_i32 s4, s3, 1
	s_sub_i32 s11, s5, s6
	s_cmp_ge_u32 s5, s6
	s_cselect_b32 s3, s4, s3
	s_cselect_b32 s5, s11, s5
	s_add_i32 s4, s3, 1
	s_cmp_ge_u32 s5, s6
	s_cselect_b32 s34, s4, s3
.LBB34_7:
	s_mul_i32 s3, s34, s7
	s_mul_hi_u32 s4, s34, s6
	s_add_i32 s3, s4, s3
	s_mul_i32 s4, s35, s6
	s_add_i32 s3, s3, s4
	s_mul_i32 s4, s34, s6
	s_sub_u32 s44, s30, s4
	s_subb_u32 s33, s31, s3
	v_cmp_gt_i32_e32 vcc, s24, v0
	s_mul_hi_u32 s45, s34, s8
	s_mul_i32 s46, s35, s8
	s_mul_i32 s36, s34, s8
	s_mul_hi_u32 s35, s44, s9
	s_mul_i32 s33, s33, s9
	s_mul_i32 s30, s44, s9
	s_and_saveexec_b64 s[38:39], vcc
	s_cbranch_execz .LBB34_10
; %bb.8:
	s_mul_i32 s3, s2, s13
	s_mul_hi_u32 s4, s2, s12
	s_add_i32 s5, s4, s3
	s_mul_i32 s4, s2, s12
	s_ashr_i32 s25, s24, 31
	s_lshl_b64 s[4:5], s[4:5], 1
	s_add_u32 s12, s16, s4
	s_addc_u32 s13, s17, s5
	s_ashr_i32 s3, s8, 31
	s_mul_i32 s3, s34, s3
	s_add_i32 s3, s45, s3
	s_add_i32 s37, s3, s46
	s_ashr_i32 s3, s9, 31
	s_mul_i32 s3, s44, s3
	s_add_i32 s3, s35, s3
	s_add_i32 s31, s3, s33
	s_lshl_b64 s[6:7], s[36:37], 1
	s_lshl_b64 s[40:41], s[30:31], 1
	s_add_u32 s31, s6, s40
	s_addc_u32 s37, s7, s41
	s_load_dword s42, s[0:1], 0x8c
	s_add_u32 s3, s31, s20
	s_addc_u32 s41, s37, s21
	s_ashr_i32 s11, s10, 31
	s_lshl_b64 s[6:7], s[10:11], 1
	s_add_u32 s40, s3, s6
	s_addc_u32 s41, s41, s7
	s_waitcnt lgkmcnt(0)
	s_and_b32 s3, s42, 0xffff
	s_lshl_b32 s11, s3, 1
	s_lshl_b64 s[42:43], s[24:25], 1
	s_add_u32 s25, s28, s42
	s_addc_u32 s28, s29, s43
	s_add_u32 s26, s26, s25
	s_addc_u32 s27, s27, s28
	;; [unrolled: 2-line block ×6, first 2 shown]
	s_add_u32 s28, s20, s4
	v_lshlrev_b32_e32 v2, 1, v0
	v_mov_b32_e32 v3, 0
	s_addc_u32 s29, s21, s5
	s_mov_b64 s[42:43], 0
	s_movk_i32 s25, 0x7fff
	v_mov_b32_e32 v1, 0x7fc00000
	v_mov_b32_e32 v8, 0x7fc0
	;; [unrolled: 1-line block ×3, first 2 shown]
.LBB34_9:                               ; =>This Inner Loop Header: Depth=1
	v_lshl_add_u64 v[6:7], s[16:17], 0, v[2:3]
	v_lshl_add_u64 v[10:11], s[22:23], 0, v[2:3]
	;; [unrolled: 1-line block ×4, first 2 shown]
	global_load_ushort v14, v[6:7], off
	global_load_ushort v16, v[12:13], off
	;; [unrolled: 1-line block ×4, first 2 shown]
	s_add_u32 s22, s22, s11
	s_addc_u32 s23, s23, 0
	s_add_u32 s26, s26, s11
	s_addc_u32 s27, s27, 0
	;; [unrolled: 2-line block ×4, first 2 shown]
	v_lshl_add_u64 v[12:13], s[28:29], 0, v[2:3]
	s_add_u32 s28, s28, s11
	s_addc_u32 s29, s29, 0
	v_lshl_add_u64 v[10:11], s[40:41], 0, v[2:3]
	v_add_u32_e32 v9, s3, v9
	s_add_u32 s40, s40, s11
	v_cmp_le_i32_e32 vcc, s24, v9
	s_addc_u32 s41, s41, 0
	s_or_b64 s[42:43], vcc, s[42:43]
	s_waitcnt vmcnt(3)
	v_lshlrev_b32_e32 v15, 16, v14
	s_waitcnt vmcnt(2)
	v_lshlrev_b32_e32 v16, 16, v16
	;; [unrolled: 2-line block ×4, first 2 shown]
	v_mov_b32_e32 v18, v17
	v_mov_b32_e32 v19, v16
	v_pk_mul_f32 v[16:17], v[16:17], v[14:15]
	v_pk_mul_f32 v[14:15], v[18:19], v[14:15]
	v_bfe_u32 v18, v16, 16, 1
	v_bfe_u32 v19, v17, 16, 1
	;; [unrolled: 1-line block ×4, first 2 shown]
	v_add3_u32 v19, v17, v19, s25
	v_add3_u32 v18, v16, v18, s25
	;; [unrolled: 1-line block ×4, first 2 shown]
	v_and_b32_e32 v18, 0xffff0000, v18
	v_and_b32_e32 v19, 0xffff0000, v19
	v_cmp_o_f32_e32 vcc, v16, v16
	v_cmp_o_f32_e64 s[4:5], v17, v17
	v_and_b32_e32 v16, 0xffff0000, v20
	v_and_b32_e32 v17, 0xffff0000, v21
	v_cmp_o_f32_e64 s[6:7], v14, v14
	v_cndmask_b32_e64 v14, v1, v19, s[4:5]
	v_cndmask_b32_e32 v18, v1, v18, vcc
	v_cmp_o_f32_e32 vcc, v15, v15
	v_cndmask_b32_e64 v16, v1, v16, s[6:7]
	v_add_f32_e32 v14, v18, v14
	v_cndmask_b32_e32 v15, v1, v17, vcc
	v_sub_f32_e32 v15, v16, v15
	v_bfe_u32 v16, v14, 16, 1
	v_bfe_u32 v17, v15, 16, 1
	v_add3_u32 v16, v14, v16, s25
	v_add3_u32 v17, v15, v17, s25
	v_lshrrev_b32_e32 v16, 16, v16
	v_cmp_o_f32_e32 vcc, v14, v14
	v_lshrrev_b32_e32 v14, 16, v17
	s_nop 0
	v_cndmask_b32_e32 v16, v8, v16, vcc
	v_cmp_o_f32_e32 vcc, v15, v15
	s_nop 1
	v_cndmask_b32_e32 v14, v8, v14, vcc
	global_store_short v[4:5], v14, off
	global_store_short v[6:7], v16, off
	;; [unrolled: 1-line block ×4, first 2 shown]
	s_andn2_b64 exec, exec, s[42:43]
	s_cbranch_execnz .LBB34_9
.LBB34_10:
	s_or_b64 exec, exec, s[38:39]
	v_cmp_gt_i32_e32 vcc, s10, v0
	s_and_saveexec_b64 s[4:5], vcc
	s_cbranch_execz .LBB34_13
; %bb.11:
	s_mul_i32 s3, s2, s15
	s_mul_hi_u32 s4, s2, s14
	s_add_i32 s3, s4, s3
	s_mul_i32 s2, s2, s14
	s_lshl_b64 s[2:3], s[2:3], 1
	s_add_u32 s2, s18, s2
	s_addc_u32 s3, s19, s3
	s_ashr_i32 s4, s8, 31
	s_mul_i32 s4, s34, s4
	s_add_i32 s4, s45, s4
	s_add_i32 s37, s4, s46
	s_lshl_b64 s[4:5], s[36:37], 1
	s_add_u32 s4, s20, s4
	s_addc_u32 s5, s21, s5
	s_ashr_i32 s6, s9, 31
	s_mul_i32 s44, s44, s6
	s_load_dword s7, s[0:1], 0x8c
	s_add_i32 s6, s35, s44
	s_add_i32 s31, s6, s33
	s_lshl_b64 s[0:1], s[30:31], 1
	s_add_u32 s0, s4, s0
	s_addc_u32 s1, s5, s1
	s_waitcnt lgkmcnt(0)
	s_and_b32 s6, s7, 0xffff
	s_mov_b64 s[4:5], 0
.LBB34_12:                              ; =>This Inner Loop Header: Depth=1
	v_ashrrev_i32_e32 v1, 31, v0
	v_lshlrev_b64 v[2:3], 1, v[0:1]
	v_lshl_add_u64 v[4:5], s[2:3], 0, v[2:3]
	global_load_ushort v1, v[4:5], off
	v_add_u32_e32 v0, s6, v0
	v_cmp_le_i32_e32 vcc, s10, v0
	v_lshl_add_u64 v[2:3], s[0:1], 0, v[2:3]
	s_or_b64 s[4:5], vcc, s[4:5]
	s_waitcnt vmcnt(0)
	global_store_short v[2:3], v1, off
	s_andn2_b64 exec, exec, s[4:5]
	s_cbranch_execnz .LBB34_12
.LBB34_13:
	s_endpgm
.LBB34_14:
                                        ; implicit-def: $sgpr34_sgpr35
	s_branch .LBB34_6
	.section	.rodata,"a",@progbits
	.p2align	6, 0x0
	.amdhsa_kernel _ZN4vllm38concat_and_cache_mla_rope_fused_kernelIN3c108BFloat16ES2_Lb1EttLNS_18Fp8KVCacheDataTypeE0EEEvPKlPT_S7_PKS6_PKT0_illlliPT3_S5_iiiiPKf
		.amdhsa_group_segment_fixed_size 0
		.amdhsa_private_segment_fixed_size 0
		.amdhsa_kernarg_size 384
		.amdhsa_user_sgpr_count 2
		.amdhsa_user_sgpr_dispatch_ptr 0
		.amdhsa_user_sgpr_queue_ptr 0
		.amdhsa_user_sgpr_kernarg_segment_ptr 1
		.amdhsa_user_sgpr_dispatch_id 0
		.amdhsa_user_sgpr_kernarg_preload_length 0
		.amdhsa_user_sgpr_kernarg_preload_offset 0
		.amdhsa_user_sgpr_private_segment_size 0
		.amdhsa_uses_dynamic_stack 0
		.amdhsa_enable_private_segment 0
		.amdhsa_system_sgpr_workgroup_id_x 1
		.amdhsa_system_sgpr_workgroup_id_y 0
		.amdhsa_system_sgpr_workgroup_id_z 0
		.amdhsa_system_sgpr_workgroup_info 0
		.amdhsa_system_vgpr_workitem_id 0
		.amdhsa_next_free_vgpr 22
		.amdhsa_next_free_sgpr 47
		.amdhsa_accum_offset 24
		.amdhsa_reserve_vcc 1
		.amdhsa_float_round_mode_32 0
		.amdhsa_float_round_mode_16_64 0
		.amdhsa_float_denorm_mode_32 3
		.amdhsa_float_denorm_mode_16_64 3
		.amdhsa_dx10_clamp 1
		.amdhsa_ieee_mode 1
		.amdhsa_fp16_overflow 0
		.amdhsa_tg_split 0
		.amdhsa_exception_fp_ieee_invalid_op 0
		.amdhsa_exception_fp_denorm_src 0
		.amdhsa_exception_fp_ieee_div_zero 0
		.amdhsa_exception_fp_ieee_overflow 0
		.amdhsa_exception_fp_ieee_underflow 0
		.amdhsa_exception_fp_ieee_inexact 0
		.amdhsa_exception_int_div_zero 0
	.end_amdhsa_kernel
	.section	.text._ZN4vllm38concat_and_cache_mla_rope_fused_kernelIN3c108BFloat16ES2_Lb1EttLNS_18Fp8KVCacheDataTypeE0EEEvPKlPT_S7_PKS6_PKT0_illlliPT3_S5_iiiiPKf,"axG",@progbits,_ZN4vllm38concat_and_cache_mla_rope_fused_kernelIN3c108BFloat16ES2_Lb1EttLNS_18Fp8KVCacheDataTypeE0EEEvPKlPT_S7_PKS6_PKT0_illlliPT3_S5_iiiiPKf,comdat
.Lfunc_end34:
	.size	_ZN4vllm38concat_and_cache_mla_rope_fused_kernelIN3c108BFloat16ES2_Lb1EttLNS_18Fp8KVCacheDataTypeE0EEEvPKlPT_S7_PKS6_PKT0_illlliPT3_S5_iiiiPKf, .Lfunc_end34-_ZN4vllm38concat_and_cache_mla_rope_fused_kernelIN3c108BFloat16ES2_Lb1EttLNS_18Fp8KVCacheDataTypeE0EEEvPKlPT_S7_PKS6_PKT0_illlliPT3_S5_iiiiPKf
                                        ; -- End function
	.section	.AMDGPU.csdata,"",@progbits
; Kernel info:
; codeLenInByte = 2504
; NumSgprs: 53
; NumVgprs: 22
; NumAgprs: 0
; TotalNumVgprs: 22
; ScratchSize: 0
; MemoryBound: 0
; FloatMode: 240
; IeeeMode: 1
; LDSByteSize: 0 bytes/workgroup (compile time only)
; SGPRBlocks: 6
; VGPRBlocks: 2
; NumSGPRsForWavesPerEU: 53
; NumVGPRsForWavesPerEU: 22
; AccumOffset: 24
; Occupancy: 8
; WaveLimiterHint : 1
; COMPUTE_PGM_RSRC2:SCRATCH_EN: 0
; COMPUTE_PGM_RSRC2:USER_SGPR: 2
; COMPUTE_PGM_RSRC2:TRAP_HANDLER: 0
; COMPUTE_PGM_RSRC2:TGID_X_EN: 1
; COMPUTE_PGM_RSRC2:TGID_Y_EN: 0
; COMPUTE_PGM_RSRC2:TGID_Z_EN: 0
; COMPUTE_PGM_RSRC2:TIDIG_COMP_CNT: 0
; COMPUTE_PGM_RSRC3_GFX90A:ACCUM_OFFSET: 5
; COMPUTE_PGM_RSRC3_GFX90A:TG_SPLIT: 0
	.section	.text._ZN4vllm38concat_and_cache_mla_rope_fused_kernelIN3c108BFloat16ES2_Lb0EttLNS_18Fp8KVCacheDataTypeE0EEEvPKlPT_S7_PKS6_PKT0_illlliPT3_S5_iiiiPKf,"axG",@progbits,_ZN4vllm38concat_and_cache_mla_rope_fused_kernelIN3c108BFloat16ES2_Lb0EttLNS_18Fp8KVCacheDataTypeE0EEEvPKlPT_S7_PKS6_PKT0_illlliPT3_S5_iiiiPKf,comdat
	.protected	_ZN4vllm38concat_and_cache_mla_rope_fused_kernelIN3c108BFloat16ES2_Lb0EttLNS_18Fp8KVCacheDataTypeE0EEEvPKlPT_S7_PKS6_PKT0_illlliPT3_S5_iiiiPKf ; -- Begin function _ZN4vllm38concat_and_cache_mla_rope_fused_kernelIN3c108BFloat16ES2_Lb0EttLNS_18Fp8KVCacheDataTypeE0EEEvPKlPT_S7_PKS6_PKT0_illlliPT3_S5_iiiiPKf
	.globl	_ZN4vllm38concat_and_cache_mla_rope_fused_kernelIN3c108BFloat16ES2_Lb0EttLNS_18Fp8KVCacheDataTypeE0EEEvPKlPT_S7_PKS6_PKT0_illlliPT3_S5_iiiiPKf
	.p2align	8
	.type	_ZN4vllm38concat_and_cache_mla_rope_fused_kernelIN3c108BFloat16ES2_Lb0EttLNS_18Fp8KVCacheDataTypeE0EEEvPKlPT_S7_PKS6_PKT0_illlliPT3_S5_iiiiPKf,@function
_ZN4vllm38concat_and_cache_mla_rope_fused_kernelIN3c108BFloat16ES2_Lb0EttLNS_18Fp8KVCacheDataTypeE0EEEvPKlPT_S7_PKS6_PKT0_illlliPT3_S5_iiiiPKf: ; @_ZN4vllm38concat_and_cache_mla_rope_fused_kernelIN3c108BFloat16ES2_Lb0EttLNS_18Fp8KVCacheDataTypeE0EEEvPKlPT_S7_PKS6_PKT0_illlliPT3_S5_iiiiPKf
; %bb.0:
	s_load_dwordx2 s[6:7], s[0:1], 0x60
	s_mov_b32 s3, 0
	s_lshl_b64 s[4:5], s[2:3], 3
	s_waitcnt lgkmcnt(0)
	s_add_u32 s6, s6, s4
	s_addc_u32 s7, s7, s5
	s_load_dwordx2 s[26:27], s[6:7], 0x0
	s_waitcnt lgkmcnt(0)
	v_cmp_lt_i64_e64 s[6:7], s[26:27], 0
	s_and_b64 vcc, exec, s[6:7]
	s_cbranch_vccnz .LBB35_13
; %bb.1:
	s_load_dword s3, s[0:1], 0x28
	s_load_dwordx2 s[6:7], s[0:1], 0x0
	s_load_dwordx4 s[12:15], s[0:1], 0x10
	v_lshlrev_b32_e32 v2, 1, v0
	s_waitcnt lgkmcnt(0)
	s_ashr_i32 s22, s3, 31
	s_add_u32 s16, s6, s4
	s_addc_u32 s17, s7, s5
	s_load_dwordx2 s[18:19], s[16:17], 0x0
	s_load_dwordx2 s[24:25], s[0:1], 0x20
	s_load_dwordx8 s[4:11], s[0:1], 0x30
	s_load_dwordx2 s[20:21], s[0:1], 0x58
	s_load_dword s23, s[0:1], 0x50
	s_waitcnt lgkmcnt(0)
	s_mul_i32 s16, s18, s22
	s_mul_hi_u32 s17, s18, s3
	s_mul_i32 s19, s19, s3
	s_add_i32 s16, s17, s16
	s_add_i32 s29, s16, s19
	s_lshr_b32 s16, s3, 31
	s_mul_i32 s28, s18, s3
	s_add_i32 s3, s3, s16
	s_ashr_i32 s22, s3, 1
	s_mul_i32 s3, s22, s23
	v_cmp_gt_i32_e32 vcc, s3, v0
	s_and_saveexec_b64 s[16:17], vcc
	s_cbranch_execz .LBB35_4
; %bb.2:
	s_load_dwordx2 s[30:31], s[0:1], 0x8
	s_load_dword s34, s[0:1], 0x8c
	s_lshl_b64 s[18:19], s[28:29], 1
	s_add_u32 s18, s24, s18
	s_mul_i32 s5, s2, s5
	s_mul_hi_u32 s33, s2, s4
	s_addc_u32 s19, s25, s19
	s_add_i32 s5, s33, s5
	s_mul_i32 s4, s2, s4
	s_ashr_i32 s23, s22, 31
	s_lshl_b64 s[4:5], s[4:5], 1
	s_waitcnt lgkmcnt(0)
	s_add_u32 s30, s30, s4
	s_addc_u32 s31, s31, s5
	s_abs_i32 s33, s22
	v_cvt_f32_u32_e32 v1, s33
	s_sub_i32 s4, 0, s33
	s_and_b32 s36, s34, 0xffff
	s_sub_i32 s37, 0, s22
	v_rcp_iflag_f32_e32 v1, v1
	s_lshl_b32 s39, s36, 1
	s_mov_b64 s[34:35], 0
	s_movk_i32 s40, 0x7fff
	v_mul_f32_e32 v1, 0x4f7ffffe, v1
	v_cvt_u32_f32_e32 v1, v1
	v_mov_b32_e32 v5, 0x7fc0
	s_mov_b32 s41, 0x5040100
	v_mov_b32_e32 v4, v2
	v_mul_lo_u32 v3, s4, v1
	v_mul_hi_u32 v3, v1, v3
	s_lshl_b32 s4, s22, 1
	v_add_u32_e32 v1, v1, v3
	s_sub_i32 s38, 0, s4
	v_mov_b32_e32 v3, 0x7fc00000
	v_mov_b32_e32 v6, v0
.LBB35_3:                               ; =>This Inner Loop Header: Depth=1
	v_sub_u32_e32 v8, 0, v6
	v_max_i32_e32 v8, v6, v8
	v_mul_hi_u32 v9, v8, v1
	v_mul_lo_u32 v10, v9, s33
	v_sub_u32_e32 v8, v8, v10
	v_add_u32_e32 v11, 1, v9
	v_cmp_le_u32_e32 vcc, s33, v8
	v_subrev_u32_e32 v10, s33, v8
	v_ashrrev_i32_e32 v7, 31, v6
	v_cndmask_b32_e32 v9, v9, v11, vcc
	v_cndmask_b32_e32 v8, v8, v10, vcc
	v_add_u32_e32 v10, 1, v9
	v_cmp_le_u32_e32 vcc, s33, v8
	v_xor_b32_e32 v7, s23, v7
	s_nop 0
	v_cndmask_b32_e32 v8, v9, v10, vcc
	v_xor_b32_e32 v8, v8, v7
	v_sub_u32_e32 v7, v8, v7
	v_ashrrev_i32_e32 v14, 31, v7
	v_mad_u64_u32 v[8:9], s[4:5], s37, v7, v[6:7]
	v_mul_lo_u32 v15, v7, s7
	v_mad_u64_u32 v[10:11], s[4:5], v7, s6, 0
	v_mad_u64_u32 v[12:13], s[4:5], s38, v7, v[4:5]
	v_mul_lo_u32 v7, v14, s6
	v_ashrrev_i32_e32 v9, 31, v8
	v_add3_u32 v11, v11, v15, v7
	v_ashrrev_i32_e32 v13, 31, v12
	v_lshl_add_u64 v[8:9], v[8:9], 1, s[18:19]
	v_lshl_add_u64 v[10:11], v[10:11], 1, s[30:31]
	;; [unrolled: 1-line block ×3, first 2 shown]
	global_load_ushort v7, v[8:9], off
	global_load_ushort v16, v[14:15], off
	v_lshl_add_u64 v[8:9], v[12:13], 1, v[10:11]
	global_load_dword v10, v[8:9], off
	v_add_u32_e32 v6, s36, v6
	v_cmp_le_i32_e32 vcc, s3, v6
	s_or_b64 s[34:35], vcc, s[34:35]
	v_add_u32_e32 v4, s39, v4
	s_waitcnt vmcnt(2)
	v_lshlrev_b32_e32 v11, 16, v7
	s_waitcnt vmcnt(1)
	v_lshlrev_b32_e32 v13, 16, v16
	v_mov_b32_e32 v14, v11
	s_waitcnt vmcnt(0)
	v_and_b32_e32 v16, 0xffff0000, v10
	v_lshlrev_b32_e32 v12, 16, v10
	v_mov_b32_e32 v10, v13
	v_pk_mul_f32 v[10:11], v[10:11], v[16:17] op_sel_hi:[1,0]
	v_mov_b32_e32 v15, v12
	v_bfe_u32 v7, v10, 16, 1
	v_bfe_u32 v16, v11, 16, 1
	v_pk_mul_f32 v[12:13], v[14:15], v[12:13]
	v_add3_u32 v14, v11, v16, s40
	v_add3_u32 v7, v10, v7, s40
	v_bfe_u32 v15, v12, 16, 1
	v_bfe_u32 v16, v13, 16, 1
	v_and_b32_e32 v7, 0xffff0000, v7
	v_and_b32_e32 v14, 0xffff0000, v14
	v_add3_u32 v16, v13, v16, s40
	v_add3_u32 v15, v12, v15, s40
	v_cmp_o_f32_e32 vcc, v10, v10
	v_cmp_o_f32_e64 s[4:5], v11, v11
	v_and_b32_e32 v15, 0xffff0000, v15
	v_and_b32_e32 v16, 0xffff0000, v16
	v_cndmask_b32_e64 v11, v3, v14, s[4:5]
	v_cndmask_b32_e32 v10, v3, v7, vcc
	v_cmp_o_f32_e32 vcc, v12, v12
	v_cmp_o_f32_e64 s[4:5], v13, v13
	s_nop 0
	v_cndmask_b32_e32 v12, v3, v15, vcc
	v_cndmask_b32_e64 v13, v3, v16, s[4:5]
	v_pk_add_f32 v[14:15], v[12:13], v[10:11] neg_lo:[0,1] neg_hi:[0,1]
	v_pk_add_f32 v[10:11], v[12:13], v[10:11]
	v_bfe_u32 v7, v14, 16, 1
	v_bfe_u32 v10, v11, 16, 1
	v_add3_u32 v10, v11, v10, s40
	v_add3_u32 v7, v14, v7, s40
	v_lshrrev_b32_e32 v7, 16, v7
	v_lshrrev_b32_e32 v10, 16, v10
	v_cmp_o_f32_e32 vcc, v11, v11
	v_cmp_o_f32_e64 s[4:5], v14, v14
	s_nop 0
	v_cndmask_b32_e32 v10, v5, v10, vcc
	v_cndmask_b32_e64 v7, v5, v7, s[4:5]
	v_perm_b32 v7, v10, v7, s41
	global_store_dword v[8:9], v7, off
	s_andn2_b64 exec, exec, s[34:35]
	s_cbranch_execnz .LBB35_3
.LBB35_4:
	s_or_b64 exec, exec, s[16:17]
	s_load_dwordx4 s[16:19], s[0:1], 0x68
	s_waitcnt lgkmcnt(0)
	s_ashr_i32 s7, s19, 31
	s_mov_b32 s6, s19
	s_or_b64 s[4:5], s[26:27], s[6:7]
	s_mov_b32 s4, 0
	s_cmp_lg_u64 s[4:5], 0
	s_cbranch_scc0 .LBB35_14
; %bb.5:
	s_add_u32 s4, s6, s7
	s_mov_b32 s30, s7
	s_mov_b32 s31, s7
	s_addc_u32 s5, s7, s7
	s_xor_b64 s[36:37], s[4:5], s[30:31]
	v_cvt_f32_u32_e32 v1, s36
	v_cvt_f32_u32_e32 v3, s37
	s_sub_u32 s3, 0, s36
	s_subb_u32 s4, 0, s37
	v_fmamk_f32 v1, v3, 0x4f800000, v1
	v_rcp_f32_e32 v1, v1
	s_nop 0
	v_mul_f32_e32 v1, 0x5f7ffffc, v1
	v_mul_f32_e32 v3, 0x2f800000, v1
	v_trunc_f32_e32 v3, v3
	v_fmamk_f32 v1, v3, 0xcf800000, v1
	v_cvt_u32_f32_e32 v3, v3
	v_cvt_u32_f32_e32 v1, v1
	v_readfirstlane_b32 s5, v3
	v_readfirstlane_b32 s19, v1
	s_mul_i32 s23, s3, s5
	s_mul_hi_u32 s38, s3, s19
	s_mul_i32 s33, s4, s19
	s_add_i32 s23, s38, s23
	s_add_i32 s23, s23, s33
	s_mul_i32 s39, s3, s19
	s_mul_hi_u32 s33, s19, s23
	s_mul_i32 s38, s19, s23
	s_mul_hi_u32 s19, s19, s39
	s_add_u32 s19, s19, s38
	s_addc_u32 s33, 0, s33
	s_mul_hi_u32 s40, s5, s39
	s_mul_i32 s39, s5, s39
	s_add_u32 s19, s19, s39
	s_mul_hi_u32 s38, s5, s23
	s_addc_u32 s19, s33, s40
	s_addc_u32 s33, s38, 0
	s_mul_i32 s23, s5, s23
	s_add_u32 s19, s19, s23
	s_addc_u32 s23, 0, s33
	v_add_co_u32_e32 v1, vcc, s19, v1
	s_cmp_lg_u64 vcc, 0
	s_addc_u32 s5, s5, s23
	v_readfirstlane_b32 s23, v1
	s_mul_i32 s19, s3, s5
	s_mul_hi_u32 s33, s3, s23
	s_add_i32 s19, s33, s19
	s_mul_i32 s4, s4, s23
	s_add_i32 s19, s19, s4
	s_mul_i32 s3, s3, s23
	s_mul_hi_u32 s33, s5, s3
	s_mul_i32 s38, s5, s3
	s_mul_i32 s40, s23, s19
	s_mul_hi_u32 s3, s23, s3
	s_mul_hi_u32 s39, s23, s19
	s_add_u32 s3, s3, s40
	s_addc_u32 s23, 0, s39
	s_add_u32 s3, s3, s38
	s_mul_hi_u32 s4, s5, s19
	s_addc_u32 s3, s23, s33
	s_addc_u32 s4, s4, 0
	s_mul_i32 s19, s5, s19
	s_add_u32 s3, s3, s19
	s_addc_u32 s4, 0, s4
	v_add_co_u32_e32 v1, vcc, s3, v1
	s_cmp_lg_u64 vcc, 0
	s_addc_u32 s3, s5, s4
	s_ashr_i32 s38, s27, 31
	s_add_u32 s4, s26, s38
	s_mov_b32 s39, s38
	s_addc_u32 s5, s27, s38
	s_xor_b64 s[40:41], s[4:5], s[38:39]
	v_readfirstlane_b32 s19, v1
	s_mul_i32 s5, s40, s3
	s_mul_hi_u32 s23, s40, s19
	s_mul_hi_u32 s4, s40, s3
	s_add_u32 s5, s23, s5
	s_addc_u32 s4, 0, s4
	s_mul_hi_u32 s33, s41, s19
	s_mul_i32 s19, s41, s19
	s_add_u32 s5, s5, s19
	s_mul_hi_u32 s23, s41, s3
	s_addc_u32 s4, s4, s33
	s_addc_u32 s5, s23, 0
	s_mul_i32 s3, s41, s3
	s_add_u32 s3, s4, s3
	s_addc_u32 s19, 0, s5
	s_mul_i32 s4, s36, s19
	s_mul_hi_u32 s5, s36, s3
	s_add_i32 s4, s5, s4
	s_mul_i32 s5, s37, s3
	s_add_i32 s23, s4, s5
	s_mul_i32 s5, s36, s3
	v_mov_b32_e32 v1, s5
	s_sub_i32 s4, s41, s23
	v_sub_co_u32_e32 v1, vcc, s40, v1
	s_cmp_lg_u64 vcc, 0
	s_subb_u32 s33, s4, s37
	v_subrev_co_u32_e64 v3, s[4:5], s36, v1
	s_cmp_lg_u64 s[4:5], 0
	s_subb_u32 s4, s33, 0
	s_cmp_ge_u32 s4, s37
	v_readfirstlane_b32 s33, v3
	s_cselect_b32 s5, -1, 0
	s_cmp_ge_u32 s33, s36
	s_cselect_b32 s33, -1, 0
	s_cmp_eq_u32 s4, s37
	s_cselect_b32 s4, s33, s5
	s_add_u32 s5, s3, 1
	s_addc_u32 s33, s19, 0
	s_add_u32 s40, s3, 2
	s_addc_u32 s42, s19, 0
	s_cmp_lg_u32 s4, 0
	s_cselect_b32 s4, s40, s5
	s_cselect_b32 s5, s42, s33
	s_cmp_lg_u64 vcc, 0
	s_subb_u32 s23, s41, s23
	s_cmp_ge_u32 s23, s37
	v_readfirstlane_b32 s40, v1
	s_cselect_b32 s33, -1, 0
	s_cmp_ge_u32 s40, s36
	s_cselect_b32 s36, -1, 0
	s_cmp_eq_u32 s23, s37
	s_cselect_b32 s23, s36, s33
	s_cmp_lg_u32 s23, 0
	s_cselect_b32 s5, s5, s19
	s_cselect_b32 s4, s4, s3
	s_xor_b64 s[30:31], s[38:39], s[30:31]
	s_xor_b64 s[4:5], s[4:5], s[30:31]
	s_sub_u32 s30, s4, s30
	s_subb_u32 s31, s5, s31
	s_cbranch_execnz .LBB35_7
.LBB35_6:
	v_cvt_f32_u32_e32 v1, s6
	s_sub_i32 s3, 0, s6
	s_mov_b32 s31, 0
	v_rcp_iflag_f32_e32 v1, v1
	s_nop 0
	v_mul_f32_e32 v1, 0x4f7ffffe, v1
	v_cvt_u32_f32_e32 v1, v1
	s_nop 0
	v_readfirstlane_b32 s4, v1
	s_mul_i32 s3, s3, s4
	s_mul_hi_u32 s3, s4, s3
	s_add_i32 s4, s4, s3
	s_mul_hi_u32 s3, s26, s4
	s_mul_i32 s5, s3, s6
	s_sub_i32 s5, s26, s5
	s_add_i32 s4, s3, 1
	s_sub_i32 s19, s5, s6
	s_cmp_ge_u32 s5, s6
	s_cselect_b32 s3, s4, s3
	s_cselect_b32 s5, s19, s5
	s_add_i32 s4, s3, 1
	s_cmp_ge_u32 s5, s6
	s_cselect_b32 s30, s4, s3
.LBB35_7:
	s_mul_i32 s3, s30, s7
	s_mul_hi_u32 s4, s30, s6
	s_add_i32 s3, s4, s3
	s_mul_i32 s4, s31, s6
	s_add_i32 s3, s3, s4
	s_mul_i32 s4, s30, s6
	s_sub_u32 s33, s26, s4
	s_subb_u32 s3, s27, s3
	v_cmp_gt_i32_e32 vcc, s22, v0
	s_mul_hi_u32 s41, s30, s16
	s_mul_i32 s42, s31, s16
	s_mul_i32 s34, s30, s16
	s_mul_hi_u32 s40, s33, s17
	s_mul_i32 s31, s3, s17
	s_mul_i32 s26, s33, s17
	s_and_saveexec_b64 s[36:37], vcc
	s_cbranch_execz .LBB35_10
; %bb.8:
	s_load_dword s3, s[0:1], 0x8c
	s_ashr_i32 s23, s22, 31
	s_ashr_i32 s6, s16, 31
	;; [unrolled: 1-line block ×4, first 2 shown]
	s_waitcnt lgkmcnt(0)
	s_and_b32 s3, s3, 0xffff
	s_lshl_b64 s[4:5], s[28:29], 1
	s_add_u32 s4, s24, s4
	v_mov_b32_e32 v3, 0
	s_addc_u32 s5, s25, s5
	v_lshl_add_u64 v[4:5], s[4:5], 0, v[2:3]
	s_mul_i32 s4, s9, s2
	s_mul_hi_u32 s5, s8, s2
	s_add_i32 s5, s5, s4
	s_mul_i32 s4, s8, s2
	s_lshl_b32 s28, s3, 1
	s_lshl_b64 s[24:25], s[22:23], 1
	s_lshl_b64 s[4:5], s[4:5], 1
	s_add_u32 s4, s12, s4
	v_lshlrev_b32_e32 v2, 2, v0
	s_addc_u32 s5, s13, s5
	v_lshl_add_u64 v[6:7], s[4:5], 0, v[2:3]
	s_mul_i32 s4, s30, s6
	s_mul_i32 s6, s33, s7
	s_add_i32 s4, s41, s4
	s_add_i32 s6, s40, s6
	;; [unrolled: 1-line block ×4, first 2 shown]
	s_lshl_b32 s23, s3, 2
	s_lshl_b64 s[4:5], s[34:35], 1
	s_lshl_b64 s[6:7], s[26:27], 1
	s_add_u32 s6, s4, s6
	s_addc_u32 s7, s5, s7
	s_lshl_b64 s[4:5], s[18:19], 1
	s_add_u32 s4, s20, s4
	s_addc_u32 s5, s21, s5
	s_add_u32 s4, s4, s6
	s_addc_u32 s5, s5, s7
	s_mov_b32 s29, 0
	v_lshl_add_u64 v[2:3], s[4:5], 0, v[2:3]
	s_mov_b64 s[12:13], 0
	s_movk_i32 s19, 0x7fff
	v_mov_b32_e32 v1, 0x7fc00000
	v_mov_b32_e32 v8, 0x7fc0
	s_mov_b32 s27, 0x5040100
	s_mov_b64 s[38:39], 0
	v_mov_b32_e32 v9, v0
.LBB35_9:                               ; =>This Inner Loop Header: Depth=1
	v_lshl_add_u64 v[10:11], v[4:5], 0, s[24:25]
	v_lshl_add_u64 v[12:13], v[6:7], 0, s[38:39]
	global_load_ushort v14, v[4:5], off
	global_load_dword v17, v[12:13], off
	global_load_ushort v18, v[10:11], off
	v_lshl_add_u64 v[10:11], v[2:3], 0, s[38:39]
	v_add_u32_e32 v9, s3, v9
	s_add_u32 s38, s38, s23
	s_addc_u32 s39, s39, 0
	v_cmp_le_i32_e32 vcc, s22, v9
	s_or_b64 s[12:13], vcc, s[12:13]
	v_lshl_add_u64 v[4:5], v[4:5], 0, s[28:29]
	s_waitcnt vmcnt(2)
	v_lshlrev_b32_e32 v15, 16, v14
	s_waitcnt vmcnt(1)
	v_and_b32_e32 v16, 0xffff0000, v17
	s_waitcnt vmcnt(0)
	v_lshlrev_b32_e32 v19, 16, v18
	v_lshlrev_b32_e32 v18, 16, v17
	v_mov_b32_e32 v20, v15
	v_mov_b32_e32 v14, v19
	;; [unrolled: 1-line block ×3, first 2 shown]
	v_pk_mul_f32 v[14:15], v[14:15], v[16:17] op_sel_hi:[1,0]
	v_pk_mul_f32 v[16:17], v[20:21], v[18:19]
	v_bfe_u32 v18, v14, 16, 1
	v_bfe_u32 v19, v15, 16, 1
	;; [unrolled: 1-line block ×4, first 2 shown]
	v_add3_u32 v19, v15, v19, s19
	v_add3_u32 v18, v14, v18, s19
	v_add3_u32 v21, v17, v21, s19
	v_add3_u32 v20, v16, v20, s19
	v_and_b32_e32 v18, 0xffff0000, v18
	v_and_b32_e32 v19, 0xffff0000, v19
	;; [unrolled: 1-line block ×4, first 2 shown]
	v_cmp_o_f32_e32 vcc, v14, v14
	v_cmp_o_f32_e64 s[4:5], v17, v17
	v_cmp_o_f32_e64 s[6:7], v16, v16
	;; [unrolled: 1-line block ×3, first 2 shown]
	v_cndmask_b32_e32 v14, v1, v18, vcc
	v_cndmask_b32_e64 v17, v1, v21, s[4:5]
	v_cndmask_b32_e64 v15, v1, v19, s[8:9]
	;; [unrolled: 1-line block ×3, first 2 shown]
	v_pk_add_f32 v[18:19], v[16:17], v[14:15] neg_lo:[0,1] neg_hi:[0,1]
	v_pk_add_f32 v[14:15], v[16:17], v[14:15]
	v_cmp_o_f32_e64 s[4:5], v18, v18
	v_bfe_u32 v14, v18, 16, 1
	v_bfe_u32 v16, v15, 16, 1
	v_add3_u32 v16, v15, v16, s19
	v_add3_u32 v14, v18, v14, s19
	v_lshrrev_b32_e32 v14, 16, v14
	v_lshrrev_b32_e32 v16, 16, v16
	v_cmp_o_f32_e32 vcc, v15, v15
	v_cndmask_b32_e64 v14, v8, v14, s[4:5]
	s_nop 0
	v_cndmask_b32_e32 v15, v8, v16, vcc
	v_perm_b32 v14, v15, v14, s27
	global_store_dword v[12:13], v14, off
	global_store_dword v[10:11], v14, off
	s_andn2_b64 exec, exec, s[12:13]
	s_cbranch_execnz .LBB35_9
.LBB35_10:
	s_or_b64 exec, exec, s[36:37]
	v_cmp_gt_i32_e32 vcc, s18, v0
	s_and_saveexec_b64 s[4:5], vcc
	s_cbranch_execz .LBB35_13
; %bb.11:
	s_mul_i32 s3, s2, s11
	s_mul_hi_u32 s4, s2, s10
	s_add_i32 s3, s4, s3
	s_mul_i32 s2, s2, s10
	s_lshl_b64 s[2:3], s[2:3], 1
	s_add_u32 s2, s14, s2
	s_addc_u32 s3, s15, s3
	s_ashr_i32 s4, s16, 31
	s_mul_i32 s4, s30, s4
	s_add_i32 s4, s41, s4
	s_add_i32 s35, s4, s42
	s_lshl_b64 s[4:5], s[34:35], 1
	s_add_u32 s4, s20, s4
	s_addc_u32 s5, s21, s5
	s_ashr_i32 s6, s17, 31
	s_mul_i32 s33, s33, s6
	s_load_dword s7, s[0:1], 0x8c
	s_add_i32 s6, s40, s33
	s_add_i32 s27, s6, s31
	s_lshl_b64 s[0:1], s[26:27], 1
	s_add_u32 s0, s4, s0
	s_addc_u32 s1, s5, s1
	s_waitcnt lgkmcnt(0)
	s_and_b32 s6, s7, 0xffff
	s_mov_b64 s[4:5], 0
.LBB35_12:                              ; =>This Inner Loop Header: Depth=1
	v_ashrrev_i32_e32 v1, 31, v0
	v_lshlrev_b64 v[2:3], 1, v[0:1]
	v_lshl_add_u64 v[4:5], s[2:3], 0, v[2:3]
	global_load_ushort v1, v[4:5], off
	v_add_u32_e32 v0, s6, v0
	v_cmp_le_i32_e32 vcc, s18, v0
	v_lshl_add_u64 v[2:3], s[0:1], 0, v[2:3]
	s_or_b64 s[4:5], vcc, s[4:5]
	s_waitcnt vmcnt(0)
	global_store_short v[2:3], v1, off
	s_andn2_b64 exec, exec, s[4:5]
	s_cbranch_execnz .LBB35_12
.LBB35_13:
	s_endpgm
.LBB35_14:
                                        ; implicit-def: $sgpr30_sgpr31
	s_branch .LBB35_6
	.section	.rodata,"a",@progbits
	.p2align	6, 0x0
	.amdhsa_kernel _ZN4vllm38concat_and_cache_mla_rope_fused_kernelIN3c108BFloat16ES2_Lb0EttLNS_18Fp8KVCacheDataTypeE0EEEvPKlPT_S7_PKS6_PKT0_illlliPT3_S5_iiiiPKf
		.amdhsa_group_segment_fixed_size 0
		.amdhsa_private_segment_fixed_size 0
		.amdhsa_kernarg_size 384
		.amdhsa_user_sgpr_count 2
		.amdhsa_user_sgpr_dispatch_ptr 0
		.amdhsa_user_sgpr_queue_ptr 0
		.amdhsa_user_sgpr_kernarg_segment_ptr 1
		.amdhsa_user_sgpr_dispatch_id 0
		.amdhsa_user_sgpr_kernarg_preload_length 0
		.amdhsa_user_sgpr_kernarg_preload_offset 0
		.amdhsa_user_sgpr_private_segment_size 0
		.amdhsa_uses_dynamic_stack 0
		.amdhsa_enable_private_segment 0
		.amdhsa_system_sgpr_workgroup_id_x 1
		.amdhsa_system_sgpr_workgroup_id_y 0
		.amdhsa_system_sgpr_workgroup_id_z 0
		.amdhsa_system_sgpr_workgroup_info 0
		.amdhsa_system_vgpr_workitem_id 0
		.amdhsa_next_free_vgpr 22
		.amdhsa_next_free_sgpr 43
		.amdhsa_accum_offset 24
		.amdhsa_reserve_vcc 1
		.amdhsa_float_round_mode_32 0
		.amdhsa_float_round_mode_16_64 0
		.amdhsa_float_denorm_mode_32 3
		.amdhsa_float_denorm_mode_16_64 3
		.amdhsa_dx10_clamp 1
		.amdhsa_ieee_mode 1
		.amdhsa_fp16_overflow 0
		.amdhsa_tg_split 0
		.amdhsa_exception_fp_ieee_invalid_op 0
		.amdhsa_exception_fp_denorm_src 0
		.amdhsa_exception_fp_ieee_div_zero 0
		.amdhsa_exception_fp_ieee_overflow 0
		.amdhsa_exception_fp_ieee_underflow 0
		.amdhsa_exception_fp_ieee_inexact 0
		.amdhsa_exception_int_div_zero 0
	.end_amdhsa_kernel
	.section	.text._ZN4vllm38concat_and_cache_mla_rope_fused_kernelIN3c108BFloat16ES2_Lb0EttLNS_18Fp8KVCacheDataTypeE0EEEvPKlPT_S7_PKS6_PKT0_illlliPT3_S5_iiiiPKf,"axG",@progbits,_ZN4vllm38concat_and_cache_mla_rope_fused_kernelIN3c108BFloat16ES2_Lb0EttLNS_18Fp8KVCacheDataTypeE0EEEvPKlPT_S7_PKS6_PKT0_illlliPT3_S5_iiiiPKf,comdat
.Lfunc_end35:
	.size	_ZN4vllm38concat_and_cache_mla_rope_fused_kernelIN3c108BFloat16ES2_Lb0EttLNS_18Fp8KVCacheDataTypeE0EEEvPKlPT_S7_PKS6_PKT0_illlliPT3_S5_iiiiPKf, .Lfunc_end35-_ZN4vllm38concat_and_cache_mla_rope_fused_kernelIN3c108BFloat16ES2_Lb0EttLNS_18Fp8KVCacheDataTypeE0EEEvPKlPT_S7_PKS6_PKT0_illlliPT3_S5_iiiiPKf
                                        ; -- End function
	.section	.AMDGPU.csdata,"",@progbits
; Kernel info:
; codeLenInByte = 2480
; NumSgprs: 49
; NumVgprs: 22
; NumAgprs: 0
; TotalNumVgprs: 22
; ScratchSize: 0
; MemoryBound: 0
; FloatMode: 240
; IeeeMode: 1
; LDSByteSize: 0 bytes/workgroup (compile time only)
; SGPRBlocks: 6
; VGPRBlocks: 2
; NumSGPRsForWavesPerEU: 49
; NumVGPRsForWavesPerEU: 22
; AccumOffset: 24
; Occupancy: 8
; WaveLimiterHint : 1
; COMPUTE_PGM_RSRC2:SCRATCH_EN: 0
; COMPUTE_PGM_RSRC2:USER_SGPR: 2
; COMPUTE_PGM_RSRC2:TRAP_HANDLER: 0
; COMPUTE_PGM_RSRC2:TGID_X_EN: 1
; COMPUTE_PGM_RSRC2:TGID_Y_EN: 0
; COMPUTE_PGM_RSRC2:TGID_Z_EN: 0
; COMPUTE_PGM_RSRC2:TIDIG_COMP_CNT: 0
; COMPUTE_PGM_RSRC3_GFX90A:ACCUM_OFFSET: 5
; COMPUTE_PGM_RSRC3_GFX90A:TG_SPLIT: 0
	.section	.text._ZN4vllm38concat_and_cache_mla_rope_fused_kernelIffLb1E14__hip_bfloat16S1_LNS_18Fp8KVCacheDataTypeE0EEEvPKlPT_S6_PKS5_PKT0_illlliPT3_S4_iiiiPKf,"axG",@progbits,_ZN4vllm38concat_and_cache_mla_rope_fused_kernelIffLb1E14__hip_bfloat16S1_LNS_18Fp8KVCacheDataTypeE0EEEvPKlPT_S6_PKS5_PKT0_illlliPT3_S4_iiiiPKf,comdat
	.protected	_ZN4vllm38concat_and_cache_mla_rope_fused_kernelIffLb1E14__hip_bfloat16S1_LNS_18Fp8KVCacheDataTypeE0EEEvPKlPT_S6_PKS5_PKT0_illlliPT3_S4_iiiiPKf ; -- Begin function _ZN4vllm38concat_and_cache_mla_rope_fused_kernelIffLb1E14__hip_bfloat16S1_LNS_18Fp8KVCacheDataTypeE0EEEvPKlPT_S6_PKS5_PKT0_illlliPT3_S4_iiiiPKf
	.globl	_ZN4vllm38concat_and_cache_mla_rope_fused_kernelIffLb1E14__hip_bfloat16S1_LNS_18Fp8KVCacheDataTypeE0EEEvPKlPT_S6_PKS5_PKT0_illlliPT3_S4_iiiiPKf
	.p2align	8
	.type	_ZN4vllm38concat_and_cache_mla_rope_fused_kernelIffLb1E14__hip_bfloat16S1_LNS_18Fp8KVCacheDataTypeE0EEEvPKlPT_S6_PKS5_PKT0_illlliPT3_S4_iiiiPKf,@function
_ZN4vllm38concat_and_cache_mla_rope_fused_kernelIffLb1E14__hip_bfloat16S1_LNS_18Fp8KVCacheDataTypeE0EEEvPKlPT_S6_PKS5_PKT0_illlliPT3_S4_iiiiPKf: ; @_ZN4vllm38concat_and_cache_mla_rope_fused_kernelIffLb1E14__hip_bfloat16S1_LNS_18Fp8KVCacheDataTypeE0EEEvPKlPT_S6_PKS5_PKT0_illlliPT3_S4_iiiiPKf
; %bb.0:
	s_load_dwordx2 s[6:7], s[0:1], 0x60
	s_mov_b32 s3, 0
	s_lshl_b64 s[4:5], s[2:3], 3
	s_waitcnt lgkmcnt(0)
	s_add_u32 s6, s6, s4
	s_addc_u32 s7, s7, s5
	s_load_dwordx2 s[30:31], s[6:7], 0x0
	s_waitcnt lgkmcnt(0)
	v_cmp_lt_i64_e64 s[6:7], s[30:31], 0
	s_and_b64 vcc, exec, s[6:7]
	s_cbranch_vccnz .LBB36_13
; %bb.1:
	s_load_dword s3, s[0:1], 0x28
	s_load_dwordx2 s[6:7], s[0:1], 0x0
	s_load_dwordx4 s[12:15], s[0:1], 0x10
	s_waitcnt lgkmcnt(0)
	s_ashr_i32 s22, s3, 31
	s_add_u32 s16, s6, s4
	s_addc_u32 s17, s7, s5
	s_load_dwordx2 s[18:19], s[16:17], 0x0
	s_load_dwordx2 s[26:27], s[0:1], 0x20
	s_load_dwordx8 s[4:11], s[0:1], 0x30
	s_load_dwordx2 s[20:21], s[0:1], 0x58
	s_load_dword s25, s[0:1], 0x50
	s_waitcnt lgkmcnt(0)
	s_mul_i32 s16, s18, s22
	s_mul_hi_u32 s17, s18, s3
	s_mul_i32 s19, s19, s3
	s_add_i32 s16, s17, s16
	s_add_i32 s17, s16, s19
	s_mul_i32 s16, s18, s3
	s_lshl_b64 s[28:29], s[16:17], 2
	s_add_u32 s22, s26, s28
	s_addc_u32 s23, s27, s29
	s_lshr_b32 s16, s3, 31
	s_add_i32 s3, s3, s16
	s_ashr_i32 s24, s3, 1
	s_mul_i32 s3, s24, s25
	v_cmp_gt_i32_e32 vcc, s3, v0
	s_and_saveexec_b64 s[16:17], vcc
	s_cbranch_execz .LBB36_4
; %bb.2:
	s_load_dwordx2 s[18:19], s[0:1], 0x8
	s_load_dword s34, s[0:1], 0x8c
	s_mul_i32 s5, s2, s5
	s_mul_hi_u32 s33, s2, s4
	s_add_i32 s5, s33, s5
	s_mul_i32 s4, s2, s4
	s_ashr_i32 s25, s24, 31
	s_lshl_b64 s[4:5], s[4:5], 2
	s_waitcnt lgkmcnt(0)
	s_add_u32 s4, s18, s4
	s_addc_u32 s5, s19, s5
	s_abs_i32 s33, s24
	v_cvt_f32_u32_e32 v1, s33
	s_sub_i32 s38, 0, s33
	s_mov_b64 s[18:19], 0
	s_and_b32 s36, s34, 0xffff
	v_rcp_iflag_f32_e32 v1, v1
	s_sub_i32 s37, 0, s24
	s_lshl_b64 s[34:35], s[24:25], 2
	v_mul_f32_e32 v1, 0x4f7ffffe, v1
	v_cvt_u32_f32_e32 v1, v1
	v_mul_lo_u32 v2, s38, v1
	v_mul_hi_u32 v2, v1, v2
	v_add_u32_e32 v1, v1, v2
	v_mov_b32_e32 v2, v0
.LBB36_3:                               ; =>This Inner Loop Header: Depth=1
	v_sub_u32_e32 v4, 0, v2
	v_max_i32_e32 v4, v2, v4
	v_mul_hi_u32 v5, v4, v1
	v_mul_lo_u32 v6, v5, s33
	v_sub_u32_e32 v4, v4, v6
	v_add_u32_e32 v7, 1, v5
	v_cmp_le_u32_e32 vcc, s33, v4
	v_subrev_u32_e32 v6, s33, v4
	v_ashrrev_i32_e32 v3, 31, v2
	v_cndmask_b32_e32 v5, v5, v7, vcc
	v_cndmask_b32_e32 v4, v4, v6, vcc
	v_add_u32_e32 v6, 1, v5
	v_cmp_le_u32_e32 vcc, s33, v4
	v_xor_b32_e32 v3, s25, v3
	s_nop 0
	v_cndmask_b32_e32 v4, v5, v6, vcc
	v_xor_b32_e32 v4, v4, v3
	v_sub_u32_e32 v3, v4, v3
	v_ashrrev_i32_e32 v8, 31, v3
	v_mad_u64_u32 v[4:5], s[38:39], s37, v3, v[2:3]
	v_mul_lo_u32 v9, v3, s7
	v_mad_u64_u32 v[6:7], s[38:39], v3, s6, 0
	v_mul_lo_u32 v3, v8, s6
	v_ashrrev_i32_e32 v5, 31, v4
	v_add3_u32 v7, v7, v9, v3
	v_lshlrev_b64 v[4:5], 2, v[4:5]
	v_lshl_add_u64 v[6:7], v[6:7], 2, s[4:5]
	v_lshl_add_u64 v[8:9], s[22:23], 0, v[4:5]
	;; [unrolled: 1-line block ×4, first 2 shown]
	global_load_dword v3, v[8:9], off
	global_load_dword v12, v[10:11], off
	v_lshl_add_u64 v[6:7], v[4:5], 0, s[34:35]
	global_load_dword v8, v[4:5], off
	global_load_dword v9, v[6:7], off
	v_add_u32_e32 v2, s36, v2
	v_cmp_le_i32_e32 vcc, s3, v2
	s_or_b64 s[18:19], vcc, s[18:19]
	s_waitcnt vmcnt(0)
	v_mul_f32_e32 v10, v12, v9
	v_mul_f32_e32 v9, v3, v9
	v_fma_f32 v3, v3, v8, -v10
	v_fmac_f32_e32 v9, v12, v8
	global_store_dword v[4:5], v3, off
	global_store_dword v[6:7], v9, off
	s_andn2_b64 exec, exec, s[18:19]
	s_cbranch_execnz .LBB36_3
.LBB36_4:
	s_or_b64 exec, exec, s[16:17]
	s_load_dwordx4 s[16:19], s[0:1], 0x68
	s_waitcnt lgkmcnt(0)
	s_ashr_i32 s7, s19, 31
	s_mov_b32 s6, s19
	s_or_b64 s[4:5], s[30:31], s[6:7]
	s_mov_b32 s4, 0
	s_cmp_lg_u64 s[4:5], 0
	s_cbranch_scc0 .LBB36_14
; %bb.5:
	s_add_u32 s4, s6, s7
	s_mov_b32 s36, s7
	s_mov_b32 s37, s7
	s_addc_u32 s5, s7, s7
	s_xor_b64 s[38:39], s[4:5], s[36:37]
	v_cvt_f32_u32_e32 v1, s38
	v_cvt_f32_u32_e32 v2, s39
	s_sub_u32 s3, 0, s38
	s_subb_u32 s4, 0, s39
	v_fmamk_f32 v1, v2, 0x4f800000, v1
	v_rcp_f32_e32 v1, v1
	s_nop 0
	v_mul_f32_e32 v1, 0x5f7ffffc, v1
	v_mul_f32_e32 v2, 0x2f800000, v1
	v_trunc_f32_e32 v2, v2
	v_fmamk_f32 v1, v2, 0xcf800000, v1
	v_cvt_u32_f32_e32 v2, v2
	v_cvt_u32_f32_e32 v1, v1
	v_readfirstlane_b32 s5, v2
	v_readfirstlane_b32 s19, v1
	s_mul_i32 s25, s3, s5
	s_mul_hi_u32 s40, s3, s19
	s_mul_i32 s33, s4, s19
	s_add_i32 s25, s40, s25
	s_add_i32 s25, s25, s33
	s_mul_i32 s41, s3, s19
	s_mul_hi_u32 s33, s19, s25
	s_mul_i32 s40, s19, s25
	s_mul_hi_u32 s19, s19, s41
	s_add_u32 s19, s19, s40
	s_addc_u32 s33, 0, s33
	s_mul_hi_u32 s42, s5, s41
	s_mul_i32 s41, s5, s41
	s_add_u32 s19, s19, s41
	s_mul_hi_u32 s40, s5, s25
	s_addc_u32 s19, s33, s42
	s_addc_u32 s33, s40, 0
	s_mul_i32 s25, s5, s25
	s_add_u32 s19, s19, s25
	s_addc_u32 s25, 0, s33
	v_add_co_u32_e32 v1, vcc, s19, v1
	s_cmp_lg_u64 vcc, 0
	s_addc_u32 s5, s5, s25
	v_readfirstlane_b32 s25, v1
	s_mul_i32 s19, s3, s5
	s_mul_hi_u32 s33, s3, s25
	s_add_i32 s19, s33, s19
	s_mul_i32 s4, s4, s25
	s_add_i32 s19, s19, s4
	s_mul_i32 s3, s3, s25
	s_mul_hi_u32 s33, s5, s3
	s_mul_i32 s40, s5, s3
	s_mul_i32 s42, s25, s19
	s_mul_hi_u32 s3, s25, s3
	s_mul_hi_u32 s41, s25, s19
	s_add_u32 s3, s3, s42
	s_addc_u32 s25, 0, s41
	s_add_u32 s3, s3, s40
	s_mul_hi_u32 s4, s5, s19
	s_addc_u32 s3, s25, s33
	s_addc_u32 s4, s4, 0
	s_mul_i32 s19, s5, s19
	s_add_u32 s3, s3, s19
	s_addc_u32 s4, 0, s4
	v_add_co_u32_e32 v1, vcc, s3, v1
	s_cmp_lg_u64 vcc, 0
	s_addc_u32 s3, s5, s4
	s_ashr_i32 s40, s31, 31
	s_add_u32 s4, s30, s40
	s_mov_b32 s41, s40
	s_addc_u32 s5, s31, s40
	s_xor_b64 s[42:43], s[4:5], s[40:41]
	v_readfirstlane_b32 s19, v1
	s_mul_i32 s5, s42, s3
	s_mul_hi_u32 s25, s42, s19
	s_mul_hi_u32 s4, s42, s3
	s_add_u32 s5, s25, s5
	s_addc_u32 s4, 0, s4
	s_mul_hi_u32 s33, s43, s19
	s_mul_i32 s19, s43, s19
	s_add_u32 s5, s5, s19
	s_mul_hi_u32 s25, s43, s3
	s_addc_u32 s4, s4, s33
	s_addc_u32 s5, s25, 0
	s_mul_i32 s3, s43, s3
	s_add_u32 s3, s4, s3
	s_addc_u32 s19, 0, s5
	s_mul_i32 s4, s38, s19
	s_mul_hi_u32 s5, s38, s3
	s_add_i32 s4, s5, s4
	s_mul_i32 s5, s39, s3
	s_add_i32 s25, s4, s5
	s_mul_i32 s5, s38, s3
	v_mov_b32_e32 v1, s5
	s_sub_i32 s4, s43, s25
	v_sub_co_u32_e32 v1, vcc, s42, v1
	s_cmp_lg_u64 vcc, 0
	s_subb_u32 s33, s4, s39
	v_subrev_co_u32_e64 v2, s[4:5], s38, v1
	s_cmp_lg_u64 s[4:5], 0
	s_subb_u32 s4, s33, 0
	s_cmp_ge_u32 s4, s39
	v_readfirstlane_b32 s33, v2
	s_cselect_b32 s5, -1, 0
	s_cmp_ge_u32 s33, s38
	s_cselect_b32 s33, -1, 0
	s_cmp_eq_u32 s4, s39
	s_cselect_b32 s4, s33, s5
	s_add_u32 s5, s3, 1
	s_addc_u32 s33, s19, 0
	s_add_u32 s42, s3, 2
	s_addc_u32 s44, s19, 0
	s_cmp_lg_u32 s4, 0
	s_cselect_b32 s4, s42, s5
	s_cselect_b32 s5, s44, s33
	s_cmp_lg_u64 vcc, 0
	s_subb_u32 s25, s43, s25
	s_cmp_ge_u32 s25, s39
	v_readfirstlane_b32 s42, v1
	s_cselect_b32 s33, -1, 0
	s_cmp_ge_u32 s42, s38
	s_cselect_b32 s38, -1, 0
	s_cmp_eq_u32 s25, s39
	s_cselect_b32 s25, s38, s33
	s_cmp_lg_u32 s25, 0
	s_cselect_b32 s5, s5, s19
	s_cselect_b32 s4, s4, s3
	s_xor_b64 s[36:37], s[40:41], s[36:37]
	s_xor_b64 s[4:5], s[4:5], s[36:37]
	s_sub_u32 s4, s4, s36
	s_subb_u32 s5, s5, s37
	s_cbranch_execnz .LBB36_7
.LBB36_6:
	v_cvt_f32_u32_e32 v1, s6
	s_sub_i32 s3, 0, s6
	s_mov_b32 s5, 0
	v_rcp_iflag_f32_e32 v1, v1
	s_nop 0
	v_mul_f32_e32 v1, 0x4f7ffffe, v1
	v_cvt_u32_f32_e32 v1, v1
	s_nop 0
	v_readfirstlane_b32 s4, v1
	s_mul_i32 s3, s3, s4
	s_mul_hi_u32 s3, s4, s3
	s_add_i32 s4, s4, s3
	s_mul_hi_u32 s3, s30, s4
	s_mul_i32 s19, s3, s6
	s_sub_i32 s19, s30, s19
	s_add_i32 s4, s3, 1
	s_sub_i32 s25, s19, s6
	s_cmp_ge_u32 s19, s6
	s_cselect_b32 s3, s4, s3
	s_cselect_b32 s19, s25, s19
	s_add_i32 s4, s3, 1
	s_cmp_ge_u32 s19, s6
	s_cselect_b32 s4, s4, s3
.LBB36_7:
	s_mul_i32 s3, s4, s7
	s_mul_hi_u32 s7, s4, s6
	s_add_i32 s3, s7, s3
	s_mul_i32 s7, s5, s6
	s_add_i32 s3, s3, s7
	s_mul_i32 s6, s4, s6
	s_sub_u32 s33, s30, s6
	s_subb_u32 s3, s31, s3
	v_cmp_gt_i32_e32 vcc, s24, v0
	s_mul_hi_u32 s41, s4, s16
	s_mul_i32 s42, s5, s16
	s_mul_i32 s30, s4, s16
	s_mul_hi_u32 s40, s33, s17
	s_mul_i32 s5, s3, s17
	s_mul_i32 s6, s33, s17
	s_and_saveexec_b64 s[34:35], vcc
	s_cbranch_execz .LBB36_10
; %bb.8:
	s_mul_i32 s3, s2, s9
	s_mul_hi_u32 s7, s2, s8
	s_add_i32 s9, s7, s3
	s_load_dword s3, s[0:1], 0x8c
	s_mul_i32 s8, s2, s8
	s_ashr_i32 s25, s24, 31
	s_lshl_b64 s[38:39], s[8:9], 2
	s_add_u32 s8, s12, s38
	s_addc_u32 s9, s13, s39
	s_waitcnt lgkmcnt(0)
	s_and_b32 s3, s3, 0xffff
	s_ashr_i32 s7, s16, 31
	s_ashr_i32 s36, s17, 31
	;; [unrolled: 1-line block ×3, first 2 shown]
	s_lshl_b32 s43, s3, 2
	s_lshl_b64 s[44:45], s[24:25], 2
	s_add_u32 s28, s28, s44
	s_addc_u32 s29, s29, s45
	s_add_u32 s26, s26, s28
	s_addc_u32 s27, s27, s29
	;; [unrolled: 2-line block ×3, first 2 shown]
	s_add_u32 s12, s12, s28
	s_mul_i32 s7, s4, s7
	s_addc_u32 s13, s13, s29
	s_add_i32 s7, s41, s7
	s_add_i32 s31, s7, s42
	s_mul_i32 s7, s33, s36
	s_add_i32 s7, s40, s7
	s_add_i32 s7, s7, s5
	s_lshl_b64 s[28:29], s[24:25], 1
	s_lshl_b64 s[38:39], s[30:31], 1
	;; [unrolled: 1-line block ×3, first 2 shown]
	s_add_u32 s7, s38, s44
	s_addc_u32 s25, s39, s45
	s_lshl_b64 s[38:39], s[18:19], 1
	s_add_u32 s7, s7, s38
	s_addc_u32 s19, s25, s39
	v_mov_b32_e32 v3, 0
	s_add_u32 s38, s20, s7
	v_lshlrev_b32_e32 v4, 1, v0
	v_mov_b32_e32 v5, v3
	s_addc_u32 s39, s21, s19
	v_lshlrev_b32_e32 v2, 2, v0
	s_mov_b32 s37, 0
	v_lshl_add_u64 v[4:5], s[38:39], 0, v[4:5]
	s_lshl_b32 s36, s3, 1
	s_mov_b64 s[38:39], 0
	v_mov_b32_e32 v1, v0
.LBB36_9:                               ; =>This Inner Loop Header: Depth=1
	v_lshl_add_u64 v[8:9], s[26:27], 0, v[2:3]
	v_lshl_add_u64 v[6:7], s[22:23], 0, v[2:3]
	;; [unrolled: 1-line block ×4, first 2 shown]
	global_load_dword v14, v[8:9], off
	global_load_dword v15, v[12:13], off
	;; [unrolled: 1-line block ×4, first 2 shown]
	s_add_u32 s22, s22, s43
	s_addc_u32 s23, s23, 0
	s_add_u32 s26, s26, s43
	s_addc_u32 s27, s27, 0
	;; [unrolled: 2-line block ×3, first 2 shown]
	v_add_u32_e32 v1, s3, v1
	s_add_u32 s8, s8, s43
	v_cmp_le_i32_e32 vcc, s24, v1
	s_addc_u32 s9, s9, 0
	v_lshl_add_u64 v[6:7], v[4:5], 0, s[28:29]
	s_or_b64 s[38:39], vcc, s[38:39]
	s_waitcnt vmcnt(2)
	v_mul_f32_e32 v8, v14, v15
	s_waitcnt vmcnt(1)
	v_mul_f32_e32 v9, v16, v15
	s_waitcnt vmcnt(0)
	v_fma_f32 v8, v16, v17, -v8
	v_fmac_f32_e32 v9, v14, v17
	global_store_dword v[10:11], v8, off
	global_store_dword v[12:13], v9, off
	global_store_short v[4:5], v8, off
	global_store_short v[6:7], v9, off
	v_lshl_add_u64 v[4:5], v[4:5], 0, s[36:37]
	s_andn2_b64 exec, exec, s[38:39]
	s_cbranch_execnz .LBB36_9
.LBB36_10:
	s_or_b64 exec, exec, s[34:35]
	v_cmp_gt_i32_e32 vcc, s18, v0
	s_and_saveexec_b64 s[8:9], vcc
	s_cbranch_execz .LBB36_13
; %bb.11:
	s_mul_i32 s3, s2, s11
	s_mul_hi_u32 s7, s2, s10
	s_add_i32 s3, s7, s3
	s_mul_i32 s2, s2, s10
	s_lshl_b64 s[2:3], s[2:3], 2
	s_add_u32 s2, s14, s2
	s_addc_u32 s3, s15, s3
	s_ashr_i32 s7, s16, 31
	s_mul_i32 s4, s4, s7
	s_add_i32 s4, s41, s4
	s_add_i32 s31, s4, s42
	s_lshl_b64 s[8:9], s[30:31], 1
	s_add_u32 s4, s20, s8
	s_addc_u32 s8, s21, s9
	s_ashr_i32 s7, s17, 31
	s_mul_i32 s33, s33, s7
	s_load_dword s9, s[0:1], 0x8c
	s_add_i32 s7, s40, s33
	s_add_i32 s7, s7, s5
	s_lshl_b64 s[0:1], s[6:7], 1
	s_add_u32 s0, s4, s0
	s_addc_u32 s1, s8, s1
	s_waitcnt lgkmcnt(0)
	s_and_b32 s6, s9, 0xffff
	s_mov_b64 s[4:5], 0
.LBB36_12:                              ; =>This Inner Loop Header: Depth=1
	v_ashrrev_i32_e32 v1, 31, v0
	v_lshl_add_u64 v[2:3], v[0:1], 2, s[2:3]
	global_load_ushort v4, v[2:3], off
	v_lshl_add_u64 v[2:3], v[0:1], 1, s[0:1]
	v_add_u32_e32 v0, s6, v0
	v_cmp_le_i32_e32 vcc, s18, v0
	s_or_b64 s[4:5], vcc, s[4:5]
	s_waitcnt vmcnt(0)
	global_store_short v[2:3], v4, off
	s_andn2_b64 exec, exec, s[4:5]
	s_cbranch_execnz .LBB36_12
.LBB36_13:
	s_endpgm
.LBB36_14:
                                        ; implicit-def: $sgpr4_sgpr5
	s_branch .LBB36_6
	.section	.rodata,"a",@progbits
	.p2align	6, 0x0
	.amdhsa_kernel _ZN4vllm38concat_and_cache_mla_rope_fused_kernelIffLb1E14__hip_bfloat16S1_LNS_18Fp8KVCacheDataTypeE0EEEvPKlPT_S6_PKS5_PKT0_illlliPT3_S4_iiiiPKf
		.amdhsa_group_segment_fixed_size 0
		.amdhsa_private_segment_fixed_size 0
		.amdhsa_kernarg_size 384
		.amdhsa_user_sgpr_count 2
		.amdhsa_user_sgpr_dispatch_ptr 0
		.amdhsa_user_sgpr_queue_ptr 0
		.amdhsa_user_sgpr_kernarg_segment_ptr 1
		.amdhsa_user_sgpr_dispatch_id 0
		.amdhsa_user_sgpr_kernarg_preload_length 0
		.amdhsa_user_sgpr_kernarg_preload_offset 0
		.amdhsa_user_sgpr_private_segment_size 0
		.amdhsa_uses_dynamic_stack 0
		.amdhsa_enable_private_segment 0
		.amdhsa_system_sgpr_workgroup_id_x 1
		.amdhsa_system_sgpr_workgroup_id_y 0
		.amdhsa_system_sgpr_workgroup_id_z 0
		.amdhsa_system_sgpr_workgroup_info 0
		.amdhsa_system_vgpr_workitem_id 0
		.amdhsa_next_free_vgpr 18
		.amdhsa_next_free_sgpr 46
		.amdhsa_accum_offset 20
		.amdhsa_reserve_vcc 1
		.amdhsa_float_round_mode_32 0
		.amdhsa_float_round_mode_16_64 0
		.amdhsa_float_denorm_mode_32 3
		.amdhsa_float_denorm_mode_16_64 3
		.amdhsa_dx10_clamp 1
		.amdhsa_ieee_mode 1
		.amdhsa_fp16_overflow 0
		.amdhsa_tg_split 0
		.amdhsa_exception_fp_ieee_invalid_op 0
		.amdhsa_exception_fp_denorm_src 0
		.amdhsa_exception_fp_ieee_div_zero 0
		.amdhsa_exception_fp_ieee_overflow 0
		.amdhsa_exception_fp_ieee_underflow 0
		.amdhsa_exception_fp_ieee_inexact 0
		.amdhsa_exception_int_div_zero 0
	.end_amdhsa_kernel
	.section	.text._ZN4vllm38concat_and_cache_mla_rope_fused_kernelIffLb1E14__hip_bfloat16S1_LNS_18Fp8KVCacheDataTypeE0EEEvPKlPT_S6_PKS5_PKT0_illlliPT3_S4_iiiiPKf,"axG",@progbits,_ZN4vllm38concat_and_cache_mla_rope_fused_kernelIffLb1E14__hip_bfloat16S1_LNS_18Fp8KVCacheDataTypeE0EEEvPKlPT_S6_PKS5_PKT0_illlliPT3_S4_iiiiPKf,comdat
.Lfunc_end36:
	.size	_ZN4vllm38concat_and_cache_mla_rope_fused_kernelIffLb1E14__hip_bfloat16S1_LNS_18Fp8KVCacheDataTypeE0EEEvPKlPT_S6_PKS5_PKT0_illlliPT3_S4_iiiiPKf, .Lfunc_end36-_ZN4vllm38concat_and_cache_mla_rope_fused_kernelIffLb1E14__hip_bfloat16S1_LNS_18Fp8KVCacheDataTypeE0EEEvPKlPT_S6_PKS5_PKT0_illlliPT3_S4_iiiiPKf
                                        ; -- End function
	.section	.AMDGPU.csdata,"",@progbits
; Kernel info:
; codeLenInByte = 1944
; NumSgprs: 52
; NumVgprs: 18
; NumAgprs: 0
; TotalNumVgprs: 18
; ScratchSize: 0
; MemoryBound: 0
; FloatMode: 240
; IeeeMode: 1
; LDSByteSize: 0 bytes/workgroup (compile time only)
; SGPRBlocks: 6
; VGPRBlocks: 2
; NumSGPRsForWavesPerEU: 52
; NumVGPRsForWavesPerEU: 18
; AccumOffset: 20
; Occupancy: 8
; WaveLimiterHint : 1
; COMPUTE_PGM_RSRC2:SCRATCH_EN: 0
; COMPUTE_PGM_RSRC2:USER_SGPR: 2
; COMPUTE_PGM_RSRC2:TRAP_HANDLER: 0
; COMPUTE_PGM_RSRC2:TGID_X_EN: 1
; COMPUTE_PGM_RSRC2:TGID_Y_EN: 0
; COMPUTE_PGM_RSRC2:TGID_Z_EN: 0
; COMPUTE_PGM_RSRC2:TIDIG_COMP_CNT: 0
; COMPUTE_PGM_RSRC3_GFX90A:ACCUM_OFFSET: 4
; COMPUTE_PGM_RSRC3_GFX90A:TG_SPLIT: 0
	.section	.text._ZN4vllm38concat_and_cache_mla_rope_fused_kernelIffLb0E14__hip_bfloat16S1_LNS_18Fp8KVCacheDataTypeE0EEEvPKlPT_S6_PKS5_PKT0_illlliPT3_S4_iiiiPKf,"axG",@progbits,_ZN4vllm38concat_and_cache_mla_rope_fused_kernelIffLb0E14__hip_bfloat16S1_LNS_18Fp8KVCacheDataTypeE0EEEvPKlPT_S6_PKS5_PKT0_illlliPT3_S4_iiiiPKf,comdat
	.protected	_ZN4vllm38concat_and_cache_mla_rope_fused_kernelIffLb0E14__hip_bfloat16S1_LNS_18Fp8KVCacheDataTypeE0EEEvPKlPT_S6_PKS5_PKT0_illlliPT3_S4_iiiiPKf ; -- Begin function _ZN4vllm38concat_and_cache_mla_rope_fused_kernelIffLb0E14__hip_bfloat16S1_LNS_18Fp8KVCacheDataTypeE0EEEvPKlPT_S6_PKS5_PKT0_illlliPT3_S4_iiiiPKf
	.globl	_ZN4vllm38concat_and_cache_mla_rope_fused_kernelIffLb0E14__hip_bfloat16S1_LNS_18Fp8KVCacheDataTypeE0EEEvPKlPT_S6_PKS5_PKT0_illlliPT3_S4_iiiiPKf
	.p2align	8
	.type	_ZN4vllm38concat_and_cache_mla_rope_fused_kernelIffLb0E14__hip_bfloat16S1_LNS_18Fp8KVCacheDataTypeE0EEEvPKlPT_S6_PKS5_PKT0_illlliPT3_S4_iiiiPKf,@function
_ZN4vllm38concat_and_cache_mla_rope_fused_kernelIffLb0E14__hip_bfloat16S1_LNS_18Fp8KVCacheDataTypeE0EEEvPKlPT_S6_PKS5_PKT0_illlliPT3_S4_iiiiPKf: ; @_ZN4vllm38concat_and_cache_mla_rope_fused_kernelIffLb0E14__hip_bfloat16S1_LNS_18Fp8KVCacheDataTypeE0EEEvPKlPT_S6_PKS5_PKT0_illlliPT3_S4_iiiiPKf
; %bb.0:
	s_load_dwordx2 s[6:7], s[0:1], 0x60
	s_mov_b32 s3, 0
	s_lshl_b64 s[4:5], s[2:3], 3
	s_waitcnt lgkmcnt(0)
	s_add_u32 s6, s6, s4
	s_addc_u32 s7, s7, s5
	s_load_dwordx2 s[26:27], s[6:7], 0x0
	s_waitcnt lgkmcnt(0)
	v_cmp_lt_i64_e64 s[6:7], s[26:27], 0
	s_and_b64 vcc, exec, s[6:7]
	s_cbranch_vccnz .LBB37_13
; %bb.1:
	s_load_dword s3, s[0:1], 0x28
	s_load_dwordx2 s[6:7], s[0:1], 0x0
	s_load_dwordx4 s[12:15], s[0:1], 0x10
	s_waitcnt lgkmcnt(0)
	s_ashr_i32 s22, s3, 31
	s_add_u32 s16, s6, s4
	s_addc_u32 s17, s7, s5
	s_load_dwordx2 s[18:19], s[16:17], 0x0
	s_load_dwordx2 s[24:25], s[0:1], 0x20
	s_load_dwordx8 s[4:11], s[0:1], 0x30
	s_load_dwordx2 s[20:21], s[0:1], 0x58
	s_load_dword s23, s[0:1], 0x50
	s_waitcnt lgkmcnt(0)
	s_mul_i32 s16, s18, s22
	s_mul_hi_u32 s17, s18, s3
	s_mul_i32 s19, s19, s3
	s_add_i32 s16, s17, s16
	s_add_i32 s29, s16, s19
	s_lshr_b32 s16, s3, 31
	s_mul_i32 s28, s18, s3
	s_add_i32 s3, s3, s16
	s_ashr_i32 s22, s3, 1
	s_mul_i32 s3, s22, s23
	v_cmp_gt_i32_e32 vcc, s3, v0
	s_and_saveexec_b64 s[16:17], vcc
	s_cbranch_execz .LBB37_4
; %bb.2:
	s_load_dwordx2 s[30:31], s[0:1], 0x8
	s_load_dword s34, s[0:1], 0x8c
	s_lshl_b64 s[18:19], s[28:29], 2
	s_add_u32 s18, s24, s18
	s_mul_i32 s5, s2, s5
	s_mul_hi_u32 s33, s2, s4
	s_addc_u32 s19, s25, s19
	s_add_i32 s5, s33, s5
	s_mul_i32 s4, s2, s4
	s_ashr_i32 s23, s22, 31
	s_lshl_b64 s[4:5], s[4:5], 2
	s_waitcnt lgkmcnt(0)
	s_add_u32 s4, s30, s4
	s_addc_u32 s5, s31, s5
	s_abs_i32 s33, s22
	v_cvt_f32_u32_e32 v1, s33
	s_sub_i32 s30, 0, s33
	s_and_b32 s34, s34, 0xffff
	s_sub_i32 s35, 0, s22
	v_rcp_iflag_f32_e32 v1, v1
	s_lshl_b32 s37, s34, 1
	v_mov_b32_e32 v4, v0
	v_mul_f32_e32 v1, 0x4f7ffffe, v1
	v_cvt_u32_f32_e32 v1, v1
	v_mul_lo_u32 v2, s30, v1
	v_mul_hi_u32 v2, v1, v2
	s_lshl_b32 s30, s22, 1
	v_add_u32_e32 v1, v1, v2
	s_sub_i32 s36, 0, s30
	v_lshlrev_b32_e32 v2, 1, v0
	s_mov_b64 s[30:31], 0
.LBB37_3:                               ; =>This Inner Loop Header: Depth=1
	v_sub_u32_e32 v5, 0, v4
	v_max_i32_e32 v5, v4, v5
	v_mul_hi_u32 v6, v5, v1
	v_mul_lo_u32 v7, v6, s33
	v_sub_u32_e32 v5, v5, v7
	v_add_u32_e32 v8, 1, v6
	v_cmp_le_u32_e32 vcc, s33, v5
	v_subrev_u32_e32 v7, s33, v5
	v_ashrrev_i32_e32 v3, 31, v4
	v_cndmask_b32_e32 v6, v6, v8, vcc
	v_cndmask_b32_e32 v5, v5, v7, vcc
	v_add_u32_e32 v7, 1, v6
	v_cmp_le_u32_e32 vcc, s33, v5
	v_xor_b32_e32 v3, s23, v3
	s_nop 0
	v_cndmask_b32_e32 v5, v6, v7, vcc
	v_xor_b32_e32 v5, v5, v3
	v_sub_u32_e32 v3, v5, v3
	v_mad_u64_u32 v[6:7], s[38:39], s35, v3, v[4:5]
	v_ashrrev_i32_e32 v5, 31, v3
	v_mul_lo_u32 v12, v3, s7
	v_mad_u64_u32 v[8:9], s[38:39], v3, s6, 0
	v_mad_u64_u32 v[10:11], s[38:39], s36, v3, v[2:3]
	v_mul_lo_u32 v3, v5, s6
	v_ashrrev_i32_e32 v7, 31, v6
	v_add3_u32 v9, v9, v12, v3
	v_ashrrev_i32_e32 v11, 31, v10
	v_lshl_add_u64 v[6:7], v[6:7], 2, s[18:19]
	v_lshl_add_u64 v[8:9], v[8:9], 2, s[4:5]
	v_lshl_add_u64 v[12:13], s[22:23], 2, v[6:7]
	global_load_dword v3, v[6:7], off
	global_load_dword v5, v[12:13], off
	v_lshl_add_u64 v[6:7], v[10:11], 2, v[8:9]
	global_load_dwordx2 v[8:9], v[6:7], off
	v_add_u32_e32 v4, s34, v4
	v_cmp_le_i32_e32 vcc, s3, v4
	v_add_u32_e32 v2, s37, v2
	s_or_b64 s[30:31], vcc, s[30:31]
	s_waitcnt vmcnt(0)
	v_mul_f32_e32 v10, v5, v9
	v_mul_f32_e32 v11, v3, v9
	v_fma_f32 v10, v3, v8, -v10
	v_fmac_f32_e32 v11, v5, v8
	global_store_dwordx2 v[6:7], v[10:11], off
	s_andn2_b64 exec, exec, s[30:31]
	s_cbranch_execnz .LBB37_3
.LBB37_4:
	s_or_b64 exec, exec, s[16:17]
	s_load_dwordx4 s[16:19], s[0:1], 0x68
	s_waitcnt lgkmcnt(0)
	s_ashr_i32 s7, s19, 31
	s_mov_b32 s6, s19
	s_or_b64 s[4:5], s[26:27], s[6:7]
	s_mov_b32 s4, 0
	s_cmp_lg_u64 s[4:5], 0
	s_cbranch_scc0 .LBB37_14
; %bb.5:
	s_add_u32 s4, s6, s7
	s_mov_b32 s34, s7
	s_mov_b32 s35, s7
	s_addc_u32 s5, s7, s7
	s_xor_b64 s[36:37], s[4:5], s[34:35]
	v_cvt_f32_u32_e32 v1, s36
	v_cvt_f32_u32_e32 v2, s37
	s_sub_u32 s3, 0, s36
	s_subb_u32 s4, 0, s37
	v_fmamk_f32 v1, v2, 0x4f800000, v1
	v_rcp_f32_e32 v1, v1
	s_nop 0
	v_mul_f32_e32 v1, 0x5f7ffffc, v1
	v_mul_f32_e32 v2, 0x2f800000, v1
	v_trunc_f32_e32 v2, v2
	v_fmamk_f32 v1, v2, 0xcf800000, v1
	v_cvt_u32_f32_e32 v2, v2
	v_cvt_u32_f32_e32 v1, v1
	v_readfirstlane_b32 s5, v2
	v_readfirstlane_b32 s19, v1
	s_mul_i32 s23, s3, s5
	s_mul_hi_u32 s38, s3, s19
	s_mul_i32 s33, s4, s19
	s_add_i32 s23, s38, s23
	s_add_i32 s23, s23, s33
	s_mul_i32 s39, s3, s19
	s_mul_hi_u32 s33, s19, s23
	s_mul_i32 s38, s19, s23
	s_mul_hi_u32 s19, s19, s39
	s_add_u32 s19, s19, s38
	s_addc_u32 s33, 0, s33
	s_mul_hi_u32 s40, s5, s39
	s_mul_i32 s39, s5, s39
	s_add_u32 s19, s19, s39
	s_mul_hi_u32 s38, s5, s23
	s_addc_u32 s19, s33, s40
	s_addc_u32 s33, s38, 0
	s_mul_i32 s23, s5, s23
	s_add_u32 s19, s19, s23
	s_addc_u32 s23, 0, s33
	v_add_co_u32_e32 v1, vcc, s19, v1
	s_cmp_lg_u64 vcc, 0
	s_addc_u32 s5, s5, s23
	v_readfirstlane_b32 s23, v1
	s_mul_i32 s19, s3, s5
	s_mul_hi_u32 s33, s3, s23
	s_add_i32 s19, s33, s19
	s_mul_i32 s4, s4, s23
	s_add_i32 s19, s19, s4
	s_mul_i32 s3, s3, s23
	s_mul_hi_u32 s33, s5, s3
	s_mul_i32 s38, s5, s3
	s_mul_i32 s40, s23, s19
	s_mul_hi_u32 s3, s23, s3
	s_mul_hi_u32 s39, s23, s19
	s_add_u32 s3, s3, s40
	s_addc_u32 s23, 0, s39
	s_add_u32 s3, s3, s38
	s_mul_hi_u32 s4, s5, s19
	s_addc_u32 s3, s23, s33
	s_addc_u32 s4, s4, 0
	s_mul_i32 s19, s5, s19
	s_add_u32 s3, s3, s19
	s_addc_u32 s4, 0, s4
	v_add_co_u32_e32 v1, vcc, s3, v1
	s_cmp_lg_u64 vcc, 0
	s_addc_u32 s3, s5, s4
	s_ashr_i32 s38, s27, 31
	s_add_u32 s4, s26, s38
	s_mov_b32 s39, s38
	s_addc_u32 s5, s27, s38
	s_xor_b64 s[40:41], s[4:5], s[38:39]
	v_readfirstlane_b32 s19, v1
	s_mul_i32 s5, s40, s3
	s_mul_hi_u32 s23, s40, s19
	s_mul_hi_u32 s4, s40, s3
	s_add_u32 s5, s23, s5
	s_addc_u32 s4, 0, s4
	s_mul_hi_u32 s33, s41, s19
	s_mul_i32 s19, s41, s19
	s_add_u32 s5, s5, s19
	s_mul_hi_u32 s23, s41, s3
	s_addc_u32 s4, s4, s33
	s_addc_u32 s5, s23, 0
	s_mul_i32 s3, s41, s3
	s_add_u32 s3, s4, s3
	s_addc_u32 s19, 0, s5
	s_mul_i32 s4, s36, s19
	s_mul_hi_u32 s5, s36, s3
	s_add_i32 s4, s5, s4
	s_mul_i32 s5, s37, s3
	s_add_i32 s23, s4, s5
	s_mul_i32 s5, s36, s3
	v_mov_b32_e32 v1, s5
	s_sub_i32 s4, s41, s23
	v_sub_co_u32_e32 v1, vcc, s40, v1
	s_cmp_lg_u64 vcc, 0
	s_subb_u32 s33, s4, s37
	v_subrev_co_u32_e64 v2, s[4:5], s36, v1
	s_cmp_lg_u64 s[4:5], 0
	s_subb_u32 s4, s33, 0
	s_cmp_ge_u32 s4, s37
	v_readfirstlane_b32 s33, v2
	s_cselect_b32 s5, -1, 0
	s_cmp_ge_u32 s33, s36
	s_cselect_b32 s33, -1, 0
	s_cmp_eq_u32 s4, s37
	s_cselect_b32 s4, s33, s5
	s_add_u32 s5, s3, 1
	s_addc_u32 s33, s19, 0
	s_add_u32 s40, s3, 2
	s_addc_u32 s42, s19, 0
	s_cmp_lg_u32 s4, 0
	s_cselect_b32 s4, s40, s5
	s_cselect_b32 s5, s42, s33
	s_cmp_lg_u64 vcc, 0
	s_subb_u32 s23, s41, s23
	s_cmp_ge_u32 s23, s37
	v_readfirstlane_b32 s40, v1
	s_cselect_b32 s33, -1, 0
	s_cmp_ge_u32 s40, s36
	s_cselect_b32 s36, -1, 0
	s_cmp_eq_u32 s23, s37
	s_cselect_b32 s23, s36, s33
	s_cmp_lg_u32 s23, 0
	s_cselect_b32 s5, s5, s19
	s_cselect_b32 s4, s4, s3
	s_xor_b64 s[34:35], s[38:39], s[34:35]
	s_xor_b64 s[4:5], s[4:5], s[34:35]
	s_sub_u32 s4, s4, s34
	s_subb_u32 s5, s5, s35
	s_cbranch_execnz .LBB37_7
.LBB37_6:
	v_cvt_f32_u32_e32 v1, s6
	s_sub_i32 s3, 0, s6
	s_mov_b32 s5, 0
	v_rcp_iflag_f32_e32 v1, v1
	s_nop 0
	v_mul_f32_e32 v1, 0x4f7ffffe, v1
	v_cvt_u32_f32_e32 v1, v1
	s_nop 0
	v_readfirstlane_b32 s4, v1
	s_mul_i32 s3, s3, s4
	s_mul_hi_u32 s3, s4, s3
	s_add_i32 s4, s4, s3
	s_mul_hi_u32 s3, s26, s4
	s_mul_i32 s19, s3, s6
	s_sub_i32 s19, s26, s19
	s_add_i32 s4, s3, 1
	s_sub_i32 s23, s19, s6
	s_cmp_ge_u32 s19, s6
	s_cselect_b32 s3, s4, s3
	s_cselect_b32 s19, s23, s19
	s_add_i32 s4, s3, 1
	s_cmp_ge_u32 s19, s6
	s_cselect_b32 s4, s4, s3
.LBB37_7:
	s_mul_i32 s3, s4, s7
	s_mul_hi_u32 s7, s4, s6
	s_add_i32 s3, s7, s3
	s_mul_i32 s7, s5, s6
	s_add_i32 s3, s3, s7
	s_mul_i32 s6, s4, s6
	s_sub_u32 s33, s26, s6
	s_subb_u32 s3, s27, s3
	v_cmp_gt_i32_e32 vcc, s22, v0
	s_mul_hi_u32 s35, s4, s16
	s_mul_i32 s36, s5, s16
	s_mul_i32 s26, s4, s16
	s_mul_hi_u32 s34, s33, s17
	s_mul_i32 s5, s3, s17
	s_mul_i32 s6, s33, s17
	s_and_saveexec_b64 s[30:31], vcc
	s_cbranch_execz .LBB37_10
; %bb.8:
	s_load_dword s3, s[0:1], 0x8c
	s_ashr_i32 s23, s22, 31
	s_ashr_i32 s7, s16, 31
	;; [unrolled: 1-line block ×4, first 2 shown]
	s_waitcnt lgkmcnt(0)
	s_and_b32 s3, s3, 0xffff
	s_lshl_b64 s[38:39], s[28:29], 2
	s_add_u32 s24, s24, s38
	v_lshlrev_b32_e32 v6, 2, v0
	v_mov_b32_e32 v7, 0
	s_addc_u32 s25, s25, s39
	v_lshl_add_u64 v[2:3], s[24:25], 0, v[6:7]
	s_lshl_b64 s[24:25], s[22:23], 2
	s_mul_i32 s9, s9, s2
	s_mul_hi_u32 s23, s8, s2
	s_add_i32 s9, s23, s9
	s_mul_i32 s8, s8, s2
	s_lshl_b32 s28, s3, 2
	s_lshl_b64 s[8:9], s[8:9], 2
	s_add_u32 s8, s12, s8
	s_mul_i32 s7, s4, s7
	s_addc_u32 s9, s13, s9
	s_add_i32 s7, s35, s7
	s_add_i32 s27, s7, s36
	s_mul_i32 s7, s33, s37
	s_add_i32 s7, s34, s7
	v_lshlrev_b32_e32 v4, 3, v0
	v_mov_b32_e32 v5, v7
	s_add_i32 s7, s7, s5
	v_lshl_add_u64 v[4:5], s[8:9], 0, v[4:5]
	s_lshl_b32 s8, s3, 3
	s_lshl_b64 s[12:13], s[26:27], 1
	s_lshl_b64 s[38:39], s[6:7], 1
	s_add_u32 s7, s12, s38
	s_addc_u32 s23, s13, s39
	s_lshl_b64 s[12:13], s[18:19], 1
	s_add_u32 s12, s20, s12
	s_addc_u32 s13, s21, s13
	s_add_u32 s12, s12, s7
	s_mov_b32 s29, 0
	s_addc_u32 s13, s13, s23
	v_lshl_add_u64 v[4:5], v[4:5], 0, 4
	s_mov_b32 s9, s29
	v_lshl_add_u64 v[6:7], s[12:13], 0, v[6:7]
	s_mov_b64 s[12:13], 0
	s_mov_b32 s7, 0x5040100
	v_mov_b32_e32 v1, v0
.LBB37_9:                               ; =>This Inner Loop Header: Depth=1
	v_lshl_add_u64 v[8:9], v[2:3], 0, s[24:25]
	global_load_dword v10, v[8:9], off
	global_load_dwordx2 v[12:13], v[4:5], off offset:-4
	global_load_dword v14, v[2:3], off
	v_add_u32_e32 v1, s3, v1
	v_cmp_le_i32_e32 vcc, s22, v1
	v_lshl_add_u64 v[2:3], v[2:3], 0, s[28:29]
	s_or_b64 s[12:13], vcc, s[12:13]
	s_waitcnt vmcnt(1)
	v_pk_mul_f32 v[8:9], v[10:11], v[12:13] op_sel_hi:[0,1]
	s_waitcnt vmcnt(0)
	v_pk_fma_f32 v[10:11], v[14:15], v[12:13], v[8:9] op_sel:[0,0,1] op_sel_hi:[1,1,0] neg_lo:[0,0,1] neg_hi:[0,0,1]
	v_pk_fma_f32 v[8:9], v[14:15], v[12:13], v[8:9] op_sel:[0,0,1] op_sel_hi:[0,1,0]
	v_mov_b32_e32 v11, v9
	v_perm_b32 v8, v9, v10, s7
	global_store_dwordx2 v[4:5], v[10:11], off offset:-4
	global_store_dword v[6:7], v8, off
	v_lshl_add_u64 v[4:5], v[4:5], 0, s[8:9]
	v_lshl_add_u64 v[6:7], v[6:7], 0, s[28:29]
	s_andn2_b64 exec, exec, s[12:13]
	s_cbranch_execnz .LBB37_9
.LBB37_10:
	s_or_b64 exec, exec, s[30:31]
	v_cmp_gt_i32_e32 vcc, s18, v0
	s_and_saveexec_b64 s[8:9], vcc
	s_cbranch_execz .LBB37_13
; %bb.11:
	s_mul_i32 s3, s2, s11
	s_mul_hi_u32 s7, s2, s10
	s_add_i32 s3, s7, s3
	s_mul_i32 s2, s2, s10
	s_lshl_b64 s[2:3], s[2:3], 2
	s_add_u32 s2, s14, s2
	s_addc_u32 s3, s15, s3
	s_ashr_i32 s7, s16, 31
	s_mul_i32 s4, s4, s7
	s_add_i32 s4, s35, s4
	s_add_i32 s27, s4, s36
	s_lshl_b64 s[8:9], s[26:27], 1
	s_add_u32 s4, s20, s8
	s_addc_u32 s8, s21, s9
	s_ashr_i32 s7, s17, 31
	s_mul_i32 s33, s33, s7
	s_load_dword s9, s[0:1], 0x8c
	s_add_i32 s7, s34, s33
	s_add_i32 s7, s7, s5
	s_lshl_b64 s[0:1], s[6:7], 1
	s_add_u32 s0, s4, s0
	s_addc_u32 s1, s8, s1
	s_waitcnt lgkmcnt(0)
	s_and_b32 s6, s9, 0xffff
	s_mov_b64 s[4:5], 0
.LBB37_12:                              ; =>This Inner Loop Header: Depth=1
	v_ashrrev_i32_e32 v1, 31, v0
	v_lshl_add_u64 v[2:3], v[0:1], 2, s[2:3]
	global_load_ushort v4, v[2:3], off
	v_lshl_add_u64 v[2:3], v[0:1], 1, s[0:1]
	v_add_u32_e32 v0, s6, v0
	v_cmp_le_i32_e32 vcc, s18, v0
	s_or_b64 s[4:5], vcc, s[4:5]
	s_waitcnt vmcnt(0)
	global_store_short v[2:3], v4, off
	s_andn2_b64 exec, exec, s[4:5]
	s_cbranch_execnz .LBB37_12
.LBB37_13:
	s_endpgm
.LBB37_14:
                                        ; implicit-def: $sgpr4_sgpr5
	s_branch .LBB37_6
	.section	.rodata,"a",@progbits
	.p2align	6, 0x0
	.amdhsa_kernel _ZN4vllm38concat_and_cache_mla_rope_fused_kernelIffLb0E14__hip_bfloat16S1_LNS_18Fp8KVCacheDataTypeE0EEEvPKlPT_S6_PKS5_PKT0_illlliPT3_S4_iiiiPKf
		.amdhsa_group_segment_fixed_size 0
		.amdhsa_private_segment_fixed_size 0
		.amdhsa_kernarg_size 384
		.amdhsa_user_sgpr_count 2
		.amdhsa_user_sgpr_dispatch_ptr 0
		.amdhsa_user_sgpr_queue_ptr 0
		.amdhsa_user_sgpr_kernarg_segment_ptr 1
		.amdhsa_user_sgpr_dispatch_id 0
		.amdhsa_user_sgpr_kernarg_preload_length 0
		.amdhsa_user_sgpr_kernarg_preload_offset 0
		.amdhsa_user_sgpr_private_segment_size 0
		.amdhsa_uses_dynamic_stack 0
		.amdhsa_enable_private_segment 0
		.amdhsa_system_sgpr_workgroup_id_x 1
		.amdhsa_system_sgpr_workgroup_id_y 0
		.amdhsa_system_sgpr_workgroup_id_z 0
		.amdhsa_system_sgpr_workgroup_info 0
		.amdhsa_system_vgpr_workitem_id 0
		.amdhsa_next_free_vgpr 16
		.amdhsa_next_free_sgpr 43
		.amdhsa_accum_offset 16
		.amdhsa_reserve_vcc 1
		.amdhsa_float_round_mode_32 0
		.amdhsa_float_round_mode_16_64 0
		.amdhsa_float_denorm_mode_32 3
		.amdhsa_float_denorm_mode_16_64 3
		.amdhsa_dx10_clamp 1
		.amdhsa_ieee_mode 1
		.amdhsa_fp16_overflow 0
		.amdhsa_tg_split 0
		.amdhsa_exception_fp_ieee_invalid_op 0
		.amdhsa_exception_fp_denorm_src 0
		.amdhsa_exception_fp_ieee_div_zero 0
		.amdhsa_exception_fp_ieee_overflow 0
		.amdhsa_exception_fp_ieee_underflow 0
		.amdhsa_exception_fp_ieee_inexact 0
		.amdhsa_exception_int_div_zero 0
	.end_amdhsa_kernel
	.section	.text._ZN4vllm38concat_and_cache_mla_rope_fused_kernelIffLb0E14__hip_bfloat16S1_LNS_18Fp8KVCacheDataTypeE0EEEvPKlPT_S6_PKS5_PKT0_illlliPT3_S4_iiiiPKf,"axG",@progbits,_ZN4vllm38concat_and_cache_mla_rope_fused_kernelIffLb0E14__hip_bfloat16S1_LNS_18Fp8KVCacheDataTypeE0EEEvPKlPT_S6_PKS5_PKT0_illlliPT3_S4_iiiiPKf,comdat
.Lfunc_end37:
	.size	_ZN4vllm38concat_and_cache_mla_rope_fused_kernelIffLb0E14__hip_bfloat16S1_LNS_18Fp8KVCacheDataTypeE0EEEvPKlPT_S6_PKS5_PKT0_illlliPT3_S4_iiiiPKf, .Lfunc_end37-_ZN4vllm38concat_and_cache_mla_rope_fused_kernelIffLb0E14__hip_bfloat16S1_LNS_18Fp8KVCacheDataTypeE0EEEvPKlPT_S6_PKS5_PKT0_illlliPT3_S4_iiiiPKf
                                        ; -- End function
	.section	.AMDGPU.csdata,"",@progbits
; Kernel info:
; codeLenInByte = 1892
; NumSgprs: 49
; NumVgprs: 16
; NumAgprs: 0
; TotalNumVgprs: 16
; ScratchSize: 0
; MemoryBound: 0
; FloatMode: 240
; IeeeMode: 1
; LDSByteSize: 0 bytes/workgroup (compile time only)
; SGPRBlocks: 6
; VGPRBlocks: 1
; NumSGPRsForWavesPerEU: 49
; NumVGPRsForWavesPerEU: 16
; AccumOffset: 16
; Occupancy: 8
; WaveLimiterHint : 1
; COMPUTE_PGM_RSRC2:SCRATCH_EN: 0
; COMPUTE_PGM_RSRC2:USER_SGPR: 2
; COMPUTE_PGM_RSRC2:TRAP_HANDLER: 0
; COMPUTE_PGM_RSRC2:TGID_X_EN: 1
; COMPUTE_PGM_RSRC2:TGID_Y_EN: 0
; COMPUTE_PGM_RSRC2:TGID_Z_EN: 0
; COMPUTE_PGM_RSRC2:TIDIG_COMP_CNT: 0
; COMPUTE_PGM_RSRC3_GFX90A:ACCUM_OFFSET: 3
; COMPUTE_PGM_RSRC3_GFX90A:TG_SPLIT: 0
	.section	.text._ZN4vllm38concat_and_cache_mla_rope_fused_kernelIfN3c104HalfELb1E14__hip_bfloat16S3_LNS_18Fp8KVCacheDataTypeE0EEEvPKlPT_S8_PKS7_PKT0_illlliPT3_S6_iiiiPKf,"axG",@progbits,_ZN4vllm38concat_and_cache_mla_rope_fused_kernelIfN3c104HalfELb1E14__hip_bfloat16S3_LNS_18Fp8KVCacheDataTypeE0EEEvPKlPT_S8_PKS7_PKT0_illlliPT3_S6_iiiiPKf,comdat
	.protected	_ZN4vllm38concat_and_cache_mla_rope_fused_kernelIfN3c104HalfELb1E14__hip_bfloat16S3_LNS_18Fp8KVCacheDataTypeE0EEEvPKlPT_S8_PKS7_PKT0_illlliPT3_S6_iiiiPKf ; -- Begin function _ZN4vllm38concat_and_cache_mla_rope_fused_kernelIfN3c104HalfELb1E14__hip_bfloat16S3_LNS_18Fp8KVCacheDataTypeE0EEEvPKlPT_S8_PKS7_PKT0_illlliPT3_S6_iiiiPKf
	.globl	_ZN4vllm38concat_and_cache_mla_rope_fused_kernelIfN3c104HalfELb1E14__hip_bfloat16S3_LNS_18Fp8KVCacheDataTypeE0EEEvPKlPT_S8_PKS7_PKT0_illlliPT3_S6_iiiiPKf
	.p2align	8
	.type	_ZN4vllm38concat_and_cache_mla_rope_fused_kernelIfN3c104HalfELb1E14__hip_bfloat16S3_LNS_18Fp8KVCacheDataTypeE0EEEvPKlPT_S8_PKS7_PKT0_illlliPT3_S6_iiiiPKf,@function
_ZN4vllm38concat_and_cache_mla_rope_fused_kernelIfN3c104HalfELb1E14__hip_bfloat16S3_LNS_18Fp8KVCacheDataTypeE0EEEvPKlPT_S8_PKS7_PKT0_illlliPT3_S6_iiiiPKf: ; @_ZN4vllm38concat_and_cache_mla_rope_fused_kernelIfN3c104HalfELb1E14__hip_bfloat16S3_LNS_18Fp8KVCacheDataTypeE0EEEvPKlPT_S8_PKS7_PKT0_illlliPT3_S6_iiiiPKf
; %bb.0:
	s_load_dwordx2 s[6:7], s[0:1], 0x60
	s_mov_b32 s3, 0
	s_lshl_b64 s[4:5], s[2:3], 3
	s_waitcnt lgkmcnt(0)
	s_add_u32 s6, s6, s4
	s_addc_u32 s7, s7, s5
	s_load_dwordx2 s[30:31], s[6:7], 0x0
	s_waitcnt lgkmcnt(0)
	v_cmp_lt_i64_e64 s[6:7], s[30:31], 0
	s_and_b64 vcc, exec, s[6:7]
	s_cbranch_vccnz .LBB38_13
; %bb.1:
	s_load_dword s3, s[0:1], 0x28
	s_load_dwordx2 s[6:7], s[0:1], 0x0
	s_load_dwordx4 s[12:15], s[0:1], 0x10
	s_waitcnt lgkmcnt(0)
	s_ashr_i32 s22, s3, 31
	s_add_u32 s16, s6, s4
	s_addc_u32 s17, s7, s5
	s_load_dwordx2 s[18:19], s[16:17], 0x0
	s_load_dwordx2 s[26:27], s[0:1], 0x20
	s_load_dwordx8 s[4:11], s[0:1], 0x30
	s_load_dwordx2 s[20:21], s[0:1], 0x58
	s_load_dword s25, s[0:1], 0x50
	s_waitcnt lgkmcnt(0)
	s_mul_i32 s16, s18, s22
	s_mul_hi_u32 s17, s18, s3
	s_mul_i32 s19, s19, s3
	s_add_i32 s16, s17, s16
	s_add_i32 s17, s16, s19
	s_mul_i32 s16, s18, s3
	s_lshl_b64 s[28:29], s[16:17], 1
	s_add_u32 s22, s26, s28
	s_addc_u32 s23, s27, s29
	s_lshr_b32 s16, s3, 31
	s_add_i32 s3, s3, s16
	s_ashr_i32 s24, s3, 1
	s_mul_i32 s3, s24, s25
	v_cmp_gt_i32_e32 vcc, s3, v0
	s_and_saveexec_b64 s[16:17], vcc
	s_cbranch_execz .LBB38_4
; %bb.2:
	s_load_dwordx2 s[18:19], s[0:1], 0x8
	s_load_dword s34, s[0:1], 0x8c
	s_mul_i32 s5, s2, s5
	s_mul_hi_u32 s33, s2, s4
	s_add_i32 s5, s33, s5
	s_mul_i32 s4, s2, s4
	s_ashr_i32 s25, s24, 31
	s_lshl_b64 s[4:5], s[4:5], 2
	s_waitcnt lgkmcnt(0)
	s_add_u32 s4, s18, s4
	s_addc_u32 s5, s19, s5
	s_abs_i32 s33, s24
	v_cvt_f32_u32_e32 v1, s33
	s_sub_i32 s36, 0, s33
	s_mov_b64 s[18:19], 0
	s_and_b32 s34, s34, 0xffff
	v_rcp_iflag_f32_e32 v1, v1
	s_sub_i32 s35, 0, s24
	v_mul_f32_e32 v1, 0x4f7ffffe, v1
	v_cvt_u32_f32_e32 v1, v1
	v_mul_lo_u32 v2, s36, v1
	v_mul_hi_u32 v2, v1, v2
	v_add_u32_e32 v1, v1, v2
	v_mov_b32_e32 v2, v0
.LBB38_3:                               ; =>This Inner Loop Header: Depth=1
	v_sub_u32_e32 v4, 0, v2
	v_max_i32_e32 v4, v2, v4
	v_mul_hi_u32 v5, v4, v1
	v_mul_lo_u32 v6, v5, s33
	v_sub_u32_e32 v4, v4, v6
	v_add_u32_e32 v7, 1, v5
	v_cmp_le_u32_e32 vcc, s33, v4
	v_subrev_u32_e32 v6, s33, v4
	v_ashrrev_i32_e32 v3, 31, v2
	v_cndmask_b32_e32 v5, v5, v7, vcc
	v_cndmask_b32_e32 v4, v4, v6, vcc
	v_add_u32_e32 v6, 1, v5
	v_cmp_le_u32_e32 vcc, s33, v4
	v_xor_b32_e32 v3, s25, v3
	s_nop 0
	v_cndmask_b32_e32 v4, v5, v6, vcc
	v_xor_b32_e32 v4, v4, v3
	v_sub_u32_e32 v3, v4, v3
	v_mad_u64_u32 v[4:5], s[36:37], s35, v3, v[2:3]
	v_ashrrev_i32_e32 v8, 31, v3
	v_ashrrev_i32_e32 v5, 31, v4
	v_mul_lo_u32 v10, v3, s7
	v_mad_u64_u32 v[6:7], s[36:37], v3, s6, 0
	v_mul_lo_u32 v3, v8, s6
	v_lshl_add_u64 v[8:9], v[4:5], 1, s[22:23]
	v_add3_u32 v7, v7, v10, v3
	v_lshl_add_u64 v[10:11], s[24:25], 1, v[8:9]
	global_load_ushort v3, v[8:9], off
	global_load_ushort v12, v[10:11], off
	v_lshl_add_u64 v[6:7], v[6:7], 2, s[4:5]
	v_lshl_add_u64 v[4:5], v[4:5], 2, v[6:7]
	;; [unrolled: 1-line block ×3, first 2 shown]
	global_load_dword v8, v[4:5], off
	global_load_dword v9, v[6:7], off
	v_add_u32_e32 v2, s34, v2
	v_cmp_le_i32_e32 vcc, s3, v2
	s_or_b64 s[18:19], vcc, s[18:19]
	s_waitcnt vmcnt(3)
	v_cvt_f32_f16_e32 v10, v3
	s_waitcnt vmcnt(2)
	v_cvt_f32_f16_e32 v11, v12
	s_waitcnt vmcnt(0)
	v_mul_f32_e32 v10, v9, v10
	v_mul_f32_e32 v9, v9, v11
	v_fma_mix_f32 v3, v8, v3, -v9 op_sel_hi:[0,1,0]
	v_fma_mix_f32 v10, v8, v12, v10 op_sel_hi:[0,1,0]
	global_store_dword v[4:5], v3, off
	global_store_dword v[6:7], v10, off
	s_andn2_b64 exec, exec, s[18:19]
	s_cbranch_execnz .LBB38_3
.LBB38_4:
	s_or_b64 exec, exec, s[16:17]
	s_load_dwordx4 s[16:19], s[0:1], 0x68
	s_waitcnt lgkmcnt(0)
	s_ashr_i32 s7, s19, 31
	s_mov_b32 s6, s19
	s_or_b64 s[4:5], s[30:31], s[6:7]
	s_mov_b32 s4, 0
	s_cmp_lg_u64 s[4:5], 0
	s_cbranch_scc0 .LBB38_14
; %bb.5:
	s_add_u32 s4, s6, s7
	s_mov_b32 s36, s7
	s_mov_b32 s37, s7
	s_addc_u32 s5, s7, s7
	s_xor_b64 s[38:39], s[4:5], s[36:37]
	v_cvt_f32_u32_e32 v1, s38
	v_cvt_f32_u32_e32 v2, s39
	s_sub_u32 s3, 0, s38
	s_subb_u32 s4, 0, s39
	v_fmamk_f32 v1, v2, 0x4f800000, v1
	v_rcp_f32_e32 v1, v1
	s_nop 0
	v_mul_f32_e32 v1, 0x5f7ffffc, v1
	v_mul_f32_e32 v2, 0x2f800000, v1
	v_trunc_f32_e32 v2, v2
	v_fmamk_f32 v1, v2, 0xcf800000, v1
	v_cvt_u32_f32_e32 v2, v2
	v_cvt_u32_f32_e32 v1, v1
	v_readfirstlane_b32 s5, v2
	v_readfirstlane_b32 s19, v1
	s_mul_i32 s25, s3, s5
	s_mul_hi_u32 s40, s3, s19
	s_mul_i32 s33, s4, s19
	s_add_i32 s25, s40, s25
	s_add_i32 s25, s25, s33
	s_mul_i32 s41, s3, s19
	s_mul_hi_u32 s33, s19, s25
	s_mul_i32 s40, s19, s25
	s_mul_hi_u32 s19, s19, s41
	s_add_u32 s19, s19, s40
	s_addc_u32 s33, 0, s33
	s_mul_hi_u32 s42, s5, s41
	s_mul_i32 s41, s5, s41
	s_add_u32 s19, s19, s41
	s_mul_hi_u32 s40, s5, s25
	s_addc_u32 s19, s33, s42
	s_addc_u32 s33, s40, 0
	s_mul_i32 s25, s5, s25
	s_add_u32 s19, s19, s25
	s_addc_u32 s25, 0, s33
	v_add_co_u32_e32 v1, vcc, s19, v1
	s_cmp_lg_u64 vcc, 0
	s_addc_u32 s5, s5, s25
	v_readfirstlane_b32 s25, v1
	s_mul_i32 s19, s3, s5
	s_mul_hi_u32 s33, s3, s25
	s_add_i32 s19, s33, s19
	s_mul_i32 s4, s4, s25
	s_add_i32 s19, s19, s4
	s_mul_i32 s3, s3, s25
	s_mul_hi_u32 s33, s5, s3
	s_mul_i32 s40, s5, s3
	s_mul_i32 s42, s25, s19
	s_mul_hi_u32 s3, s25, s3
	s_mul_hi_u32 s41, s25, s19
	s_add_u32 s3, s3, s42
	s_addc_u32 s25, 0, s41
	s_add_u32 s3, s3, s40
	s_mul_hi_u32 s4, s5, s19
	s_addc_u32 s3, s25, s33
	s_addc_u32 s4, s4, 0
	s_mul_i32 s19, s5, s19
	s_add_u32 s3, s3, s19
	s_addc_u32 s4, 0, s4
	v_add_co_u32_e32 v1, vcc, s3, v1
	s_cmp_lg_u64 vcc, 0
	s_addc_u32 s3, s5, s4
	s_ashr_i32 s40, s31, 31
	s_add_u32 s4, s30, s40
	s_mov_b32 s41, s40
	s_addc_u32 s5, s31, s40
	s_xor_b64 s[42:43], s[4:5], s[40:41]
	v_readfirstlane_b32 s19, v1
	s_mul_i32 s5, s42, s3
	s_mul_hi_u32 s25, s42, s19
	s_mul_hi_u32 s4, s42, s3
	s_add_u32 s5, s25, s5
	s_addc_u32 s4, 0, s4
	s_mul_hi_u32 s33, s43, s19
	s_mul_i32 s19, s43, s19
	s_add_u32 s5, s5, s19
	s_mul_hi_u32 s25, s43, s3
	s_addc_u32 s4, s4, s33
	s_addc_u32 s5, s25, 0
	s_mul_i32 s3, s43, s3
	s_add_u32 s3, s4, s3
	s_addc_u32 s19, 0, s5
	s_mul_i32 s4, s38, s19
	s_mul_hi_u32 s5, s38, s3
	s_add_i32 s4, s5, s4
	s_mul_i32 s5, s39, s3
	s_add_i32 s25, s4, s5
	s_mul_i32 s5, s38, s3
	v_mov_b32_e32 v1, s5
	s_sub_i32 s4, s43, s25
	v_sub_co_u32_e32 v1, vcc, s42, v1
	s_cmp_lg_u64 vcc, 0
	s_subb_u32 s33, s4, s39
	v_subrev_co_u32_e64 v2, s[4:5], s38, v1
	s_cmp_lg_u64 s[4:5], 0
	s_subb_u32 s4, s33, 0
	s_cmp_ge_u32 s4, s39
	v_readfirstlane_b32 s33, v2
	s_cselect_b32 s5, -1, 0
	s_cmp_ge_u32 s33, s38
	s_cselect_b32 s33, -1, 0
	s_cmp_eq_u32 s4, s39
	s_cselect_b32 s4, s33, s5
	s_add_u32 s5, s3, 1
	s_addc_u32 s33, s19, 0
	s_add_u32 s42, s3, 2
	s_addc_u32 s44, s19, 0
	s_cmp_lg_u32 s4, 0
	s_cselect_b32 s4, s42, s5
	s_cselect_b32 s5, s44, s33
	s_cmp_lg_u64 vcc, 0
	s_subb_u32 s25, s43, s25
	s_cmp_ge_u32 s25, s39
	v_readfirstlane_b32 s42, v1
	s_cselect_b32 s33, -1, 0
	s_cmp_ge_u32 s42, s38
	s_cselect_b32 s38, -1, 0
	s_cmp_eq_u32 s25, s39
	s_cselect_b32 s25, s38, s33
	s_cmp_lg_u32 s25, 0
	s_cselect_b32 s5, s5, s19
	s_cselect_b32 s4, s4, s3
	s_xor_b64 s[36:37], s[40:41], s[36:37]
	s_xor_b64 s[4:5], s[4:5], s[36:37]
	s_sub_u32 s4, s4, s36
	s_subb_u32 s5, s5, s37
	s_cbranch_execnz .LBB38_7
.LBB38_6:
	v_cvt_f32_u32_e32 v1, s6
	s_sub_i32 s3, 0, s6
	s_mov_b32 s5, 0
	v_rcp_iflag_f32_e32 v1, v1
	s_nop 0
	v_mul_f32_e32 v1, 0x4f7ffffe, v1
	v_cvt_u32_f32_e32 v1, v1
	s_nop 0
	v_readfirstlane_b32 s4, v1
	s_mul_i32 s3, s3, s4
	s_mul_hi_u32 s3, s4, s3
	s_add_i32 s4, s4, s3
	s_mul_hi_u32 s3, s30, s4
	s_mul_i32 s19, s3, s6
	s_sub_i32 s19, s30, s19
	s_add_i32 s4, s3, 1
	s_sub_i32 s25, s19, s6
	s_cmp_ge_u32 s19, s6
	s_cselect_b32 s3, s4, s3
	s_cselect_b32 s19, s25, s19
	s_add_i32 s4, s3, 1
	s_cmp_ge_u32 s19, s6
	s_cselect_b32 s4, s4, s3
.LBB38_7:
	s_mul_i32 s3, s4, s7
	s_mul_hi_u32 s7, s4, s6
	s_add_i32 s3, s7, s3
	s_mul_i32 s7, s5, s6
	s_add_i32 s3, s3, s7
	s_mul_i32 s6, s4, s6
	s_sub_u32 s33, s30, s6
	s_subb_u32 s3, s31, s3
	v_cmp_gt_i32_e32 vcc, s24, v0
	s_mul_hi_u32 s41, s4, s16
	s_mul_i32 s42, s5, s16
	s_mul_i32 s30, s4, s16
	s_mul_hi_u32 s40, s33, s17
	s_mul_i32 s5, s3, s17
	s_mul_i32 s6, s33, s17
	s_and_saveexec_b64 s[34:35], vcc
	s_cbranch_execz .LBB38_10
; %bb.8:
	s_ashr_i32 s3, s16, 31
	s_mul_i32 s3, s4, s3
	s_add_i32 s3, s41, s3
	s_add_i32 s31, s3, s42
	s_ashr_i32 s3, s17, 31
	s_mul_i32 s3, s33, s3
	s_add_i32 s3, s40, s3
	s_add_i32 s7, s3, s5
	s_ashr_i32 s25, s24, 31
	s_lshl_b64 s[36:37], s[30:31], 1
	s_lshl_b64 s[38:39], s[6:7], 1
	s_add_u32 s31, s36, s38
	s_addc_u32 s43, s37, s39
	s_load_dword s38, s[0:1], 0x8c
	s_add_u32 s3, s31, s20
	s_addc_u32 s7, s43, s21
	s_ashr_i32 s19, s18, 31
	s_lshl_b64 s[44:45], s[18:19], 1
	s_add_u32 s36, s3, s44
	s_addc_u32 s37, s7, s45
	s_waitcnt lgkmcnt(0)
	s_and_b32 s3, s38, 0xffff
	s_lshl_b32 s7, s3, 1
	s_lshl_b64 s[46:47], s[24:25], 1
	s_add_u32 s19, s28, s46
	s_addc_u32 s28, s29, s47
	s_add_u32 s26, s26, s19
	s_mul_i32 s9, s9, s2
	s_mul_hi_u32 s19, s8, s2
	s_addc_u32 s27, s27, s28
	s_add_i32 s9, s19, s9
	s_mul_i32 s8, s8, s2
	s_lshl_b64 s[28:29], s[24:25], 2
	s_lshl_b64 s[8:9], s[8:9], 2
	v_mov_b32_e32 v3, 0
	s_add_u32 s8, s12, s8
	v_lshlrev_b32_e32 v4, 2, v0
	v_mov_b32_e32 v5, v3
	s_addc_u32 s9, s13, s9
	s_lshl_b32 s38, s3, 2
	v_lshl_add_u64 v[4:5], s[8:9], 0, v[4:5]
	s_add_u32 s8, s31, s46
	s_addc_u32 s9, s43, s47
	s_add_u32 s8, s8, s44
	s_addc_u32 s9, s9, s45
	s_add_u32 s8, s20, s8
	v_lshlrev_b32_e32 v2, 1, v0
	s_mov_b32 s39, 0
	s_addc_u32 s9, s21, s9
	s_mov_b64 s[12:13], 0
	v_mov_b32_e32 v1, v0
.LBB38_9:                               ; =>This Inner Loop Header: Depth=1
	v_lshl_add_u64 v[6:7], s[22:23], 0, v[2:3]
	v_lshl_add_u64 v[8:9], s[26:27], 0, v[2:3]
	;; [unrolled: 1-line block ×3, first 2 shown]
	global_load_dword v12, v[4:5], off
	global_load_ushort v13, v[8:9], off
	global_load_ushort v14, v[6:7], off
	global_load_dword v15, v[10:11], off
	s_add_u32 s22, s22, s7
	s_addc_u32 s23, s23, 0
	s_add_u32 s26, s26, s7
	s_addc_u32 s27, s27, 0
	v_lshl_add_u64 v[8:9], s[8:9], 0, v[2:3]
	s_add_u32 s8, s8, s7
	s_addc_u32 s9, s9, 0
	v_lshl_add_u64 v[6:7], s[36:37], 0, v[2:3]
	v_add_u32_e32 v1, s3, v1
	s_add_u32 s36, s36, s7
	v_cmp_le_i32_e32 vcc, s24, v1
	s_addc_u32 s37, s37, 0
	s_or_b64 s[12:13], vcc, s[12:13]
	s_waitcnt vmcnt(2)
	v_cvt_f32_f16_e32 v16, v13
	s_waitcnt vmcnt(1)
	v_cvt_f32_f16_e32 v17, v14
	s_waitcnt vmcnt(0)
	v_mul_f32_e32 v16, v15, v16
	v_mul_f32_e32 v15, v15, v17
	v_fma_mix_f32 v14, v12, v14, -v16 op_sel_hi:[0,1,0]
	v_fma_mix_f32 v12, v12, v13, v15 op_sel_hi:[0,1,0]
	global_store_dword v[4:5], v14, off
	global_store_dword v[10:11], v12, off
	global_store_short v[6:7], v14, off
	global_store_short v[8:9], v12, off
	v_lshl_add_u64 v[4:5], v[4:5], 0, s[38:39]
	s_andn2_b64 exec, exec, s[12:13]
	s_cbranch_execnz .LBB38_9
.LBB38_10:
	s_or_b64 exec, exec, s[34:35]
	v_cmp_gt_i32_e32 vcc, s18, v0
	s_and_saveexec_b64 s[8:9], vcc
	s_cbranch_execz .LBB38_13
; %bb.11:
	s_mul_i32 s3, s2, s11
	s_mul_hi_u32 s7, s2, s10
	s_add_i32 s3, s7, s3
	s_mul_i32 s2, s2, s10
	s_lshl_b64 s[2:3], s[2:3], 2
	s_add_u32 s2, s14, s2
	s_addc_u32 s3, s15, s3
	s_ashr_i32 s7, s16, 31
	s_mul_i32 s4, s4, s7
	s_add_i32 s4, s41, s4
	s_add_i32 s31, s4, s42
	s_lshl_b64 s[8:9], s[30:31], 1
	s_add_u32 s4, s20, s8
	s_addc_u32 s8, s21, s9
	s_ashr_i32 s7, s17, 31
	s_mul_i32 s33, s33, s7
	s_load_dword s9, s[0:1], 0x8c
	s_add_i32 s7, s40, s33
	s_add_i32 s7, s7, s5
	s_lshl_b64 s[0:1], s[6:7], 1
	s_add_u32 s0, s4, s0
	s_addc_u32 s1, s8, s1
	s_waitcnt lgkmcnt(0)
	s_and_b32 s6, s9, 0xffff
	s_mov_b64 s[4:5], 0
.LBB38_12:                              ; =>This Inner Loop Header: Depth=1
	v_ashrrev_i32_e32 v1, 31, v0
	v_lshl_add_u64 v[2:3], v[0:1], 2, s[2:3]
	global_load_ushort v4, v[2:3], off
	v_lshl_add_u64 v[2:3], v[0:1], 1, s[0:1]
	v_add_u32_e32 v0, s6, v0
	v_cmp_le_i32_e32 vcc, s18, v0
	s_or_b64 s[4:5], vcc, s[4:5]
	s_waitcnt vmcnt(0)
	global_store_short v[2:3], v4, off
	s_andn2_b64 exec, exec, s[4:5]
	s_cbranch_execnz .LBB38_12
.LBB38_13:
	s_endpgm
.LBB38_14:
                                        ; implicit-def: $sgpr4_sgpr5
	s_branch .LBB38_6
	.section	.rodata,"a",@progbits
	.p2align	6, 0x0
	.amdhsa_kernel _ZN4vllm38concat_and_cache_mla_rope_fused_kernelIfN3c104HalfELb1E14__hip_bfloat16S3_LNS_18Fp8KVCacheDataTypeE0EEEvPKlPT_S8_PKS7_PKT0_illlliPT3_S6_iiiiPKf
		.amdhsa_group_segment_fixed_size 0
		.amdhsa_private_segment_fixed_size 0
		.amdhsa_kernarg_size 384
		.amdhsa_user_sgpr_count 2
		.amdhsa_user_sgpr_dispatch_ptr 0
		.amdhsa_user_sgpr_queue_ptr 0
		.amdhsa_user_sgpr_kernarg_segment_ptr 1
		.amdhsa_user_sgpr_dispatch_id 0
		.amdhsa_user_sgpr_kernarg_preload_length 0
		.amdhsa_user_sgpr_kernarg_preload_offset 0
		.amdhsa_user_sgpr_private_segment_size 0
		.amdhsa_uses_dynamic_stack 0
		.amdhsa_enable_private_segment 0
		.amdhsa_system_sgpr_workgroup_id_x 1
		.amdhsa_system_sgpr_workgroup_id_y 0
		.amdhsa_system_sgpr_workgroup_id_z 0
		.amdhsa_system_sgpr_workgroup_info 0
		.amdhsa_system_vgpr_workitem_id 0
		.amdhsa_next_free_vgpr 18
		.amdhsa_next_free_sgpr 48
		.amdhsa_accum_offset 20
		.amdhsa_reserve_vcc 1
		.amdhsa_float_round_mode_32 0
		.amdhsa_float_round_mode_16_64 0
		.amdhsa_float_denorm_mode_32 3
		.amdhsa_float_denorm_mode_16_64 3
		.amdhsa_dx10_clamp 1
		.amdhsa_ieee_mode 1
		.amdhsa_fp16_overflow 0
		.amdhsa_tg_split 0
		.amdhsa_exception_fp_ieee_invalid_op 0
		.amdhsa_exception_fp_denorm_src 0
		.amdhsa_exception_fp_ieee_div_zero 0
		.amdhsa_exception_fp_ieee_overflow 0
		.amdhsa_exception_fp_ieee_underflow 0
		.amdhsa_exception_fp_ieee_inexact 0
		.amdhsa_exception_int_div_zero 0
	.end_amdhsa_kernel
	.section	.text._ZN4vllm38concat_and_cache_mla_rope_fused_kernelIfN3c104HalfELb1E14__hip_bfloat16S3_LNS_18Fp8KVCacheDataTypeE0EEEvPKlPT_S8_PKS7_PKT0_illlliPT3_S6_iiiiPKf,"axG",@progbits,_ZN4vllm38concat_and_cache_mla_rope_fused_kernelIfN3c104HalfELb1E14__hip_bfloat16S3_LNS_18Fp8KVCacheDataTypeE0EEEvPKlPT_S8_PKS7_PKT0_illlliPT3_S6_iiiiPKf,comdat
.Lfunc_end38:
	.size	_ZN4vllm38concat_and_cache_mla_rope_fused_kernelIfN3c104HalfELb1E14__hip_bfloat16S3_LNS_18Fp8KVCacheDataTypeE0EEEvPKlPT_S8_PKS7_PKT0_illlliPT3_S6_iiiiPKf, .Lfunc_end38-_ZN4vllm38concat_and_cache_mla_rope_fused_kernelIfN3c104HalfELb1E14__hip_bfloat16S3_LNS_18Fp8KVCacheDataTypeE0EEEvPKlPT_S8_PKS7_PKT0_illlliPT3_S6_iiiiPKf
                                        ; -- End function
	.section	.AMDGPU.csdata,"",@progbits
; Kernel info:
; codeLenInByte = 1972
; NumSgprs: 54
; NumVgprs: 18
; NumAgprs: 0
; TotalNumVgprs: 18
; ScratchSize: 0
; MemoryBound: 0
; FloatMode: 240
; IeeeMode: 1
; LDSByteSize: 0 bytes/workgroup (compile time only)
; SGPRBlocks: 6
; VGPRBlocks: 2
; NumSGPRsForWavesPerEU: 54
; NumVGPRsForWavesPerEU: 18
; AccumOffset: 20
; Occupancy: 8
; WaveLimiterHint : 1
; COMPUTE_PGM_RSRC2:SCRATCH_EN: 0
; COMPUTE_PGM_RSRC2:USER_SGPR: 2
; COMPUTE_PGM_RSRC2:TRAP_HANDLER: 0
; COMPUTE_PGM_RSRC2:TGID_X_EN: 1
; COMPUTE_PGM_RSRC2:TGID_Y_EN: 0
; COMPUTE_PGM_RSRC2:TGID_Z_EN: 0
; COMPUTE_PGM_RSRC2:TIDIG_COMP_CNT: 0
; COMPUTE_PGM_RSRC3_GFX90A:ACCUM_OFFSET: 4
; COMPUTE_PGM_RSRC3_GFX90A:TG_SPLIT: 0
	.section	.text._ZN4vllm38concat_and_cache_mla_rope_fused_kernelIfN3c104HalfELb0E14__hip_bfloat16S3_LNS_18Fp8KVCacheDataTypeE0EEEvPKlPT_S8_PKS7_PKT0_illlliPT3_S6_iiiiPKf,"axG",@progbits,_ZN4vllm38concat_and_cache_mla_rope_fused_kernelIfN3c104HalfELb0E14__hip_bfloat16S3_LNS_18Fp8KVCacheDataTypeE0EEEvPKlPT_S8_PKS7_PKT0_illlliPT3_S6_iiiiPKf,comdat
	.protected	_ZN4vllm38concat_and_cache_mla_rope_fused_kernelIfN3c104HalfELb0E14__hip_bfloat16S3_LNS_18Fp8KVCacheDataTypeE0EEEvPKlPT_S8_PKS7_PKT0_illlliPT3_S6_iiiiPKf ; -- Begin function _ZN4vllm38concat_and_cache_mla_rope_fused_kernelIfN3c104HalfELb0E14__hip_bfloat16S3_LNS_18Fp8KVCacheDataTypeE0EEEvPKlPT_S8_PKS7_PKT0_illlliPT3_S6_iiiiPKf
	.globl	_ZN4vllm38concat_and_cache_mla_rope_fused_kernelIfN3c104HalfELb0E14__hip_bfloat16S3_LNS_18Fp8KVCacheDataTypeE0EEEvPKlPT_S8_PKS7_PKT0_illlliPT3_S6_iiiiPKf
	.p2align	8
	.type	_ZN4vllm38concat_and_cache_mla_rope_fused_kernelIfN3c104HalfELb0E14__hip_bfloat16S3_LNS_18Fp8KVCacheDataTypeE0EEEvPKlPT_S8_PKS7_PKT0_illlliPT3_S6_iiiiPKf,@function
_ZN4vllm38concat_and_cache_mla_rope_fused_kernelIfN3c104HalfELb0E14__hip_bfloat16S3_LNS_18Fp8KVCacheDataTypeE0EEEvPKlPT_S8_PKS7_PKT0_illlliPT3_S6_iiiiPKf: ; @_ZN4vllm38concat_and_cache_mla_rope_fused_kernelIfN3c104HalfELb0E14__hip_bfloat16S3_LNS_18Fp8KVCacheDataTypeE0EEEvPKlPT_S8_PKS7_PKT0_illlliPT3_S6_iiiiPKf
; %bb.0:
	s_load_dwordx2 s[6:7], s[0:1], 0x60
	s_mov_b32 s3, 0
	s_lshl_b64 s[4:5], s[2:3], 3
	s_waitcnt lgkmcnt(0)
	s_add_u32 s6, s6, s4
	s_addc_u32 s7, s7, s5
	s_load_dwordx2 s[26:27], s[6:7], 0x0
	s_waitcnt lgkmcnt(0)
	v_cmp_lt_i64_e64 s[6:7], s[26:27], 0
	s_and_b64 vcc, exec, s[6:7]
	s_cbranch_vccnz .LBB39_13
; %bb.1:
	s_load_dword s3, s[0:1], 0x28
	s_load_dwordx2 s[6:7], s[0:1], 0x0
	s_load_dwordx4 s[12:15], s[0:1], 0x10
	v_lshlrev_b32_e32 v2, 1, v0
	s_waitcnt lgkmcnt(0)
	s_ashr_i32 s22, s3, 31
	s_add_u32 s16, s6, s4
	s_addc_u32 s17, s7, s5
	s_load_dwordx2 s[18:19], s[16:17], 0x0
	s_load_dwordx2 s[24:25], s[0:1], 0x20
	s_load_dwordx8 s[4:11], s[0:1], 0x30
	s_load_dwordx2 s[20:21], s[0:1], 0x58
	s_load_dword s23, s[0:1], 0x50
	s_waitcnt lgkmcnt(0)
	s_mul_i32 s16, s18, s22
	s_mul_hi_u32 s17, s18, s3
	s_mul_i32 s19, s19, s3
	s_add_i32 s16, s17, s16
	s_add_i32 s29, s16, s19
	s_lshr_b32 s16, s3, 31
	s_mul_i32 s28, s18, s3
	s_add_i32 s3, s3, s16
	s_ashr_i32 s22, s3, 1
	s_mul_i32 s3, s22, s23
	v_cmp_gt_i32_e32 vcc, s3, v0
	s_and_saveexec_b64 s[16:17], vcc
	s_cbranch_execz .LBB39_4
; %bb.2:
	s_load_dwordx2 s[30:31], s[0:1], 0x8
	s_load_dword s34, s[0:1], 0x8c
	s_lshl_b64 s[18:19], s[28:29], 1
	s_add_u32 s18, s24, s18
	s_mul_i32 s5, s2, s5
	s_mul_hi_u32 s33, s2, s4
	s_addc_u32 s19, s25, s19
	s_add_i32 s5, s33, s5
	s_mul_i32 s4, s2, s4
	s_ashr_i32 s23, s22, 31
	s_lshl_b64 s[4:5], s[4:5], 2
	s_waitcnt lgkmcnt(0)
	s_add_u32 s4, s30, s4
	s_addc_u32 s5, s31, s5
	s_abs_i32 s33, s22
	v_cvt_f32_u32_e32 v1, s33
	s_sub_i32 s30, 0, s33
	s_and_b32 s34, s34, 0xffff
	s_sub_i32 s35, 0, s22
	v_rcp_iflag_f32_e32 v1, v1
	s_lshl_b32 s37, s34, 1
	v_mov_b32_e32 v4, v2
	v_mov_b32_e32 v6, v0
	v_mul_f32_e32 v1, 0x4f7ffffe, v1
	v_cvt_u32_f32_e32 v1, v1
	v_mul_lo_u32 v3, s30, v1
	v_mul_hi_u32 v3, v1, v3
	s_lshl_b32 s30, s22, 1
	v_add_u32_e32 v1, v1, v3
	s_sub_i32 s36, 0, s30
	s_mov_b64 s[30:31], 0
.LBB39_3:                               ; =>This Inner Loop Header: Depth=1
	v_sub_u32_e32 v5, 0, v6
	v_max_i32_e32 v5, v6, v5
	v_mul_hi_u32 v7, v5, v1
	v_mul_lo_u32 v8, v7, s33
	v_sub_u32_e32 v5, v5, v8
	v_add_u32_e32 v9, 1, v7
	v_cmp_le_u32_e32 vcc, s33, v5
	v_subrev_u32_e32 v8, s33, v5
	v_ashrrev_i32_e32 v3, 31, v6
	v_cndmask_b32_e32 v7, v7, v9, vcc
	v_cndmask_b32_e32 v5, v5, v8, vcc
	v_add_u32_e32 v8, 1, v7
	v_cmp_le_u32_e32 vcc, s33, v5
	v_xor_b32_e32 v3, s23, v3
	s_nop 0
	v_cndmask_b32_e32 v5, v7, v8, vcc
	v_xor_b32_e32 v5, v5, v3
	v_sub_u32_e32 v3, v5, v3
	v_mad_u64_u32 v[8:9], s[38:39], s35, v3, v[6:7]
	v_ashrrev_i32_e32 v5, 31, v3
	v_ashrrev_i32_e32 v9, 31, v8
	v_mul_lo_u32 v7, v3, s7
	v_mad_u64_u32 v[10:11], s[38:39], v3, s6, 0
	v_mad_u64_u32 v[12:13], s[38:39], s36, v3, v[4:5]
	v_mul_lo_u32 v3, v5, s6
	v_lshl_add_u64 v[8:9], v[8:9], 1, s[18:19]
	v_add3_u32 v11, v11, v7, v3
	v_lshl_add_u64 v[14:15], s[22:23], 1, v[8:9]
	global_load_ushort v3, v[8:9], off
	global_load_ushort v5, v[14:15], off
	v_ashrrev_i32_e32 v13, 31, v12
	v_lshl_add_u64 v[10:11], v[10:11], 2, s[4:5]
	v_lshl_add_u64 v[8:9], v[12:13], 2, v[10:11]
	global_load_dwordx2 v[10:11], v[8:9], off
	v_add_u32_e32 v6, s34, v6
	v_cmp_le_i32_e32 vcc, s3, v6
	v_add_u32_e32 v4, s37, v4
	s_or_b64 s[30:31], vcc, s[30:31]
	s_waitcnt vmcnt(2)
	v_cvt_f32_f16_e32 v7, v3
	s_waitcnt vmcnt(1)
	v_cvt_f32_f16_e32 v12, v5
	s_waitcnt vmcnt(0)
	v_mul_f32_e32 v7, v11, v7
	v_mul_f32_e32 v12, v11, v12
	v_fma_mix_f32 v11, v10, v5, v7 op_sel_hi:[0,1,0]
	v_fma_mix_f32 v10, v10, v3, -v12 op_sel_hi:[0,1,0]
	global_store_dwordx2 v[8:9], v[10:11], off
	s_andn2_b64 exec, exec, s[30:31]
	s_cbranch_execnz .LBB39_3
.LBB39_4:
	s_or_b64 exec, exec, s[16:17]
	s_load_dwordx4 s[16:19], s[0:1], 0x68
	s_waitcnt lgkmcnt(0)
	s_ashr_i32 s7, s19, 31
	s_mov_b32 s6, s19
	s_or_b64 s[4:5], s[26:27], s[6:7]
	s_mov_b32 s4, 0
	s_cmp_lg_u64 s[4:5], 0
	s_cbranch_scc0 .LBB39_14
; %bb.5:
	s_add_u32 s4, s6, s7
	s_mov_b32 s34, s7
	s_mov_b32 s35, s7
	s_addc_u32 s5, s7, s7
	s_xor_b64 s[36:37], s[4:5], s[34:35]
	v_cvt_f32_u32_e32 v1, s36
	v_cvt_f32_u32_e32 v3, s37
	s_sub_u32 s3, 0, s36
	s_subb_u32 s4, 0, s37
	v_fmamk_f32 v1, v3, 0x4f800000, v1
	v_rcp_f32_e32 v1, v1
	s_nop 0
	v_mul_f32_e32 v1, 0x5f7ffffc, v1
	v_mul_f32_e32 v3, 0x2f800000, v1
	v_trunc_f32_e32 v3, v3
	v_fmamk_f32 v1, v3, 0xcf800000, v1
	v_cvt_u32_f32_e32 v3, v3
	v_cvt_u32_f32_e32 v1, v1
	v_readfirstlane_b32 s5, v3
	v_readfirstlane_b32 s19, v1
	s_mul_i32 s23, s3, s5
	s_mul_hi_u32 s38, s3, s19
	s_mul_i32 s33, s4, s19
	s_add_i32 s23, s38, s23
	s_add_i32 s23, s23, s33
	s_mul_i32 s39, s3, s19
	s_mul_hi_u32 s33, s19, s23
	s_mul_i32 s38, s19, s23
	s_mul_hi_u32 s19, s19, s39
	s_add_u32 s19, s19, s38
	s_addc_u32 s33, 0, s33
	s_mul_hi_u32 s40, s5, s39
	s_mul_i32 s39, s5, s39
	s_add_u32 s19, s19, s39
	s_mul_hi_u32 s38, s5, s23
	s_addc_u32 s19, s33, s40
	s_addc_u32 s33, s38, 0
	s_mul_i32 s23, s5, s23
	s_add_u32 s19, s19, s23
	s_addc_u32 s23, 0, s33
	v_add_co_u32_e32 v1, vcc, s19, v1
	s_cmp_lg_u64 vcc, 0
	s_addc_u32 s5, s5, s23
	v_readfirstlane_b32 s23, v1
	s_mul_i32 s19, s3, s5
	s_mul_hi_u32 s33, s3, s23
	s_add_i32 s19, s33, s19
	s_mul_i32 s4, s4, s23
	s_add_i32 s19, s19, s4
	s_mul_i32 s3, s3, s23
	s_mul_hi_u32 s33, s5, s3
	s_mul_i32 s38, s5, s3
	s_mul_i32 s40, s23, s19
	s_mul_hi_u32 s3, s23, s3
	s_mul_hi_u32 s39, s23, s19
	s_add_u32 s3, s3, s40
	s_addc_u32 s23, 0, s39
	s_add_u32 s3, s3, s38
	s_mul_hi_u32 s4, s5, s19
	s_addc_u32 s3, s23, s33
	s_addc_u32 s4, s4, 0
	s_mul_i32 s19, s5, s19
	s_add_u32 s3, s3, s19
	s_addc_u32 s4, 0, s4
	v_add_co_u32_e32 v1, vcc, s3, v1
	s_cmp_lg_u64 vcc, 0
	s_addc_u32 s3, s5, s4
	s_ashr_i32 s38, s27, 31
	s_add_u32 s4, s26, s38
	s_mov_b32 s39, s38
	s_addc_u32 s5, s27, s38
	s_xor_b64 s[40:41], s[4:5], s[38:39]
	v_readfirstlane_b32 s19, v1
	s_mul_i32 s5, s40, s3
	s_mul_hi_u32 s23, s40, s19
	s_mul_hi_u32 s4, s40, s3
	s_add_u32 s5, s23, s5
	s_addc_u32 s4, 0, s4
	s_mul_hi_u32 s33, s41, s19
	s_mul_i32 s19, s41, s19
	s_add_u32 s5, s5, s19
	s_mul_hi_u32 s23, s41, s3
	s_addc_u32 s4, s4, s33
	s_addc_u32 s5, s23, 0
	s_mul_i32 s3, s41, s3
	s_add_u32 s3, s4, s3
	s_addc_u32 s19, 0, s5
	s_mul_i32 s4, s36, s19
	s_mul_hi_u32 s5, s36, s3
	s_add_i32 s4, s5, s4
	s_mul_i32 s5, s37, s3
	s_add_i32 s23, s4, s5
	s_mul_i32 s5, s36, s3
	v_mov_b32_e32 v1, s5
	s_sub_i32 s4, s41, s23
	v_sub_co_u32_e32 v1, vcc, s40, v1
	s_cmp_lg_u64 vcc, 0
	s_subb_u32 s33, s4, s37
	v_subrev_co_u32_e64 v3, s[4:5], s36, v1
	s_cmp_lg_u64 s[4:5], 0
	s_subb_u32 s4, s33, 0
	s_cmp_ge_u32 s4, s37
	v_readfirstlane_b32 s33, v3
	s_cselect_b32 s5, -1, 0
	s_cmp_ge_u32 s33, s36
	s_cselect_b32 s33, -1, 0
	s_cmp_eq_u32 s4, s37
	s_cselect_b32 s4, s33, s5
	s_add_u32 s5, s3, 1
	s_addc_u32 s33, s19, 0
	s_add_u32 s40, s3, 2
	s_addc_u32 s42, s19, 0
	s_cmp_lg_u32 s4, 0
	s_cselect_b32 s4, s40, s5
	s_cselect_b32 s5, s42, s33
	s_cmp_lg_u64 vcc, 0
	s_subb_u32 s23, s41, s23
	s_cmp_ge_u32 s23, s37
	v_readfirstlane_b32 s40, v1
	s_cselect_b32 s33, -1, 0
	s_cmp_ge_u32 s40, s36
	s_cselect_b32 s36, -1, 0
	s_cmp_eq_u32 s23, s37
	s_cselect_b32 s23, s36, s33
	s_cmp_lg_u32 s23, 0
	s_cselect_b32 s5, s5, s19
	s_cselect_b32 s4, s4, s3
	s_xor_b64 s[34:35], s[38:39], s[34:35]
	s_xor_b64 s[4:5], s[4:5], s[34:35]
	s_sub_u32 s4, s4, s34
	s_subb_u32 s5, s5, s35
	s_cbranch_execnz .LBB39_7
.LBB39_6:
	v_cvt_f32_u32_e32 v1, s6
	s_sub_i32 s3, 0, s6
	s_mov_b32 s5, 0
	v_rcp_iflag_f32_e32 v1, v1
	s_nop 0
	v_mul_f32_e32 v1, 0x4f7ffffe, v1
	v_cvt_u32_f32_e32 v1, v1
	s_nop 0
	v_readfirstlane_b32 s4, v1
	s_mul_i32 s3, s3, s4
	s_mul_hi_u32 s3, s4, s3
	s_add_i32 s4, s4, s3
	s_mul_hi_u32 s3, s26, s4
	s_mul_i32 s19, s3, s6
	s_sub_i32 s19, s26, s19
	s_add_i32 s4, s3, 1
	s_sub_i32 s23, s19, s6
	s_cmp_ge_u32 s19, s6
	s_cselect_b32 s3, s4, s3
	s_cselect_b32 s19, s23, s19
	s_add_i32 s4, s3, 1
	s_cmp_ge_u32 s19, s6
	s_cselect_b32 s4, s4, s3
.LBB39_7:
	s_mul_i32 s3, s4, s7
	s_mul_hi_u32 s7, s4, s6
	s_add_i32 s3, s7, s3
	s_mul_i32 s7, s5, s6
	s_add_i32 s3, s3, s7
	s_mul_i32 s6, s4, s6
	s_sub_u32 s33, s26, s6
	s_subb_u32 s3, s27, s3
	v_cmp_gt_i32_e32 vcc, s22, v0
	s_mul_hi_u32 s37, s4, s16
	s_mul_i32 s38, s5, s16
	s_mul_i32 s26, s4, s16
	s_mul_hi_u32 s36, s33, s17
	s_mul_i32 s5, s3, s17
	s_mul_i32 s6, s33, s17
	s_and_saveexec_b64 s[30:31], vcc
	s_cbranch_execz .LBB39_10
; %bb.8:
	s_load_dword s3, s[0:1], 0x8c
	s_ashr_i32 s23, s22, 31
	s_ashr_i32 s7, s16, 31
	s_ashr_i32 s39, s17, 31
	s_ashr_i32 s19, s18, 31
	s_waitcnt lgkmcnt(0)
	s_and_b32 s3, s3, 0xffff
	s_lshl_b64 s[34:35], s[28:29], 1
	s_add_u32 s24, s24, s34
	v_mov_b32_e32 v3, 0
	s_addc_u32 s25, s25, s35
	v_lshl_add_u64 v[4:5], s[24:25], 0, v[2:3]
	s_lshl_b64 s[24:25], s[22:23], 1
	s_mul_i32 s9, s9, s2
	s_mul_hi_u32 s23, s8, s2
	s_add_i32 s9, s23, s9
	s_mul_i32 s8, s8, s2
	s_lshl_b32 s28, s3, 1
	s_lshl_b64 s[8:9], s[8:9], 2
	s_add_u32 s8, s12, s8
	s_mul_i32 s7, s4, s7
	s_addc_u32 s9, s13, s9
	s_add_i32 s7, s37, s7
	s_add_i32 s27, s7, s38
	s_mul_i32 s7, s33, s39
	s_add_i32 s7, s36, s7
	v_lshlrev_b32_e32 v2, 3, v0
	s_add_i32 s7, s7, s5
	v_lshl_add_u64 v[6:7], s[8:9], 0, v[2:3]
	s_lshl_b32 s8, s3, 3
	s_lshl_b64 s[12:13], s[26:27], 1
	s_lshl_b64 s[34:35], s[6:7], 1
	s_add_u32 s7, s12, s34
	s_addc_u32 s23, s13, s35
	s_lshl_b64 s[12:13], s[18:19], 1
	s_add_u32 s12, s20, s12
	s_addc_u32 s13, s21, s13
	s_add_u32 s12, s12, s7
	s_mov_b32 s29, 0
	v_lshlrev_b32_e32 v2, 2, v0
	s_addc_u32 s13, s13, s23
	v_lshl_add_u64 v[6:7], v[6:7], 0, 4
	s_mov_b32 s9, s29
	v_lshl_add_u64 v[2:3], s[12:13], 0, v[2:3]
	s_lshl_b32 s12, s3, 2
	s_mov_b32 s13, s29
	s_mov_b64 s[34:35], 0
	s_mov_b32 s7, 0x5040100
	v_mov_b32_e32 v1, v0
.LBB39_9:                               ; =>This Inner Loop Header: Depth=1
	global_load_ushort v12, v[4:5], off
	v_lshl_add_u64 v[8:9], v[4:5], 0, s[24:25]
	global_load_ushort v13, v[8:9], off
	global_load_dwordx2 v[10:11], v[6:7], off offset:-4
	v_add_u32_e32 v1, s3, v1
	v_cmp_le_i32_e32 vcc, s22, v1
	v_lshl_add_u64 v[4:5], v[4:5], 0, s[28:29]
	s_or_b64 s[34:35], vcc, s[34:35]
	s_waitcnt vmcnt(2)
	v_cvt_f32_f16_e32 v8, v12
	s_waitcnt vmcnt(1)
	v_cvt_f32_f16_e32 v12, v13
	s_waitcnt vmcnt(0)
	v_pk_mul_f32 v[12:13], v[10:11], v[12:13] op_sel_hi:[1,0]
	s_nop 0
	v_pk_fma_f32 v[14:15], v[10:11], v[8:9], v[12:13] op_sel:[0,0,1] op_sel_hi:[1,1,0] neg_lo:[0,0,1] neg_hi:[0,0,1]
	v_pk_fma_f32 v[8:9], v[10:11], v[8:9], v[12:13] op_sel:[0,0,1] op_sel_hi:[1,0,0]
	s_nop 0
	v_mov_b32_e32 v15, v9
	v_perm_b32 v8, v9, v14, s7
	global_store_dwordx2 v[6:7], v[14:15], off offset:-4
	global_store_dword v[2:3], v8, off
	v_lshl_add_u64 v[6:7], v[6:7], 0, s[8:9]
	v_lshl_add_u64 v[2:3], v[2:3], 0, s[12:13]
	s_andn2_b64 exec, exec, s[34:35]
	s_cbranch_execnz .LBB39_9
.LBB39_10:
	s_or_b64 exec, exec, s[30:31]
	v_cmp_gt_i32_e32 vcc, s18, v0
	s_and_saveexec_b64 s[8:9], vcc
	s_cbranch_execz .LBB39_13
; %bb.11:
	s_mul_i32 s3, s2, s11
	s_mul_hi_u32 s7, s2, s10
	s_add_i32 s3, s7, s3
	s_mul_i32 s2, s2, s10
	s_lshl_b64 s[2:3], s[2:3], 2
	s_add_u32 s2, s14, s2
	s_addc_u32 s3, s15, s3
	s_ashr_i32 s7, s16, 31
	s_mul_i32 s4, s4, s7
	s_add_i32 s4, s37, s4
	s_add_i32 s27, s4, s38
	s_lshl_b64 s[8:9], s[26:27], 1
	s_add_u32 s4, s20, s8
	s_addc_u32 s8, s21, s9
	s_ashr_i32 s7, s17, 31
	s_mul_i32 s33, s33, s7
	s_load_dword s9, s[0:1], 0x8c
	s_add_i32 s7, s36, s33
	s_add_i32 s7, s7, s5
	s_lshl_b64 s[0:1], s[6:7], 1
	s_add_u32 s0, s4, s0
	s_addc_u32 s1, s8, s1
	s_waitcnt lgkmcnt(0)
	s_and_b32 s6, s9, 0xffff
	s_mov_b64 s[4:5], 0
.LBB39_12:                              ; =>This Inner Loop Header: Depth=1
	v_ashrrev_i32_e32 v1, 31, v0
	v_lshl_add_u64 v[2:3], v[0:1], 2, s[2:3]
	global_load_ushort v4, v[2:3], off
	v_lshl_add_u64 v[2:3], v[0:1], 1, s[0:1]
	v_add_u32_e32 v0, s6, v0
	v_cmp_le_i32_e32 vcc, s18, v0
	s_or_b64 s[4:5], vcc, s[4:5]
	s_waitcnt vmcnt(0)
	global_store_short v[2:3], v4, off
	s_andn2_b64 exec, exec, s[4:5]
	s_cbranch_execnz .LBB39_12
.LBB39_13:
	s_endpgm
.LBB39_14:
                                        ; implicit-def: $sgpr4_sgpr5
	s_branch .LBB39_6
	.section	.rodata,"a",@progbits
	.p2align	6, 0x0
	.amdhsa_kernel _ZN4vllm38concat_and_cache_mla_rope_fused_kernelIfN3c104HalfELb0E14__hip_bfloat16S3_LNS_18Fp8KVCacheDataTypeE0EEEvPKlPT_S8_PKS7_PKT0_illlliPT3_S6_iiiiPKf
		.amdhsa_group_segment_fixed_size 0
		.amdhsa_private_segment_fixed_size 0
		.amdhsa_kernarg_size 384
		.amdhsa_user_sgpr_count 2
		.amdhsa_user_sgpr_dispatch_ptr 0
		.amdhsa_user_sgpr_queue_ptr 0
		.amdhsa_user_sgpr_kernarg_segment_ptr 1
		.amdhsa_user_sgpr_dispatch_id 0
		.amdhsa_user_sgpr_kernarg_preload_length 0
		.amdhsa_user_sgpr_kernarg_preload_offset 0
		.amdhsa_user_sgpr_private_segment_size 0
		.amdhsa_uses_dynamic_stack 0
		.amdhsa_enable_private_segment 0
		.amdhsa_system_sgpr_workgroup_id_x 1
		.amdhsa_system_sgpr_workgroup_id_y 0
		.amdhsa_system_sgpr_workgroup_id_z 0
		.amdhsa_system_sgpr_workgroup_info 0
		.amdhsa_system_vgpr_workitem_id 0
		.amdhsa_next_free_vgpr 16
		.amdhsa_next_free_sgpr 43
		.amdhsa_accum_offset 16
		.amdhsa_reserve_vcc 1
		.amdhsa_float_round_mode_32 0
		.amdhsa_float_round_mode_16_64 0
		.amdhsa_float_denorm_mode_32 3
		.amdhsa_float_denorm_mode_16_64 3
		.amdhsa_dx10_clamp 1
		.amdhsa_ieee_mode 1
		.amdhsa_fp16_overflow 0
		.amdhsa_tg_split 0
		.amdhsa_exception_fp_ieee_invalid_op 0
		.amdhsa_exception_fp_denorm_src 0
		.amdhsa_exception_fp_ieee_div_zero 0
		.amdhsa_exception_fp_ieee_overflow 0
		.amdhsa_exception_fp_ieee_underflow 0
		.amdhsa_exception_fp_ieee_inexact 0
		.amdhsa_exception_int_div_zero 0
	.end_amdhsa_kernel
	.section	.text._ZN4vllm38concat_and_cache_mla_rope_fused_kernelIfN3c104HalfELb0E14__hip_bfloat16S3_LNS_18Fp8KVCacheDataTypeE0EEEvPKlPT_S8_PKS7_PKT0_illlliPT3_S6_iiiiPKf,"axG",@progbits,_ZN4vllm38concat_and_cache_mla_rope_fused_kernelIfN3c104HalfELb0E14__hip_bfloat16S3_LNS_18Fp8KVCacheDataTypeE0EEEvPKlPT_S8_PKS7_PKT0_illlliPT3_S6_iiiiPKf,comdat
.Lfunc_end39:
	.size	_ZN4vllm38concat_and_cache_mla_rope_fused_kernelIfN3c104HalfELb0E14__hip_bfloat16S3_LNS_18Fp8KVCacheDataTypeE0EEEvPKlPT_S8_PKS7_PKT0_illlliPT3_S6_iiiiPKf, .Lfunc_end39-_ZN4vllm38concat_and_cache_mla_rope_fused_kernelIfN3c104HalfELb0E14__hip_bfloat16S3_LNS_18Fp8KVCacheDataTypeE0EEEvPKlPT_S8_PKS7_PKT0_illlliPT3_S6_iiiiPKf
                                        ; -- End function
	.section	.AMDGPU.csdata,"",@progbits
; Kernel info:
; codeLenInByte = 1940
; NumSgprs: 49
; NumVgprs: 16
; NumAgprs: 0
; TotalNumVgprs: 16
; ScratchSize: 0
; MemoryBound: 0
; FloatMode: 240
; IeeeMode: 1
; LDSByteSize: 0 bytes/workgroup (compile time only)
; SGPRBlocks: 6
; VGPRBlocks: 1
; NumSGPRsForWavesPerEU: 49
; NumVGPRsForWavesPerEU: 16
; AccumOffset: 16
; Occupancy: 8
; WaveLimiterHint : 1
; COMPUTE_PGM_RSRC2:SCRATCH_EN: 0
; COMPUTE_PGM_RSRC2:USER_SGPR: 2
; COMPUTE_PGM_RSRC2:TRAP_HANDLER: 0
; COMPUTE_PGM_RSRC2:TGID_X_EN: 1
; COMPUTE_PGM_RSRC2:TGID_Y_EN: 0
; COMPUTE_PGM_RSRC2:TGID_Z_EN: 0
; COMPUTE_PGM_RSRC2:TIDIG_COMP_CNT: 0
; COMPUTE_PGM_RSRC3_GFX90A:ACCUM_OFFSET: 3
; COMPUTE_PGM_RSRC3_GFX90A:TG_SPLIT: 0
	.section	.text._ZN4vllm38concat_and_cache_mla_rope_fused_kernelIfN3c108BFloat16ELb1E14__hip_bfloat16S3_LNS_18Fp8KVCacheDataTypeE0EEEvPKlPT_S8_PKS7_PKT0_illlliPT3_S6_iiiiPKf,"axG",@progbits,_ZN4vllm38concat_and_cache_mla_rope_fused_kernelIfN3c108BFloat16ELb1E14__hip_bfloat16S3_LNS_18Fp8KVCacheDataTypeE0EEEvPKlPT_S8_PKS7_PKT0_illlliPT3_S6_iiiiPKf,comdat
	.protected	_ZN4vllm38concat_and_cache_mla_rope_fused_kernelIfN3c108BFloat16ELb1E14__hip_bfloat16S3_LNS_18Fp8KVCacheDataTypeE0EEEvPKlPT_S8_PKS7_PKT0_illlliPT3_S6_iiiiPKf ; -- Begin function _ZN4vllm38concat_and_cache_mla_rope_fused_kernelIfN3c108BFloat16ELb1E14__hip_bfloat16S3_LNS_18Fp8KVCacheDataTypeE0EEEvPKlPT_S8_PKS7_PKT0_illlliPT3_S6_iiiiPKf
	.globl	_ZN4vllm38concat_and_cache_mla_rope_fused_kernelIfN3c108BFloat16ELb1E14__hip_bfloat16S3_LNS_18Fp8KVCacheDataTypeE0EEEvPKlPT_S8_PKS7_PKT0_illlliPT3_S6_iiiiPKf
	.p2align	8
	.type	_ZN4vllm38concat_and_cache_mla_rope_fused_kernelIfN3c108BFloat16ELb1E14__hip_bfloat16S3_LNS_18Fp8KVCacheDataTypeE0EEEvPKlPT_S8_PKS7_PKT0_illlliPT3_S6_iiiiPKf,@function
_ZN4vllm38concat_and_cache_mla_rope_fused_kernelIfN3c108BFloat16ELb1E14__hip_bfloat16S3_LNS_18Fp8KVCacheDataTypeE0EEEvPKlPT_S8_PKS7_PKT0_illlliPT3_S6_iiiiPKf: ; @_ZN4vllm38concat_and_cache_mla_rope_fused_kernelIfN3c108BFloat16ELb1E14__hip_bfloat16S3_LNS_18Fp8KVCacheDataTypeE0EEEvPKlPT_S8_PKS7_PKT0_illlliPT3_S6_iiiiPKf
; %bb.0:
	s_load_dwordx2 s[6:7], s[0:1], 0x60
	s_mov_b32 s3, 0
	s_lshl_b64 s[4:5], s[2:3], 3
	s_waitcnt lgkmcnt(0)
	s_add_u32 s6, s6, s4
	s_addc_u32 s7, s7, s5
	s_load_dwordx2 s[30:31], s[6:7], 0x0
	s_waitcnt lgkmcnt(0)
	v_cmp_lt_i64_e64 s[6:7], s[30:31], 0
	s_and_b64 vcc, exec, s[6:7]
	s_cbranch_vccnz .LBB40_13
; %bb.1:
	s_load_dword s3, s[0:1], 0x28
	s_load_dwordx2 s[6:7], s[0:1], 0x0
	s_load_dwordx4 s[12:15], s[0:1], 0x10
	s_waitcnt lgkmcnt(0)
	s_ashr_i32 s22, s3, 31
	s_add_u32 s16, s6, s4
	s_addc_u32 s17, s7, s5
	s_load_dwordx2 s[18:19], s[16:17], 0x0
	s_load_dwordx2 s[26:27], s[0:1], 0x20
	s_load_dwordx8 s[4:11], s[0:1], 0x30
	s_load_dwordx2 s[20:21], s[0:1], 0x58
	s_load_dword s25, s[0:1], 0x50
	s_waitcnt lgkmcnt(0)
	s_mul_i32 s16, s18, s22
	s_mul_hi_u32 s17, s18, s3
	s_mul_i32 s19, s19, s3
	s_add_i32 s16, s17, s16
	s_add_i32 s17, s16, s19
	s_mul_i32 s16, s18, s3
	s_lshl_b64 s[28:29], s[16:17], 1
	s_add_u32 s22, s26, s28
	s_addc_u32 s23, s27, s29
	s_lshr_b32 s16, s3, 31
	s_add_i32 s3, s3, s16
	s_ashr_i32 s24, s3, 1
	s_mul_i32 s3, s24, s25
	v_cmp_gt_i32_e32 vcc, s3, v0
	s_and_saveexec_b64 s[16:17], vcc
	s_cbranch_execz .LBB40_4
; %bb.2:
	s_load_dwordx2 s[18:19], s[0:1], 0x8
	s_load_dword s34, s[0:1], 0x8c
	s_mul_i32 s5, s2, s5
	s_mul_hi_u32 s33, s2, s4
	s_add_i32 s5, s33, s5
	s_mul_i32 s4, s2, s4
	s_ashr_i32 s25, s24, 31
	s_lshl_b64 s[4:5], s[4:5], 2
	s_waitcnt lgkmcnt(0)
	s_add_u32 s4, s18, s4
	s_addc_u32 s5, s19, s5
	s_abs_i32 s33, s24
	v_cvt_f32_u32_e32 v1, s33
	s_sub_i32 s36, 0, s33
	s_mov_b64 s[18:19], 0
	s_and_b32 s34, s34, 0xffff
	v_rcp_iflag_f32_e32 v1, v1
	s_sub_i32 s35, 0, s24
	v_mul_f32_e32 v1, 0x4f7ffffe, v1
	v_cvt_u32_f32_e32 v1, v1
	v_mul_lo_u32 v2, s36, v1
	v_mul_hi_u32 v2, v1, v2
	v_add_u32_e32 v1, v1, v2
	v_mov_b32_e32 v2, v0
.LBB40_3:                               ; =>This Inner Loop Header: Depth=1
	v_sub_u32_e32 v4, 0, v2
	v_max_i32_e32 v4, v2, v4
	v_mul_hi_u32 v5, v4, v1
	v_mul_lo_u32 v6, v5, s33
	v_sub_u32_e32 v4, v4, v6
	v_add_u32_e32 v7, 1, v5
	v_cmp_le_u32_e32 vcc, s33, v4
	v_subrev_u32_e32 v6, s33, v4
	v_ashrrev_i32_e32 v3, 31, v2
	v_cndmask_b32_e32 v5, v5, v7, vcc
	v_cndmask_b32_e32 v4, v4, v6, vcc
	v_add_u32_e32 v6, 1, v5
	v_cmp_le_u32_e32 vcc, s33, v4
	v_xor_b32_e32 v3, s25, v3
	s_nop 0
	v_cndmask_b32_e32 v4, v5, v6, vcc
	v_xor_b32_e32 v4, v4, v3
	v_sub_u32_e32 v3, v4, v3
	v_ashrrev_i32_e32 v8, 31, v3
	v_mad_u64_u32 v[4:5], s[36:37], s35, v3, v[2:3]
	v_mul_lo_u32 v10, v3, s7
	v_mad_u64_u32 v[6:7], s[36:37], v3, s6, 0
	v_mul_lo_u32 v3, v8, s6
	v_ashrrev_i32_e32 v5, 31, v4
	v_add3_u32 v7, v7, v10, v3
	v_lshl_add_u64 v[8:9], v[4:5], 1, s[22:23]
	v_lshl_add_u64 v[6:7], v[6:7], 2, s[4:5]
	v_lshl_add_u64 v[10:11], s[24:25], 1, v[8:9]
	global_load_ushort v3, v[8:9], off
	global_load_ushort v12, v[10:11], off
	v_lshl_add_u64 v[4:5], v[4:5], 2, v[6:7]
	v_lshl_add_u64 v[6:7], s[24:25], 2, v[4:5]
	global_load_dword v8, v[4:5], off
	global_load_dword v9, v[6:7], off
	v_add_u32_e32 v2, s34, v2
	v_cmp_le_i32_e32 vcc, s3, v2
	s_or_b64 s[18:19], vcc, s[18:19]
	s_waitcnt vmcnt(3)
	v_lshlrev_b32_e32 v3, 16, v3
	s_waitcnt vmcnt(2)
	v_lshlrev_b32_e32 v10, 16, v12
	s_waitcnt vmcnt(1)
	v_mul_f32_e32 v11, v8, v10
	s_waitcnt vmcnt(0)
	v_mul_f32_e32 v10, v9, v10
	v_fmac_f32_e32 v11, v9, v3
	v_fma_f32 v3, v8, v3, -v10
	global_store_dword v[4:5], v3, off
	global_store_dword v[6:7], v11, off
	s_andn2_b64 exec, exec, s[18:19]
	s_cbranch_execnz .LBB40_3
.LBB40_4:
	s_or_b64 exec, exec, s[16:17]
	s_load_dwordx4 s[16:19], s[0:1], 0x68
	s_waitcnt lgkmcnt(0)
	s_ashr_i32 s7, s19, 31
	s_mov_b32 s6, s19
	s_or_b64 s[4:5], s[30:31], s[6:7]
	s_mov_b32 s4, 0
	s_cmp_lg_u64 s[4:5], 0
	s_cbranch_scc0 .LBB40_14
; %bb.5:
	s_add_u32 s4, s6, s7
	s_mov_b32 s36, s7
	s_mov_b32 s37, s7
	s_addc_u32 s5, s7, s7
	s_xor_b64 s[38:39], s[4:5], s[36:37]
	v_cvt_f32_u32_e32 v1, s38
	v_cvt_f32_u32_e32 v2, s39
	s_sub_u32 s3, 0, s38
	s_subb_u32 s4, 0, s39
	v_fmamk_f32 v1, v2, 0x4f800000, v1
	v_rcp_f32_e32 v1, v1
	s_nop 0
	v_mul_f32_e32 v1, 0x5f7ffffc, v1
	v_mul_f32_e32 v2, 0x2f800000, v1
	v_trunc_f32_e32 v2, v2
	v_fmamk_f32 v1, v2, 0xcf800000, v1
	v_cvt_u32_f32_e32 v2, v2
	v_cvt_u32_f32_e32 v1, v1
	v_readfirstlane_b32 s5, v2
	v_readfirstlane_b32 s19, v1
	s_mul_i32 s25, s3, s5
	s_mul_hi_u32 s40, s3, s19
	s_mul_i32 s33, s4, s19
	s_add_i32 s25, s40, s25
	s_add_i32 s25, s25, s33
	s_mul_i32 s41, s3, s19
	s_mul_hi_u32 s33, s19, s25
	s_mul_i32 s40, s19, s25
	s_mul_hi_u32 s19, s19, s41
	s_add_u32 s19, s19, s40
	s_addc_u32 s33, 0, s33
	s_mul_hi_u32 s42, s5, s41
	s_mul_i32 s41, s5, s41
	s_add_u32 s19, s19, s41
	s_mul_hi_u32 s40, s5, s25
	s_addc_u32 s19, s33, s42
	s_addc_u32 s33, s40, 0
	s_mul_i32 s25, s5, s25
	s_add_u32 s19, s19, s25
	s_addc_u32 s25, 0, s33
	v_add_co_u32_e32 v1, vcc, s19, v1
	s_cmp_lg_u64 vcc, 0
	s_addc_u32 s5, s5, s25
	v_readfirstlane_b32 s25, v1
	s_mul_i32 s19, s3, s5
	s_mul_hi_u32 s33, s3, s25
	s_add_i32 s19, s33, s19
	s_mul_i32 s4, s4, s25
	s_add_i32 s19, s19, s4
	s_mul_i32 s3, s3, s25
	s_mul_hi_u32 s33, s5, s3
	s_mul_i32 s40, s5, s3
	s_mul_i32 s42, s25, s19
	s_mul_hi_u32 s3, s25, s3
	s_mul_hi_u32 s41, s25, s19
	s_add_u32 s3, s3, s42
	s_addc_u32 s25, 0, s41
	s_add_u32 s3, s3, s40
	s_mul_hi_u32 s4, s5, s19
	s_addc_u32 s3, s25, s33
	s_addc_u32 s4, s4, 0
	s_mul_i32 s19, s5, s19
	s_add_u32 s3, s3, s19
	s_addc_u32 s4, 0, s4
	v_add_co_u32_e32 v1, vcc, s3, v1
	s_cmp_lg_u64 vcc, 0
	s_addc_u32 s3, s5, s4
	s_ashr_i32 s40, s31, 31
	s_add_u32 s4, s30, s40
	s_mov_b32 s41, s40
	s_addc_u32 s5, s31, s40
	s_xor_b64 s[42:43], s[4:5], s[40:41]
	v_readfirstlane_b32 s19, v1
	s_mul_i32 s5, s42, s3
	s_mul_hi_u32 s25, s42, s19
	s_mul_hi_u32 s4, s42, s3
	s_add_u32 s5, s25, s5
	s_addc_u32 s4, 0, s4
	s_mul_hi_u32 s33, s43, s19
	s_mul_i32 s19, s43, s19
	s_add_u32 s5, s5, s19
	s_mul_hi_u32 s25, s43, s3
	s_addc_u32 s4, s4, s33
	s_addc_u32 s5, s25, 0
	s_mul_i32 s3, s43, s3
	s_add_u32 s3, s4, s3
	s_addc_u32 s19, 0, s5
	s_mul_i32 s4, s38, s19
	s_mul_hi_u32 s5, s38, s3
	s_add_i32 s4, s5, s4
	s_mul_i32 s5, s39, s3
	s_add_i32 s25, s4, s5
	s_mul_i32 s5, s38, s3
	v_mov_b32_e32 v1, s5
	s_sub_i32 s4, s43, s25
	v_sub_co_u32_e32 v1, vcc, s42, v1
	s_cmp_lg_u64 vcc, 0
	s_subb_u32 s33, s4, s39
	v_subrev_co_u32_e64 v2, s[4:5], s38, v1
	s_cmp_lg_u64 s[4:5], 0
	s_subb_u32 s4, s33, 0
	s_cmp_ge_u32 s4, s39
	v_readfirstlane_b32 s33, v2
	s_cselect_b32 s5, -1, 0
	s_cmp_ge_u32 s33, s38
	s_cselect_b32 s33, -1, 0
	s_cmp_eq_u32 s4, s39
	s_cselect_b32 s4, s33, s5
	s_add_u32 s5, s3, 1
	s_addc_u32 s33, s19, 0
	s_add_u32 s42, s3, 2
	s_addc_u32 s44, s19, 0
	s_cmp_lg_u32 s4, 0
	s_cselect_b32 s4, s42, s5
	s_cselect_b32 s5, s44, s33
	s_cmp_lg_u64 vcc, 0
	s_subb_u32 s25, s43, s25
	s_cmp_ge_u32 s25, s39
	v_readfirstlane_b32 s42, v1
	s_cselect_b32 s33, -1, 0
	s_cmp_ge_u32 s42, s38
	s_cselect_b32 s38, -1, 0
	s_cmp_eq_u32 s25, s39
	s_cselect_b32 s25, s38, s33
	s_cmp_lg_u32 s25, 0
	s_cselect_b32 s5, s5, s19
	s_cselect_b32 s4, s4, s3
	s_xor_b64 s[36:37], s[40:41], s[36:37]
	s_xor_b64 s[4:5], s[4:5], s[36:37]
	s_sub_u32 s4, s4, s36
	s_subb_u32 s5, s5, s37
	s_cbranch_execnz .LBB40_7
.LBB40_6:
	v_cvt_f32_u32_e32 v1, s6
	s_sub_i32 s3, 0, s6
	s_mov_b32 s5, 0
	v_rcp_iflag_f32_e32 v1, v1
	s_nop 0
	v_mul_f32_e32 v1, 0x4f7ffffe, v1
	v_cvt_u32_f32_e32 v1, v1
	s_nop 0
	v_readfirstlane_b32 s4, v1
	s_mul_i32 s3, s3, s4
	s_mul_hi_u32 s3, s4, s3
	s_add_i32 s4, s4, s3
	s_mul_hi_u32 s3, s30, s4
	s_mul_i32 s19, s3, s6
	s_sub_i32 s19, s30, s19
	s_add_i32 s4, s3, 1
	s_sub_i32 s25, s19, s6
	s_cmp_ge_u32 s19, s6
	s_cselect_b32 s3, s4, s3
	s_cselect_b32 s19, s25, s19
	s_add_i32 s4, s3, 1
	s_cmp_ge_u32 s19, s6
	s_cselect_b32 s4, s4, s3
.LBB40_7:
	s_mul_i32 s3, s4, s7
	s_mul_hi_u32 s7, s4, s6
	s_add_i32 s3, s7, s3
	s_mul_i32 s7, s5, s6
	s_add_i32 s3, s3, s7
	s_mul_i32 s6, s4, s6
	s_sub_u32 s33, s30, s6
	s_subb_u32 s3, s31, s3
	v_cmp_gt_i32_e32 vcc, s24, v0
	s_mul_hi_u32 s41, s4, s16
	s_mul_i32 s42, s5, s16
	s_mul_i32 s30, s4, s16
	s_mul_hi_u32 s40, s33, s17
	s_mul_i32 s5, s3, s17
	s_mul_i32 s6, s33, s17
	s_and_saveexec_b64 s[34:35], vcc
	s_cbranch_execz .LBB40_10
; %bb.8:
	s_ashr_i32 s3, s16, 31
	s_mul_i32 s3, s4, s3
	s_add_i32 s3, s41, s3
	s_add_i32 s31, s3, s42
	s_ashr_i32 s3, s17, 31
	s_mul_i32 s3, s33, s3
	s_add_i32 s3, s40, s3
	s_add_i32 s7, s3, s5
	s_ashr_i32 s25, s24, 31
	s_lshl_b64 s[36:37], s[30:31], 1
	s_lshl_b64 s[38:39], s[6:7], 1
	s_add_u32 s31, s36, s38
	s_addc_u32 s43, s37, s39
	s_load_dword s38, s[0:1], 0x8c
	s_add_u32 s3, s31, s20
	s_addc_u32 s7, s43, s21
	s_ashr_i32 s19, s18, 31
	s_lshl_b64 s[44:45], s[18:19], 1
	s_add_u32 s36, s3, s44
	s_addc_u32 s37, s7, s45
	s_waitcnt lgkmcnt(0)
	s_and_b32 s3, s38, 0xffff
	s_lshl_b32 s7, s3, 1
	s_lshl_b64 s[46:47], s[24:25], 1
	s_add_u32 s19, s28, s46
	s_addc_u32 s28, s29, s47
	s_add_u32 s26, s26, s19
	s_mul_i32 s9, s9, s2
	s_mul_hi_u32 s19, s8, s2
	s_addc_u32 s27, s27, s28
	s_add_i32 s9, s19, s9
	s_mul_i32 s8, s8, s2
	s_lshl_b64 s[28:29], s[24:25], 2
	s_lshl_b64 s[8:9], s[8:9], 2
	v_mov_b32_e32 v3, 0
	s_add_u32 s8, s12, s8
	v_lshlrev_b32_e32 v4, 2, v0
	v_mov_b32_e32 v5, v3
	s_addc_u32 s9, s13, s9
	s_lshl_b32 s38, s3, 2
	v_lshl_add_u64 v[4:5], s[8:9], 0, v[4:5]
	s_add_u32 s8, s31, s46
	s_addc_u32 s9, s43, s47
	s_add_u32 s8, s8, s44
	s_addc_u32 s9, s9, s45
	s_add_u32 s8, s20, s8
	v_lshlrev_b32_e32 v2, 1, v0
	s_mov_b32 s39, 0
	s_addc_u32 s9, s21, s9
	s_mov_b64 s[12:13], 0
	v_mov_b32_e32 v1, v0
.LBB40_9:                               ; =>This Inner Loop Header: Depth=1
	v_lshl_add_u64 v[6:7], s[22:23], 0, v[2:3]
	global_load_ushort v12, v[6:7], off
	v_lshl_add_u64 v[6:7], s[26:27], 0, v[2:3]
	global_load_ushort v13, v[6:7], off
	v_lshl_add_u64 v[6:7], v[4:5], 0, s[28:29]
	global_load_dword v14, v[6:7], off
	global_load_dword v15, v[4:5], off
	s_add_u32 s22, s22, s7
	s_addc_u32 s23, s23, 0
	s_add_u32 s26, s26, s7
	s_addc_u32 s27, s27, 0
	v_lshl_add_u64 v[10:11], s[8:9], 0, v[2:3]
	s_add_u32 s8, s8, s7
	s_addc_u32 s9, s9, 0
	v_lshl_add_u64 v[8:9], s[36:37], 0, v[2:3]
	v_add_u32_e32 v1, s3, v1
	s_add_u32 s36, s36, s7
	v_cmp_le_i32_e32 vcc, s24, v1
	s_addc_u32 s37, s37, 0
	s_or_b64 s[12:13], vcc, s[12:13]
	s_waitcnt vmcnt(3)
	v_lshlrev_b32_e32 v12, 16, v12
	s_waitcnt vmcnt(2)
	v_lshlrev_b32_e32 v13, 16, v13
	s_waitcnt vmcnt(1)
	v_mul_f32_e32 v16, v14, v13
	s_waitcnt vmcnt(0)
	v_mul_f32_e32 v13, v15, v13
	v_fma_f32 v15, v15, v12, -v16
	v_fmac_f32_e32 v13, v14, v12
	global_store_dword v[4:5], v15, off
	global_store_dword v[6:7], v13, off
	global_store_short v[8:9], v15, off
	global_store_short v[10:11], v13, off
	v_lshl_add_u64 v[4:5], v[4:5], 0, s[38:39]
	s_andn2_b64 exec, exec, s[12:13]
	s_cbranch_execnz .LBB40_9
.LBB40_10:
	s_or_b64 exec, exec, s[34:35]
	v_cmp_gt_i32_e32 vcc, s18, v0
	s_and_saveexec_b64 s[8:9], vcc
	s_cbranch_execz .LBB40_13
; %bb.11:
	s_mul_i32 s3, s2, s11
	s_mul_hi_u32 s7, s2, s10
	s_add_i32 s3, s7, s3
	s_mul_i32 s2, s2, s10
	s_lshl_b64 s[2:3], s[2:3], 2
	s_add_u32 s2, s14, s2
	s_addc_u32 s3, s15, s3
	s_ashr_i32 s7, s16, 31
	s_mul_i32 s4, s4, s7
	s_add_i32 s4, s41, s4
	s_add_i32 s31, s4, s42
	s_lshl_b64 s[8:9], s[30:31], 1
	s_add_u32 s4, s20, s8
	s_addc_u32 s8, s21, s9
	s_ashr_i32 s7, s17, 31
	s_mul_i32 s33, s33, s7
	s_load_dword s9, s[0:1], 0x8c
	s_add_i32 s7, s40, s33
	s_add_i32 s7, s7, s5
	s_lshl_b64 s[0:1], s[6:7], 1
	s_add_u32 s0, s4, s0
	s_addc_u32 s1, s8, s1
	s_waitcnt lgkmcnt(0)
	s_and_b32 s6, s9, 0xffff
	s_mov_b64 s[4:5], 0
.LBB40_12:                              ; =>This Inner Loop Header: Depth=1
	v_ashrrev_i32_e32 v1, 31, v0
	v_lshl_add_u64 v[2:3], v[0:1], 2, s[2:3]
	global_load_ushort v4, v[2:3], off
	v_lshl_add_u64 v[2:3], v[0:1], 1, s[0:1]
	v_add_u32_e32 v0, s6, v0
	v_cmp_le_i32_e32 vcc, s18, v0
	s_or_b64 s[4:5], vcc, s[4:5]
	s_waitcnt vmcnt(0)
	global_store_short v[2:3], v4, off
	s_andn2_b64 exec, exec, s[4:5]
	s_cbranch_execnz .LBB40_12
.LBB40_13:
	s_endpgm
.LBB40_14:
                                        ; implicit-def: $sgpr4_sgpr5
	s_branch .LBB40_6
	.section	.rodata,"a",@progbits
	.p2align	6, 0x0
	.amdhsa_kernel _ZN4vllm38concat_and_cache_mla_rope_fused_kernelIfN3c108BFloat16ELb1E14__hip_bfloat16S3_LNS_18Fp8KVCacheDataTypeE0EEEvPKlPT_S8_PKS7_PKT0_illlliPT3_S6_iiiiPKf
		.amdhsa_group_segment_fixed_size 0
		.amdhsa_private_segment_fixed_size 0
		.amdhsa_kernarg_size 384
		.amdhsa_user_sgpr_count 2
		.amdhsa_user_sgpr_dispatch_ptr 0
		.amdhsa_user_sgpr_queue_ptr 0
		.amdhsa_user_sgpr_kernarg_segment_ptr 1
		.amdhsa_user_sgpr_dispatch_id 0
		.amdhsa_user_sgpr_kernarg_preload_length 0
		.amdhsa_user_sgpr_kernarg_preload_offset 0
		.amdhsa_user_sgpr_private_segment_size 0
		.amdhsa_uses_dynamic_stack 0
		.amdhsa_enable_private_segment 0
		.amdhsa_system_sgpr_workgroup_id_x 1
		.amdhsa_system_sgpr_workgroup_id_y 0
		.amdhsa_system_sgpr_workgroup_id_z 0
		.amdhsa_system_sgpr_workgroup_info 0
		.amdhsa_system_vgpr_workitem_id 0
		.amdhsa_next_free_vgpr 17
		.amdhsa_next_free_sgpr 48
		.amdhsa_accum_offset 20
		.amdhsa_reserve_vcc 1
		.amdhsa_float_round_mode_32 0
		.amdhsa_float_round_mode_16_64 0
		.amdhsa_float_denorm_mode_32 3
		.amdhsa_float_denorm_mode_16_64 3
		.amdhsa_dx10_clamp 1
		.amdhsa_ieee_mode 1
		.amdhsa_fp16_overflow 0
		.amdhsa_tg_split 0
		.amdhsa_exception_fp_ieee_invalid_op 0
		.amdhsa_exception_fp_denorm_src 0
		.amdhsa_exception_fp_ieee_div_zero 0
		.amdhsa_exception_fp_ieee_overflow 0
		.amdhsa_exception_fp_ieee_underflow 0
		.amdhsa_exception_fp_ieee_inexact 0
		.amdhsa_exception_int_div_zero 0
	.end_amdhsa_kernel
	.section	.text._ZN4vllm38concat_and_cache_mla_rope_fused_kernelIfN3c108BFloat16ELb1E14__hip_bfloat16S3_LNS_18Fp8KVCacheDataTypeE0EEEvPKlPT_S8_PKS7_PKT0_illlliPT3_S6_iiiiPKf,"axG",@progbits,_ZN4vllm38concat_and_cache_mla_rope_fused_kernelIfN3c108BFloat16ELb1E14__hip_bfloat16S3_LNS_18Fp8KVCacheDataTypeE0EEEvPKlPT_S8_PKS7_PKT0_illlliPT3_S6_iiiiPKf,comdat
.Lfunc_end40:
	.size	_ZN4vllm38concat_and_cache_mla_rope_fused_kernelIfN3c108BFloat16ELb1E14__hip_bfloat16S3_LNS_18Fp8KVCacheDataTypeE0EEEvPKlPT_S8_PKS7_PKT0_illlliPT3_S6_iiiiPKf, .Lfunc_end40-_ZN4vllm38concat_and_cache_mla_rope_fused_kernelIfN3c108BFloat16ELb1E14__hip_bfloat16S3_LNS_18Fp8KVCacheDataTypeE0EEEvPKlPT_S8_PKS7_PKT0_illlliPT3_S6_iiiiPKf
                                        ; -- End function
	.section	.AMDGPU.csdata,"",@progbits
; Kernel info:
; codeLenInByte = 1972
; NumSgprs: 54
; NumVgprs: 17
; NumAgprs: 0
; TotalNumVgprs: 17
; ScratchSize: 0
; MemoryBound: 0
; FloatMode: 240
; IeeeMode: 1
; LDSByteSize: 0 bytes/workgroup (compile time only)
; SGPRBlocks: 6
; VGPRBlocks: 2
; NumSGPRsForWavesPerEU: 54
; NumVGPRsForWavesPerEU: 17
; AccumOffset: 20
; Occupancy: 8
; WaveLimiterHint : 1
; COMPUTE_PGM_RSRC2:SCRATCH_EN: 0
; COMPUTE_PGM_RSRC2:USER_SGPR: 2
; COMPUTE_PGM_RSRC2:TRAP_HANDLER: 0
; COMPUTE_PGM_RSRC2:TGID_X_EN: 1
; COMPUTE_PGM_RSRC2:TGID_Y_EN: 0
; COMPUTE_PGM_RSRC2:TGID_Z_EN: 0
; COMPUTE_PGM_RSRC2:TIDIG_COMP_CNT: 0
; COMPUTE_PGM_RSRC3_GFX90A:ACCUM_OFFSET: 4
; COMPUTE_PGM_RSRC3_GFX90A:TG_SPLIT: 0
	.section	.text._ZN4vllm38concat_and_cache_mla_rope_fused_kernelIfN3c108BFloat16ELb0E14__hip_bfloat16S3_LNS_18Fp8KVCacheDataTypeE0EEEvPKlPT_S8_PKS7_PKT0_illlliPT3_S6_iiiiPKf,"axG",@progbits,_ZN4vllm38concat_and_cache_mla_rope_fused_kernelIfN3c108BFloat16ELb0E14__hip_bfloat16S3_LNS_18Fp8KVCacheDataTypeE0EEEvPKlPT_S8_PKS7_PKT0_illlliPT3_S6_iiiiPKf,comdat
	.protected	_ZN4vllm38concat_and_cache_mla_rope_fused_kernelIfN3c108BFloat16ELb0E14__hip_bfloat16S3_LNS_18Fp8KVCacheDataTypeE0EEEvPKlPT_S8_PKS7_PKT0_illlliPT3_S6_iiiiPKf ; -- Begin function _ZN4vllm38concat_and_cache_mla_rope_fused_kernelIfN3c108BFloat16ELb0E14__hip_bfloat16S3_LNS_18Fp8KVCacheDataTypeE0EEEvPKlPT_S8_PKS7_PKT0_illlliPT3_S6_iiiiPKf
	.globl	_ZN4vllm38concat_and_cache_mla_rope_fused_kernelIfN3c108BFloat16ELb0E14__hip_bfloat16S3_LNS_18Fp8KVCacheDataTypeE0EEEvPKlPT_S8_PKS7_PKT0_illlliPT3_S6_iiiiPKf
	.p2align	8
	.type	_ZN4vllm38concat_and_cache_mla_rope_fused_kernelIfN3c108BFloat16ELb0E14__hip_bfloat16S3_LNS_18Fp8KVCacheDataTypeE0EEEvPKlPT_S8_PKS7_PKT0_illlliPT3_S6_iiiiPKf,@function
_ZN4vllm38concat_and_cache_mla_rope_fused_kernelIfN3c108BFloat16ELb0E14__hip_bfloat16S3_LNS_18Fp8KVCacheDataTypeE0EEEvPKlPT_S8_PKS7_PKT0_illlliPT3_S6_iiiiPKf: ; @_ZN4vllm38concat_and_cache_mla_rope_fused_kernelIfN3c108BFloat16ELb0E14__hip_bfloat16S3_LNS_18Fp8KVCacheDataTypeE0EEEvPKlPT_S8_PKS7_PKT0_illlliPT3_S6_iiiiPKf
; %bb.0:
	s_load_dwordx2 s[6:7], s[0:1], 0x60
	s_mov_b32 s3, 0
	s_lshl_b64 s[4:5], s[2:3], 3
	s_waitcnt lgkmcnt(0)
	s_add_u32 s6, s6, s4
	s_addc_u32 s7, s7, s5
	s_load_dwordx2 s[26:27], s[6:7], 0x0
	s_waitcnt lgkmcnt(0)
	v_cmp_lt_i64_e64 s[6:7], s[26:27], 0
	s_and_b64 vcc, exec, s[6:7]
	s_cbranch_vccnz .LBB41_13
; %bb.1:
	s_load_dword s3, s[0:1], 0x28
	s_load_dwordx2 s[6:7], s[0:1], 0x0
	s_load_dwordx4 s[12:15], s[0:1], 0x10
	v_lshlrev_b32_e32 v2, 1, v0
	s_waitcnt lgkmcnt(0)
	s_ashr_i32 s22, s3, 31
	s_add_u32 s16, s6, s4
	s_addc_u32 s17, s7, s5
	s_load_dwordx2 s[18:19], s[16:17], 0x0
	s_load_dwordx2 s[24:25], s[0:1], 0x20
	s_load_dwordx8 s[4:11], s[0:1], 0x30
	s_load_dwordx2 s[20:21], s[0:1], 0x58
	s_load_dword s23, s[0:1], 0x50
	s_waitcnt lgkmcnt(0)
	s_mul_i32 s16, s18, s22
	s_mul_hi_u32 s17, s18, s3
	s_mul_i32 s19, s19, s3
	s_add_i32 s16, s17, s16
	s_add_i32 s29, s16, s19
	s_lshr_b32 s16, s3, 31
	s_mul_i32 s28, s18, s3
	s_add_i32 s3, s3, s16
	s_ashr_i32 s22, s3, 1
	s_mul_i32 s3, s22, s23
	v_cmp_gt_i32_e32 vcc, s3, v0
	s_and_saveexec_b64 s[16:17], vcc
	s_cbranch_execz .LBB41_4
; %bb.2:
	s_load_dwordx2 s[30:31], s[0:1], 0x8
	s_load_dword s34, s[0:1], 0x8c
	s_lshl_b64 s[18:19], s[28:29], 1
	s_add_u32 s18, s24, s18
	s_mul_i32 s5, s2, s5
	s_mul_hi_u32 s33, s2, s4
	s_addc_u32 s19, s25, s19
	s_add_i32 s5, s33, s5
	s_mul_i32 s4, s2, s4
	s_ashr_i32 s23, s22, 31
	s_lshl_b64 s[4:5], s[4:5], 2
	s_waitcnt lgkmcnt(0)
	s_add_u32 s4, s30, s4
	s_addc_u32 s5, s31, s5
	s_abs_i32 s33, s22
	v_cvt_f32_u32_e32 v1, s33
	s_sub_i32 s30, 0, s33
	s_and_b32 s34, s34, 0xffff
	s_sub_i32 s35, 0, s22
	v_rcp_iflag_f32_e32 v1, v1
	s_lshl_b32 s37, s34, 1
	v_mov_b32_e32 v4, v2
	v_mov_b32_e32 v6, v0
	v_mul_f32_e32 v1, 0x4f7ffffe, v1
	v_cvt_u32_f32_e32 v1, v1
	v_mul_lo_u32 v3, s30, v1
	v_mul_hi_u32 v3, v1, v3
	s_lshl_b32 s30, s22, 1
	v_add_u32_e32 v1, v1, v3
	s_sub_i32 s36, 0, s30
	s_mov_b64 s[30:31], 0
.LBB41_3:                               ; =>This Inner Loop Header: Depth=1
	v_sub_u32_e32 v5, 0, v6
	v_max_i32_e32 v5, v6, v5
	v_mul_hi_u32 v7, v5, v1
	v_mul_lo_u32 v8, v7, s33
	v_sub_u32_e32 v5, v5, v8
	v_add_u32_e32 v9, 1, v7
	v_cmp_le_u32_e32 vcc, s33, v5
	v_subrev_u32_e32 v8, s33, v5
	v_ashrrev_i32_e32 v3, 31, v6
	v_cndmask_b32_e32 v7, v7, v9, vcc
	v_cndmask_b32_e32 v5, v5, v8, vcc
	v_add_u32_e32 v8, 1, v7
	v_cmp_le_u32_e32 vcc, s33, v5
	v_xor_b32_e32 v3, s23, v3
	s_nop 0
	v_cndmask_b32_e32 v5, v7, v8, vcc
	v_xor_b32_e32 v5, v5, v3
	v_sub_u32_e32 v3, v5, v3
	v_ashrrev_i32_e32 v5, 31, v3
	v_mad_u64_u32 v[8:9], s[38:39], s35, v3, v[6:7]
	v_mul_lo_u32 v7, v3, s7
	v_mad_u64_u32 v[10:11], s[38:39], v3, s6, 0
	v_mad_u64_u32 v[12:13], s[38:39], s36, v3, v[4:5]
	v_mul_lo_u32 v3, v5, s6
	v_ashrrev_i32_e32 v9, 31, v8
	v_add3_u32 v11, v11, v7, v3
	v_ashrrev_i32_e32 v13, 31, v12
	v_lshl_add_u64 v[8:9], v[8:9], 1, s[18:19]
	v_lshl_add_u64 v[10:11], v[10:11], 2, s[4:5]
	v_lshl_add_u64 v[14:15], s[22:23], 1, v[8:9]
	global_load_ushort v3, v[8:9], off
	global_load_ushort v5, v[14:15], off
	v_lshl_add_u64 v[8:9], v[12:13], 2, v[10:11]
	global_load_dwordx2 v[10:11], v[8:9], off
	v_add_u32_e32 v6, s34, v6
	v_cmp_le_i32_e32 vcc, s3, v6
	v_add_u32_e32 v4, s37, v4
	s_or_b64 s[30:31], vcc, s[30:31]
	s_waitcnt vmcnt(2)
	v_lshlrev_b32_e32 v3, 16, v3
	s_waitcnt vmcnt(1)
	v_lshlrev_b32_e32 v5, 16, v5
	s_waitcnt vmcnt(0)
	v_mul_f32_e32 v7, v11, v5
	v_mul_f32_e32 v13, v10, v5
	v_fma_f32 v12, v10, v3, -v7
	v_fmac_f32_e32 v13, v11, v3
	global_store_dwordx2 v[8:9], v[12:13], off
	s_andn2_b64 exec, exec, s[30:31]
	s_cbranch_execnz .LBB41_3
.LBB41_4:
	s_or_b64 exec, exec, s[16:17]
	s_load_dwordx4 s[16:19], s[0:1], 0x68
	s_waitcnt lgkmcnt(0)
	s_ashr_i32 s7, s19, 31
	s_mov_b32 s6, s19
	s_or_b64 s[4:5], s[26:27], s[6:7]
	s_mov_b32 s4, 0
	s_cmp_lg_u64 s[4:5], 0
	s_cbranch_scc0 .LBB41_14
; %bb.5:
	s_add_u32 s4, s6, s7
	s_mov_b32 s34, s7
	s_mov_b32 s35, s7
	s_addc_u32 s5, s7, s7
	s_xor_b64 s[36:37], s[4:5], s[34:35]
	v_cvt_f32_u32_e32 v1, s36
	v_cvt_f32_u32_e32 v3, s37
	s_sub_u32 s3, 0, s36
	s_subb_u32 s4, 0, s37
	v_fmamk_f32 v1, v3, 0x4f800000, v1
	v_rcp_f32_e32 v1, v1
	s_nop 0
	v_mul_f32_e32 v1, 0x5f7ffffc, v1
	v_mul_f32_e32 v3, 0x2f800000, v1
	v_trunc_f32_e32 v3, v3
	v_fmamk_f32 v1, v3, 0xcf800000, v1
	v_cvt_u32_f32_e32 v3, v3
	v_cvt_u32_f32_e32 v1, v1
	v_readfirstlane_b32 s5, v3
	v_readfirstlane_b32 s19, v1
	s_mul_i32 s23, s3, s5
	s_mul_hi_u32 s38, s3, s19
	s_mul_i32 s33, s4, s19
	s_add_i32 s23, s38, s23
	s_add_i32 s23, s23, s33
	s_mul_i32 s39, s3, s19
	s_mul_hi_u32 s33, s19, s23
	s_mul_i32 s38, s19, s23
	s_mul_hi_u32 s19, s19, s39
	s_add_u32 s19, s19, s38
	s_addc_u32 s33, 0, s33
	s_mul_hi_u32 s40, s5, s39
	s_mul_i32 s39, s5, s39
	s_add_u32 s19, s19, s39
	s_mul_hi_u32 s38, s5, s23
	s_addc_u32 s19, s33, s40
	s_addc_u32 s33, s38, 0
	s_mul_i32 s23, s5, s23
	s_add_u32 s19, s19, s23
	s_addc_u32 s23, 0, s33
	v_add_co_u32_e32 v1, vcc, s19, v1
	s_cmp_lg_u64 vcc, 0
	s_addc_u32 s5, s5, s23
	v_readfirstlane_b32 s23, v1
	s_mul_i32 s19, s3, s5
	s_mul_hi_u32 s33, s3, s23
	s_add_i32 s19, s33, s19
	s_mul_i32 s4, s4, s23
	s_add_i32 s19, s19, s4
	s_mul_i32 s3, s3, s23
	s_mul_hi_u32 s33, s5, s3
	s_mul_i32 s38, s5, s3
	s_mul_i32 s40, s23, s19
	s_mul_hi_u32 s3, s23, s3
	s_mul_hi_u32 s39, s23, s19
	s_add_u32 s3, s3, s40
	s_addc_u32 s23, 0, s39
	s_add_u32 s3, s3, s38
	s_mul_hi_u32 s4, s5, s19
	s_addc_u32 s3, s23, s33
	s_addc_u32 s4, s4, 0
	s_mul_i32 s19, s5, s19
	s_add_u32 s3, s3, s19
	s_addc_u32 s4, 0, s4
	v_add_co_u32_e32 v1, vcc, s3, v1
	s_cmp_lg_u64 vcc, 0
	s_addc_u32 s3, s5, s4
	s_ashr_i32 s38, s27, 31
	s_add_u32 s4, s26, s38
	s_mov_b32 s39, s38
	s_addc_u32 s5, s27, s38
	s_xor_b64 s[40:41], s[4:5], s[38:39]
	v_readfirstlane_b32 s19, v1
	s_mul_i32 s5, s40, s3
	s_mul_hi_u32 s23, s40, s19
	s_mul_hi_u32 s4, s40, s3
	s_add_u32 s5, s23, s5
	s_addc_u32 s4, 0, s4
	s_mul_hi_u32 s33, s41, s19
	s_mul_i32 s19, s41, s19
	s_add_u32 s5, s5, s19
	s_mul_hi_u32 s23, s41, s3
	s_addc_u32 s4, s4, s33
	s_addc_u32 s5, s23, 0
	s_mul_i32 s3, s41, s3
	s_add_u32 s3, s4, s3
	s_addc_u32 s19, 0, s5
	s_mul_i32 s4, s36, s19
	s_mul_hi_u32 s5, s36, s3
	s_add_i32 s4, s5, s4
	s_mul_i32 s5, s37, s3
	s_add_i32 s23, s4, s5
	s_mul_i32 s5, s36, s3
	v_mov_b32_e32 v1, s5
	s_sub_i32 s4, s41, s23
	v_sub_co_u32_e32 v1, vcc, s40, v1
	s_cmp_lg_u64 vcc, 0
	s_subb_u32 s33, s4, s37
	v_subrev_co_u32_e64 v3, s[4:5], s36, v1
	s_cmp_lg_u64 s[4:5], 0
	s_subb_u32 s4, s33, 0
	s_cmp_ge_u32 s4, s37
	v_readfirstlane_b32 s33, v3
	s_cselect_b32 s5, -1, 0
	s_cmp_ge_u32 s33, s36
	s_cselect_b32 s33, -1, 0
	s_cmp_eq_u32 s4, s37
	s_cselect_b32 s4, s33, s5
	s_add_u32 s5, s3, 1
	s_addc_u32 s33, s19, 0
	s_add_u32 s40, s3, 2
	s_addc_u32 s42, s19, 0
	s_cmp_lg_u32 s4, 0
	s_cselect_b32 s4, s40, s5
	s_cselect_b32 s5, s42, s33
	s_cmp_lg_u64 vcc, 0
	s_subb_u32 s23, s41, s23
	s_cmp_ge_u32 s23, s37
	v_readfirstlane_b32 s40, v1
	s_cselect_b32 s33, -1, 0
	s_cmp_ge_u32 s40, s36
	s_cselect_b32 s36, -1, 0
	s_cmp_eq_u32 s23, s37
	s_cselect_b32 s23, s36, s33
	s_cmp_lg_u32 s23, 0
	s_cselect_b32 s5, s5, s19
	s_cselect_b32 s4, s4, s3
	s_xor_b64 s[34:35], s[38:39], s[34:35]
	s_xor_b64 s[4:5], s[4:5], s[34:35]
	s_sub_u32 s4, s4, s34
	s_subb_u32 s5, s5, s35
	s_cbranch_execnz .LBB41_7
.LBB41_6:
	v_cvt_f32_u32_e32 v1, s6
	s_sub_i32 s3, 0, s6
	s_mov_b32 s5, 0
	v_rcp_iflag_f32_e32 v1, v1
	s_nop 0
	v_mul_f32_e32 v1, 0x4f7ffffe, v1
	v_cvt_u32_f32_e32 v1, v1
	s_nop 0
	v_readfirstlane_b32 s4, v1
	s_mul_i32 s3, s3, s4
	s_mul_hi_u32 s3, s4, s3
	s_add_i32 s4, s4, s3
	s_mul_hi_u32 s3, s26, s4
	s_mul_i32 s19, s3, s6
	s_sub_i32 s19, s26, s19
	s_add_i32 s4, s3, 1
	s_sub_i32 s23, s19, s6
	s_cmp_ge_u32 s19, s6
	s_cselect_b32 s3, s4, s3
	s_cselect_b32 s19, s23, s19
	s_add_i32 s4, s3, 1
	s_cmp_ge_u32 s19, s6
	s_cselect_b32 s4, s4, s3
.LBB41_7:
	s_mul_i32 s3, s4, s7
	s_mul_hi_u32 s7, s4, s6
	s_add_i32 s3, s7, s3
	s_mul_i32 s7, s5, s6
	s_add_i32 s3, s3, s7
	s_mul_i32 s6, s4, s6
	s_sub_u32 s33, s26, s6
	s_subb_u32 s3, s27, s3
	v_cmp_gt_i32_e32 vcc, s22, v0
	s_mul_hi_u32 s37, s4, s16
	s_mul_i32 s38, s5, s16
	s_mul_i32 s26, s4, s16
	s_mul_hi_u32 s36, s33, s17
	s_mul_i32 s5, s3, s17
	s_mul_i32 s6, s33, s17
	s_and_saveexec_b64 s[30:31], vcc
	s_cbranch_execz .LBB41_10
; %bb.8:
	s_load_dword s3, s[0:1], 0x8c
	s_ashr_i32 s23, s22, 31
	s_ashr_i32 s7, s16, 31
	;; [unrolled: 1-line block ×4, first 2 shown]
	s_waitcnt lgkmcnt(0)
	s_and_b32 s3, s3, 0xffff
	s_lshl_b64 s[34:35], s[28:29], 1
	s_add_u32 s24, s24, s34
	v_mov_b32_e32 v3, 0
	s_addc_u32 s25, s25, s35
	v_lshl_add_u64 v[4:5], s[24:25], 0, v[2:3]
	s_lshl_b64 s[24:25], s[22:23], 1
	s_mul_i32 s9, s9, s2
	s_mul_hi_u32 s23, s8, s2
	s_add_i32 s9, s23, s9
	s_mul_i32 s8, s8, s2
	s_lshl_b32 s28, s3, 1
	s_lshl_b64 s[8:9], s[8:9], 2
	s_add_u32 s8, s12, s8
	s_mul_i32 s7, s4, s7
	s_addc_u32 s9, s13, s9
	s_add_i32 s7, s37, s7
	s_add_i32 s27, s7, s38
	s_mul_i32 s7, s33, s39
	s_add_i32 s7, s36, s7
	v_lshlrev_b32_e32 v2, 3, v0
	s_add_i32 s7, s7, s5
	v_lshl_add_u64 v[6:7], s[8:9], 0, v[2:3]
	s_lshl_b32 s8, s3, 3
	s_lshl_b64 s[12:13], s[26:27], 1
	s_lshl_b64 s[34:35], s[6:7], 1
	s_add_u32 s7, s12, s34
	s_addc_u32 s23, s13, s35
	s_lshl_b64 s[12:13], s[18:19], 1
	s_add_u32 s12, s20, s12
	s_addc_u32 s13, s21, s13
	s_add_u32 s12, s12, s7
	s_mov_b32 s29, 0
	v_lshlrev_b32_e32 v2, 2, v0
	s_addc_u32 s13, s13, s23
	v_lshl_add_u64 v[6:7], v[6:7], 0, 4
	s_mov_b32 s9, s29
	v_lshl_add_u64 v[2:3], s[12:13], 0, v[2:3]
	s_lshl_b32 s12, s3, 2
	s_mov_b32 s13, s29
	s_mov_b64 s[34:35], 0
	s_mov_b32 s7, 0x5040100
	v_mov_b32_e32 v1, v0
.LBB41_9:                               ; =>This Inner Loop Header: Depth=1
	global_load_ushort v12, v[4:5], off
	v_lshl_add_u64 v[8:9], v[4:5], 0, s[24:25]
	global_load_ushort v13, v[8:9], off
	global_load_dwordx2 v[10:11], v[6:7], off offset:-4
	v_add_u32_e32 v1, s3, v1
	v_cmp_le_i32_e32 vcc, s22, v1
	v_lshl_add_u64 v[4:5], v[4:5], 0, s[28:29]
	s_or_b64 s[34:35], vcc, s[34:35]
	s_waitcnt vmcnt(2)
	v_lshlrev_b32_e32 v8, 16, v12
	s_waitcnt vmcnt(1)
	v_lshlrev_b32_e32 v12, 16, v13
	s_waitcnt vmcnt(0)
	v_pk_mul_f32 v[12:13], v[10:11], v[12:13] op_sel_hi:[1,0]
	s_nop 0
	v_pk_fma_f32 v[14:15], v[10:11], v[8:9], v[12:13] op_sel:[0,0,1] op_sel_hi:[1,1,0] neg_lo:[0,0,1] neg_hi:[0,0,1]
	v_pk_fma_f32 v[8:9], v[10:11], v[8:9], v[12:13] op_sel:[0,0,1] op_sel_hi:[1,0,0]
	s_nop 0
	v_mov_b32_e32 v15, v9
	v_perm_b32 v8, v9, v14, s7
	global_store_dwordx2 v[6:7], v[14:15], off offset:-4
	global_store_dword v[2:3], v8, off
	v_lshl_add_u64 v[6:7], v[6:7], 0, s[8:9]
	v_lshl_add_u64 v[2:3], v[2:3], 0, s[12:13]
	s_andn2_b64 exec, exec, s[34:35]
	s_cbranch_execnz .LBB41_9
.LBB41_10:
	s_or_b64 exec, exec, s[30:31]
	v_cmp_gt_i32_e32 vcc, s18, v0
	s_and_saveexec_b64 s[8:9], vcc
	s_cbranch_execz .LBB41_13
; %bb.11:
	s_mul_i32 s3, s2, s11
	s_mul_hi_u32 s7, s2, s10
	s_add_i32 s3, s7, s3
	s_mul_i32 s2, s2, s10
	s_lshl_b64 s[2:3], s[2:3], 2
	s_add_u32 s2, s14, s2
	s_addc_u32 s3, s15, s3
	s_ashr_i32 s7, s16, 31
	s_mul_i32 s4, s4, s7
	s_add_i32 s4, s37, s4
	s_add_i32 s27, s4, s38
	s_lshl_b64 s[8:9], s[26:27], 1
	s_add_u32 s4, s20, s8
	s_addc_u32 s8, s21, s9
	s_ashr_i32 s7, s17, 31
	s_mul_i32 s33, s33, s7
	s_load_dword s9, s[0:1], 0x8c
	s_add_i32 s7, s36, s33
	s_add_i32 s7, s7, s5
	s_lshl_b64 s[0:1], s[6:7], 1
	s_add_u32 s0, s4, s0
	s_addc_u32 s1, s8, s1
	s_waitcnt lgkmcnt(0)
	s_and_b32 s6, s9, 0xffff
	s_mov_b64 s[4:5], 0
.LBB41_12:                              ; =>This Inner Loop Header: Depth=1
	v_ashrrev_i32_e32 v1, 31, v0
	v_lshl_add_u64 v[2:3], v[0:1], 2, s[2:3]
	global_load_ushort v4, v[2:3], off
	v_lshl_add_u64 v[2:3], v[0:1], 1, s[0:1]
	v_add_u32_e32 v0, s6, v0
	v_cmp_le_i32_e32 vcc, s18, v0
	s_or_b64 s[4:5], vcc, s[4:5]
	s_waitcnt vmcnt(0)
	global_store_short v[2:3], v4, off
	s_andn2_b64 exec, exec, s[4:5]
	s_cbranch_execnz .LBB41_12
.LBB41_13:
	s_endpgm
.LBB41_14:
                                        ; implicit-def: $sgpr4_sgpr5
	s_branch .LBB41_6
	.section	.rodata,"a",@progbits
	.p2align	6, 0x0
	.amdhsa_kernel _ZN4vllm38concat_and_cache_mla_rope_fused_kernelIfN3c108BFloat16ELb0E14__hip_bfloat16S3_LNS_18Fp8KVCacheDataTypeE0EEEvPKlPT_S8_PKS7_PKT0_illlliPT3_S6_iiiiPKf
		.amdhsa_group_segment_fixed_size 0
		.amdhsa_private_segment_fixed_size 0
		.amdhsa_kernarg_size 384
		.amdhsa_user_sgpr_count 2
		.amdhsa_user_sgpr_dispatch_ptr 0
		.amdhsa_user_sgpr_queue_ptr 0
		.amdhsa_user_sgpr_kernarg_segment_ptr 1
		.amdhsa_user_sgpr_dispatch_id 0
		.amdhsa_user_sgpr_kernarg_preload_length 0
		.amdhsa_user_sgpr_kernarg_preload_offset 0
		.amdhsa_user_sgpr_private_segment_size 0
		.amdhsa_uses_dynamic_stack 0
		.amdhsa_enable_private_segment 0
		.amdhsa_system_sgpr_workgroup_id_x 1
		.amdhsa_system_sgpr_workgroup_id_y 0
		.amdhsa_system_sgpr_workgroup_id_z 0
		.amdhsa_system_sgpr_workgroup_info 0
		.amdhsa_system_vgpr_workitem_id 0
		.amdhsa_next_free_vgpr 16
		.amdhsa_next_free_sgpr 43
		.amdhsa_accum_offset 16
		.amdhsa_reserve_vcc 1
		.amdhsa_float_round_mode_32 0
		.amdhsa_float_round_mode_16_64 0
		.amdhsa_float_denorm_mode_32 3
		.amdhsa_float_denorm_mode_16_64 3
		.amdhsa_dx10_clamp 1
		.amdhsa_ieee_mode 1
		.amdhsa_fp16_overflow 0
		.amdhsa_tg_split 0
		.amdhsa_exception_fp_ieee_invalid_op 0
		.amdhsa_exception_fp_denorm_src 0
		.amdhsa_exception_fp_ieee_div_zero 0
		.amdhsa_exception_fp_ieee_overflow 0
		.amdhsa_exception_fp_ieee_underflow 0
		.amdhsa_exception_fp_ieee_inexact 0
		.amdhsa_exception_int_div_zero 0
	.end_amdhsa_kernel
	.section	.text._ZN4vllm38concat_and_cache_mla_rope_fused_kernelIfN3c108BFloat16ELb0E14__hip_bfloat16S3_LNS_18Fp8KVCacheDataTypeE0EEEvPKlPT_S8_PKS7_PKT0_illlliPT3_S6_iiiiPKf,"axG",@progbits,_ZN4vllm38concat_and_cache_mla_rope_fused_kernelIfN3c108BFloat16ELb0E14__hip_bfloat16S3_LNS_18Fp8KVCacheDataTypeE0EEEvPKlPT_S8_PKS7_PKT0_illlliPT3_S6_iiiiPKf,comdat
.Lfunc_end41:
	.size	_ZN4vllm38concat_and_cache_mla_rope_fused_kernelIfN3c108BFloat16ELb0E14__hip_bfloat16S3_LNS_18Fp8KVCacheDataTypeE0EEEvPKlPT_S8_PKS7_PKT0_illlliPT3_S6_iiiiPKf, .Lfunc_end41-_ZN4vllm38concat_and_cache_mla_rope_fused_kernelIfN3c108BFloat16ELb0E14__hip_bfloat16S3_LNS_18Fp8KVCacheDataTypeE0EEEvPKlPT_S8_PKS7_PKT0_illlliPT3_S6_iiiiPKf
                                        ; -- End function
	.section	.AMDGPU.csdata,"",@progbits
; Kernel info:
; codeLenInByte = 1936
; NumSgprs: 49
; NumVgprs: 16
; NumAgprs: 0
; TotalNumVgprs: 16
; ScratchSize: 0
; MemoryBound: 0
; FloatMode: 240
; IeeeMode: 1
; LDSByteSize: 0 bytes/workgroup (compile time only)
; SGPRBlocks: 6
; VGPRBlocks: 1
; NumSGPRsForWavesPerEU: 49
; NumVGPRsForWavesPerEU: 16
; AccumOffset: 16
; Occupancy: 8
; WaveLimiterHint : 1
; COMPUTE_PGM_RSRC2:SCRATCH_EN: 0
; COMPUTE_PGM_RSRC2:USER_SGPR: 2
; COMPUTE_PGM_RSRC2:TRAP_HANDLER: 0
; COMPUTE_PGM_RSRC2:TGID_X_EN: 1
; COMPUTE_PGM_RSRC2:TGID_Y_EN: 0
; COMPUTE_PGM_RSRC2:TGID_Z_EN: 0
; COMPUTE_PGM_RSRC2:TIDIG_COMP_CNT: 0
; COMPUTE_PGM_RSRC3_GFX90A:ACCUM_OFFSET: 3
; COMPUTE_PGM_RSRC3_GFX90A:TG_SPLIT: 0
	.section	.text._ZN4vllm38concat_and_cache_mla_rope_fused_kernelIN3c104HalfEfLb1E14__hip_bfloat16S3_LNS_18Fp8KVCacheDataTypeE0EEEvPKlPT_S8_PKS7_PKT0_illlliPT3_S6_iiiiPKf,"axG",@progbits,_ZN4vllm38concat_and_cache_mla_rope_fused_kernelIN3c104HalfEfLb1E14__hip_bfloat16S3_LNS_18Fp8KVCacheDataTypeE0EEEvPKlPT_S8_PKS7_PKT0_illlliPT3_S6_iiiiPKf,comdat
	.protected	_ZN4vllm38concat_and_cache_mla_rope_fused_kernelIN3c104HalfEfLb1E14__hip_bfloat16S3_LNS_18Fp8KVCacheDataTypeE0EEEvPKlPT_S8_PKS7_PKT0_illlliPT3_S6_iiiiPKf ; -- Begin function _ZN4vllm38concat_and_cache_mla_rope_fused_kernelIN3c104HalfEfLb1E14__hip_bfloat16S3_LNS_18Fp8KVCacheDataTypeE0EEEvPKlPT_S8_PKS7_PKT0_illlliPT3_S6_iiiiPKf
	.globl	_ZN4vllm38concat_and_cache_mla_rope_fused_kernelIN3c104HalfEfLb1E14__hip_bfloat16S3_LNS_18Fp8KVCacheDataTypeE0EEEvPKlPT_S8_PKS7_PKT0_illlliPT3_S6_iiiiPKf
	.p2align	8
	.type	_ZN4vllm38concat_and_cache_mla_rope_fused_kernelIN3c104HalfEfLb1E14__hip_bfloat16S3_LNS_18Fp8KVCacheDataTypeE0EEEvPKlPT_S8_PKS7_PKT0_illlliPT3_S6_iiiiPKf,@function
_ZN4vllm38concat_and_cache_mla_rope_fused_kernelIN3c104HalfEfLb1E14__hip_bfloat16S3_LNS_18Fp8KVCacheDataTypeE0EEEvPKlPT_S8_PKS7_PKT0_illlliPT3_S6_iiiiPKf: ; @_ZN4vllm38concat_and_cache_mla_rope_fused_kernelIN3c104HalfEfLb1E14__hip_bfloat16S3_LNS_18Fp8KVCacheDataTypeE0EEEvPKlPT_S8_PKS7_PKT0_illlliPT3_S6_iiiiPKf
; %bb.0:
	s_load_dwordx2 s[6:7], s[0:1], 0x60
	s_mov_b32 s3, 0
	s_lshl_b64 s[4:5], s[2:3], 3
	s_waitcnt lgkmcnt(0)
	s_add_u32 s6, s6, s4
	s_addc_u32 s7, s7, s5
	s_load_dwordx2 s[28:29], s[6:7], 0x0
	s_waitcnt lgkmcnt(0)
	v_cmp_lt_i64_e64 s[6:7], s[28:29], 0
	s_and_b64 vcc, exec, s[6:7]
	s_cbranch_vccnz .LBB42_13
; %bb.1:
	s_load_dword s3, s[0:1], 0x28
	s_load_dwordx2 s[6:7], s[0:1], 0x0
	s_load_dwordx4 s[12:15], s[0:1], 0x10
	s_waitcnt lgkmcnt(0)
	s_ashr_i32 s22, s3, 31
	s_add_u32 s16, s6, s4
	s_addc_u32 s17, s7, s5
	s_load_dwordx2 s[18:19], s[16:17], 0x0
	s_load_dwordx2 s[24:25], s[0:1], 0x20
	s_load_dwordx8 s[4:11], s[0:1], 0x30
	s_load_dwordx2 s[20:21], s[0:1], 0x58
	s_load_dword s23, s[0:1], 0x50
	s_waitcnt lgkmcnt(0)
	s_mul_i32 s16, s18, s22
	s_mul_hi_u32 s17, s18, s3
	s_mul_i32 s19, s19, s3
	s_add_i32 s16, s17, s16
	s_add_i32 s27, s16, s19
	s_lshr_b32 s16, s3, 31
	s_mul_i32 s26, s18, s3
	s_add_i32 s3, s3, s16
	s_ashr_i32 s22, s3, 1
	s_mul_i32 s3, s22, s23
	v_cmp_gt_i32_e32 vcc, s3, v0
	s_and_saveexec_b64 s[16:17], vcc
	s_cbranch_execz .LBB42_4
; %bb.2:
	s_load_dwordx2 s[30:31], s[0:1], 0x8
	s_load_dword s34, s[0:1], 0x8c
	s_lshl_b64 s[18:19], s[26:27], 2
	s_add_u32 s18, s24, s18
	s_mul_i32 s5, s2, s5
	s_mul_hi_u32 s33, s2, s4
	s_addc_u32 s19, s25, s19
	s_add_i32 s5, s33, s5
	s_mul_i32 s4, s2, s4
	s_ashr_i32 s23, s22, 31
	s_lshl_b64 s[4:5], s[4:5], 1
	s_waitcnt lgkmcnt(0)
	s_add_u32 s4, s30, s4
	s_addc_u32 s5, s31, s5
	s_abs_i32 s33, s22
	v_cvt_f32_u32_e32 v1, s33
	s_sub_i32 s30, 0, s33
	s_and_b32 s34, s34, 0xffff
	s_sub_i32 s35, 0, s22
	v_rcp_iflag_f32_e32 v1, v1
	s_nop 0
	v_mul_f32_e32 v1, 0x4f7ffffe, v1
	v_cvt_u32_f32_e32 v1, v1
	v_mul_lo_u32 v2, s30, v1
	v_mul_hi_u32 v2, v1, v2
	v_add_u32_e32 v1, v1, v2
	s_mov_b64 s[30:31], 0
	v_mov_b32_e32 v2, v0
.LBB42_3:                               ; =>This Inner Loop Header: Depth=1
	v_sub_u32_e32 v4, 0, v2
	v_max_i32_e32 v4, v2, v4
	v_mul_hi_u32 v5, v4, v1
	v_mul_lo_u32 v6, v5, s33
	v_sub_u32_e32 v4, v4, v6
	v_add_u32_e32 v7, 1, v5
	v_cmp_le_u32_e32 vcc, s33, v4
	v_subrev_u32_e32 v6, s33, v4
	v_ashrrev_i32_e32 v3, 31, v2
	v_cndmask_b32_e32 v5, v5, v7, vcc
	v_cndmask_b32_e32 v4, v4, v6, vcc
	v_add_u32_e32 v6, 1, v5
	v_cmp_le_u32_e32 vcc, s33, v4
	v_xor_b32_e32 v3, s23, v3
	s_nop 0
	v_cndmask_b32_e32 v4, v5, v6, vcc
	v_xor_b32_e32 v4, v4, v3
	v_sub_u32_e32 v3, v4, v3
	v_mad_u64_u32 v[4:5], s[36:37], s35, v3, v[2:3]
	v_ashrrev_i32_e32 v8, 31, v3
	v_ashrrev_i32_e32 v5, 31, v4
	v_mul_lo_u32 v10, v3, s7
	v_mad_u64_u32 v[6:7], s[36:37], v3, s6, 0
	v_mul_lo_u32 v3, v8, s6
	v_lshl_add_u64 v[8:9], v[4:5], 2, s[18:19]
	v_add3_u32 v7, v7, v10, v3
	v_lshl_add_u64 v[10:11], s[22:23], 2, v[8:9]
	global_load_dword v3, v[8:9], off
	global_load_dword v12, v[10:11], off
	v_lshl_add_u64 v[6:7], v[6:7], 1, s[4:5]
	v_lshl_add_u64 v[4:5], v[4:5], 1, v[6:7]
	;; [unrolled: 1-line block ×3, first 2 shown]
	global_load_ushort v8, v[4:5], off
	global_load_ushort v9, v[6:7], off
	v_add_u32_e32 v2, s34, v2
	v_cmp_le_i32_e32 vcc, s3, v2
	s_or_b64 s[30:31], vcc, s[30:31]
	s_waitcnt vmcnt(3)
	v_cvt_f16_f32_e32 v3, v3
	s_waitcnt vmcnt(2)
	v_cvt_f16_f32_e32 v10, v12
	s_waitcnt vmcnt(0)
	v_mul_f16_e32 v11, v9, v3
	v_mul_f16_e32 v9, v9, v10
	v_fma_f16 v3, v8, v3, -v9
	v_fma_f16 v10, v8, v10, v11
	global_store_short v[4:5], v3, off
	global_store_short v[6:7], v10, off
	s_andn2_b64 exec, exec, s[30:31]
	s_cbranch_execnz .LBB42_3
.LBB42_4:
	s_or_b64 exec, exec, s[16:17]
	s_load_dwordx4 s[16:19], s[0:1], 0x68
	s_waitcnt lgkmcnt(0)
	s_ashr_i32 s7, s19, 31
	s_mov_b32 s6, s19
	s_or_b64 s[4:5], s[28:29], s[6:7]
	s_mov_b32 s4, 0
	s_cmp_lg_u64 s[4:5], 0
	s_cbranch_scc0 .LBB42_14
; %bb.5:
	s_add_u32 s4, s6, s7
	s_mov_b32 s34, s7
	s_mov_b32 s35, s7
	s_addc_u32 s5, s7, s7
	s_xor_b64 s[36:37], s[4:5], s[34:35]
	v_cvt_f32_u32_e32 v1, s36
	v_cvt_f32_u32_e32 v2, s37
	s_sub_u32 s3, 0, s36
	s_subb_u32 s4, 0, s37
	v_fmamk_f32 v1, v2, 0x4f800000, v1
	v_rcp_f32_e32 v1, v1
	s_nop 0
	v_mul_f32_e32 v1, 0x5f7ffffc, v1
	v_mul_f32_e32 v2, 0x2f800000, v1
	v_trunc_f32_e32 v2, v2
	v_fmamk_f32 v1, v2, 0xcf800000, v1
	v_cvt_u32_f32_e32 v2, v2
	v_cvt_u32_f32_e32 v1, v1
	v_readfirstlane_b32 s5, v2
	v_readfirstlane_b32 s19, v1
	s_mul_i32 s23, s3, s5
	s_mul_hi_u32 s38, s3, s19
	s_mul_i32 s33, s4, s19
	s_add_i32 s23, s38, s23
	s_add_i32 s23, s23, s33
	s_mul_i32 s39, s3, s19
	s_mul_hi_u32 s33, s19, s23
	s_mul_i32 s38, s19, s23
	s_mul_hi_u32 s19, s19, s39
	s_add_u32 s19, s19, s38
	s_addc_u32 s33, 0, s33
	s_mul_hi_u32 s40, s5, s39
	s_mul_i32 s39, s5, s39
	s_add_u32 s19, s19, s39
	s_mul_hi_u32 s38, s5, s23
	s_addc_u32 s19, s33, s40
	s_addc_u32 s33, s38, 0
	s_mul_i32 s23, s5, s23
	s_add_u32 s19, s19, s23
	s_addc_u32 s23, 0, s33
	v_add_co_u32_e32 v1, vcc, s19, v1
	s_cmp_lg_u64 vcc, 0
	s_addc_u32 s5, s5, s23
	v_readfirstlane_b32 s23, v1
	s_mul_i32 s19, s3, s5
	s_mul_hi_u32 s33, s3, s23
	s_add_i32 s19, s33, s19
	s_mul_i32 s4, s4, s23
	s_add_i32 s19, s19, s4
	s_mul_i32 s3, s3, s23
	s_mul_hi_u32 s33, s5, s3
	s_mul_i32 s38, s5, s3
	s_mul_i32 s40, s23, s19
	s_mul_hi_u32 s3, s23, s3
	s_mul_hi_u32 s39, s23, s19
	s_add_u32 s3, s3, s40
	s_addc_u32 s23, 0, s39
	s_add_u32 s3, s3, s38
	s_mul_hi_u32 s4, s5, s19
	s_addc_u32 s3, s23, s33
	s_addc_u32 s4, s4, 0
	s_mul_i32 s19, s5, s19
	s_add_u32 s3, s3, s19
	s_addc_u32 s4, 0, s4
	v_add_co_u32_e32 v1, vcc, s3, v1
	s_cmp_lg_u64 vcc, 0
	s_addc_u32 s3, s5, s4
	s_ashr_i32 s38, s29, 31
	s_add_u32 s4, s28, s38
	s_mov_b32 s39, s38
	s_addc_u32 s5, s29, s38
	s_xor_b64 s[40:41], s[4:5], s[38:39]
	v_readfirstlane_b32 s19, v1
	s_mul_i32 s5, s40, s3
	s_mul_hi_u32 s23, s40, s19
	s_mul_hi_u32 s4, s40, s3
	s_add_u32 s5, s23, s5
	s_addc_u32 s4, 0, s4
	s_mul_hi_u32 s33, s41, s19
	s_mul_i32 s19, s41, s19
	s_add_u32 s5, s5, s19
	s_mul_hi_u32 s23, s41, s3
	s_addc_u32 s4, s4, s33
	s_addc_u32 s5, s23, 0
	s_mul_i32 s3, s41, s3
	s_add_u32 s3, s4, s3
	s_addc_u32 s19, 0, s5
	s_mul_i32 s4, s36, s19
	s_mul_hi_u32 s5, s36, s3
	s_add_i32 s4, s5, s4
	s_mul_i32 s5, s37, s3
	s_add_i32 s23, s4, s5
	s_mul_i32 s5, s36, s3
	v_mov_b32_e32 v1, s5
	s_sub_i32 s4, s41, s23
	v_sub_co_u32_e32 v1, vcc, s40, v1
	s_cmp_lg_u64 vcc, 0
	s_subb_u32 s33, s4, s37
	v_subrev_co_u32_e64 v2, s[4:5], s36, v1
	s_cmp_lg_u64 s[4:5], 0
	s_subb_u32 s4, s33, 0
	s_cmp_ge_u32 s4, s37
	v_readfirstlane_b32 s33, v2
	s_cselect_b32 s5, -1, 0
	s_cmp_ge_u32 s33, s36
	s_cselect_b32 s33, -1, 0
	s_cmp_eq_u32 s4, s37
	s_cselect_b32 s4, s33, s5
	s_add_u32 s5, s3, 1
	s_addc_u32 s33, s19, 0
	s_add_u32 s40, s3, 2
	s_addc_u32 s42, s19, 0
	s_cmp_lg_u32 s4, 0
	s_cselect_b32 s4, s40, s5
	s_cselect_b32 s5, s42, s33
	s_cmp_lg_u64 vcc, 0
	s_subb_u32 s23, s41, s23
	s_cmp_ge_u32 s23, s37
	v_readfirstlane_b32 s40, v1
	s_cselect_b32 s33, -1, 0
	s_cmp_ge_u32 s40, s36
	s_cselect_b32 s36, -1, 0
	s_cmp_eq_u32 s23, s37
	s_cselect_b32 s23, s36, s33
	s_cmp_lg_u32 s23, 0
	s_cselect_b32 s5, s5, s19
	s_cselect_b32 s4, s4, s3
	s_xor_b64 s[34:35], s[38:39], s[34:35]
	s_xor_b64 s[4:5], s[4:5], s[34:35]
	s_sub_u32 s4, s4, s34
	s_subb_u32 s5, s5, s35
	s_cbranch_execnz .LBB42_7
.LBB42_6:
	v_cvt_f32_u32_e32 v1, s6
	s_sub_i32 s3, 0, s6
	s_mov_b32 s5, 0
	v_rcp_iflag_f32_e32 v1, v1
	s_nop 0
	v_mul_f32_e32 v1, 0x4f7ffffe, v1
	v_cvt_u32_f32_e32 v1, v1
	s_nop 0
	v_readfirstlane_b32 s4, v1
	s_mul_i32 s3, s3, s4
	s_mul_hi_u32 s3, s4, s3
	s_add_i32 s4, s4, s3
	s_mul_hi_u32 s3, s28, s4
	s_mul_i32 s19, s3, s6
	s_sub_i32 s19, s28, s19
	s_add_i32 s4, s3, 1
	s_sub_i32 s23, s19, s6
	s_cmp_ge_u32 s19, s6
	s_cselect_b32 s3, s4, s3
	s_cselect_b32 s19, s23, s19
	s_add_i32 s4, s3, 1
	s_cmp_ge_u32 s19, s6
	s_cselect_b32 s4, s4, s3
.LBB42_7:
	s_mul_i32 s3, s4, s7
	s_mul_hi_u32 s7, s4, s6
	s_add_i32 s3, s7, s3
	s_mul_i32 s7, s5, s6
	s_add_i32 s3, s3, s7
	s_mul_i32 s6, s4, s6
	s_sub_u32 s33, s28, s6
	s_subb_u32 s3, s29, s3
	v_cmp_gt_i32_e32 vcc, s22, v0
	s_mul_hi_u32 s41, s4, s16
	s_mul_i32 s42, s5, s16
	s_mul_i32 s28, s4, s16
	s_mul_hi_u32 s40, s33, s17
	s_mul_i32 s5, s3, s17
	s_mul_i32 s6, s33, s17
	s_and_saveexec_b64 s[30:31], vcc
	s_cbranch_execz .LBB42_10
; %bb.8:
	s_mul_i32 s3, s2, s9
	s_mul_hi_u32 s7, s2, s8
	s_add_i32 s9, s7, s3
	s_mul_i32 s8, s2, s8
	s_ashr_i32 s23, s22, 31
	s_lshl_b64 s[36:37], s[8:9], 1
	s_add_u32 s8, s12, s36
	s_addc_u32 s9, s13, s37
	s_ashr_i32 s3, s16, 31
	s_mul_i32 s3, s4, s3
	s_add_i32 s3, s41, s3
	s_add_i32 s29, s3, s42
	s_ashr_i32 s3, s17, 31
	s_mul_i32 s3, s33, s3
	s_add_i32 s3, s40, s3
	s_add_i32 s7, s3, s5
	s_lshl_b64 s[34:35], s[28:29], 1
	s_lshl_b64 s[38:39], s[6:7], 1
	s_add_u32 s29, s34, s38
	s_addc_u32 s43, s35, s39
	s_load_dword s44, s[0:1], 0x8c
	s_add_u32 s3, s29, s20
	s_addc_u32 s7, s43, s21
	s_ashr_i32 s19, s18, 31
	s_lshl_b64 s[38:39], s[18:19], 1
	s_add_u32 s34, s3, s38
	s_addc_u32 s35, s7, s39
	s_waitcnt lgkmcnt(0)
	s_and_b32 s3, s44, 0xffff
	s_lshl_b64 s[44:45], s[26:27], 2
	s_add_u32 s24, s24, s44
	v_lshlrev_b32_e32 v2, 2, v0
	v_mov_b32_e32 v3, 0
	s_addc_u32 s25, s25, s45
	v_lshl_add_u64 v[4:5], s[24:25], 0, v[2:3]
	s_lshl_b32 s26, s3, 2
	s_lshl_b64 s[24:25], s[22:23], 2
	s_lshl_b64 s[44:45], s[22:23], 1
	s_add_u32 s7, s36, s44
	s_addc_u32 s19, s37, s45
	s_add_u32 s12, s12, s7
	s_addc_u32 s13, s13, s19
	s_lshl_b32 s7, s3, 1
	s_add_u32 s19, s29, s44
	s_addc_u32 s23, s43, s45
	s_add_u32 s19, s19, s38
	s_addc_u32 s23, s23, s39
	s_add_u32 s36, s20, s19
	s_mov_b32 s27, 0
	v_lshlrev_b32_e32 v2, 1, v0
	s_addc_u32 s37, s21, s23
	s_mov_b64 s[38:39], 0
	v_mov_b32_e32 v1, v0
.LBB42_9:                               ; =>This Inner Loop Header: Depth=1
	global_load_dword v14, v[4:5], off
	v_lshl_add_u64 v[6:7], v[4:5], 0, s[24:25]
	v_lshl_add_u64 v[8:9], s[8:9], 0, v[2:3]
	;; [unrolled: 1-line block ×3, first 2 shown]
	global_load_dword v15, v[6:7], off
	global_load_ushort v16, v[10:11], off
	global_load_ushort v17, v[8:9], off
	s_add_u32 s12, s12, s7
	s_addc_u32 s13, s13, 0
	s_add_u32 s8, s8, s7
	s_addc_u32 s9, s9, 0
	v_lshl_add_u64 v[12:13], s[36:37], 0, v[2:3]
	s_add_u32 s36, s36, s7
	s_addc_u32 s37, s37, 0
	v_lshl_add_u64 v[6:7], s[34:35], 0, v[2:3]
	v_add_u32_e32 v1, s3, v1
	s_add_u32 s34, s34, s7
	v_cmp_le_i32_e32 vcc, s22, v1
	s_addc_u32 s35, s35, 0
	v_lshl_add_u64 v[4:5], v[4:5], 0, s[26:27]
	s_or_b64 s[38:39], vcc, s[38:39]
	s_waitcnt vmcnt(3)
	v_cvt_f16_f32_e32 v14, v14
	s_waitcnt vmcnt(2)
	v_cvt_f16_f32_e32 v15, v15
	s_waitcnt vmcnt(1)
	v_mul_f16_e32 v18, v16, v14
	v_mul_f16_e32 v16, v16, v15
	s_waitcnt vmcnt(0)
	v_fma_f16 v14, v17, v14, -v16
	v_fma_f16 v15, v17, v15, v18
	global_store_short v[8:9], v14, off
	global_store_short v[10:11], v15, off
	;; [unrolled: 1-line block ×4, first 2 shown]
	s_andn2_b64 exec, exec, s[38:39]
	s_cbranch_execnz .LBB42_9
.LBB42_10:
	s_or_b64 exec, exec, s[30:31]
	v_cmp_gt_i32_e32 vcc, s18, v0
	s_and_saveexec_b64 s[8:9], vcc
	s_cbranch_execz .LBB42_13
; %bb.11:
	s_mul_i32 s3, s2, s11
	s_mul_hi_u32 s7, s2, s10
	s_add_i32 s3, s7, s3
	s_mul_i32 s2, s2, s10
	s_lshl_b64 s[2:3], s[2:3], 1
	s_add_u32 s2, s14, s2
	s_addc_u32 s3, s15, s3
	s_ashr_i32 s7, s16, 31
	s_mul_i32 s4, s4, s7
	s_add_i32 s4, s41, s4
	s_add_i32 s29, s4, s42
	s_lshl_b64 s[8:9], s[28:29], 1
	s_add_u32 s4, s20, s8
	s_addc_u32 s8, s21, s9
	s_ashr_i32 s7, s17, 31
	s_mul_i32 s33, s33, s7
	s_load_dword s9, s[0:1], 0x8c
	s_add_i32 s7, s40, s33
	s_add_i32 s7, s7, s5
	s_lshl_b64 s[0:1], s[6:7], 1
	s_add_u32 s0, s4, s0
	s_addc_u32 s1, s8, s1
	s_waitcnt lgkmcnt(0)
	s_and_b32 s6, s9, 0xffff
	s_mov_b64 s[4:5], 0
.LBB42_12:                              ; =>This Inner Loop Header: Depth=1
	v_ashrrev_i32_e32 v1, 31, v0
	v_lshlrev_b64 v[2:3], 1, v[0:1]
	v_lshl_add_u64 v[4:5], s[2:3], 0, v[2:3]
	global_load_ushort v1, v[4:5], off
	v_add_u32_e32 v0, s6, v0
	v_cmp_le_i32_e32 vcc, s18, v0
	v_lshl_add_u64 v[2:3], s[0:1], 0, v[2:3]
	s_or_b64 s[4:5], vcc, s[4:5]
	s_waitcnt vmcnt(0)
	global_store_short v[2:3], v1, off
	s_andn2_b64 exec, exec, s[4:5]
	s_cbranch_execnz .LBB42_12
.LBB42_13:
	s_endpgm
.LBB42_14:
                                        ; implicit-def: $sgpr4_sgpr5
	s_branch .LBB42_6
	.section	.rodata,"a",@progbits
	.p2align	6, 0x0
	.amdhsa_kernel _ZN4vllm38concat_and_cache_mla_rope_fused_kernelIN3c104HalfEfLb1E14__hip_bfloat16S3_LNS_18Fp8KVCacheDataTypeE0EEEvPKlPT_S8_PKS7_PKT0_illlliPT3_S6_iiiiPKf
		.amdhsa_group_segment_fixed_size 0
		.amdhsa_private_segment_fixed_size 0
		.amdhsa_kernarg_size 384
		.amdhsa_user_sgpr_count 2
		.amdhsa_user_sgpr_dispatch_ptr 0
		.amdhsa_user_sgpr_queue_ptr 0
		.amdhsa_user_sgpr_kernarg_segment_ptr 1
		.amdhsa_user_sgpr_dispatch_id 0
		.amdhsa_user_sgpr_kernarg_preload_length 0
		.amdhsa_user_sgpr_kernarg_preload_offset 0
		.amdhsa_user_sgpr_private_segment_size 0
		.amdhsa_uses_dynamic_stack 0
		.amdhsa_enable_private_segment 0
		.amdhsa_system_sgpr_workgroup_id_x 1
		.amdhsa_system_sgpr_workgroup_id_y 0
		.amdhsa_system_sgpr_workgroup_id_z 0
		.amdhsa_system_sgpr_workgroup_info 0
		.amdhsa_system_vgpr_workitem_id 0
		.amdhsa_next_free_vgpr 19
		.amdhsa_next_free_sgpr 46
		.amdhsa_accum_offset 20
		.amdhsa_reserve_vcc 1
		.amdhsa_float_round_mode_32 0
		.amdhsa_float_round_mode_16_64 0
		.amdhsa_float_denorm_mode_32 3
		.amdhsa_float_denorm_mode_16_64 3
		.amdhsa_dx10_clamp 1
		.amdhsa_ieee_mode 1
		.amdhsa_fp16_overflow 0
		.amdhsa_tg_split 0
		.amdhsa_exception_fp_ieee_invalid_op 0
		.amdhsa_exception_fp_denorm_src 0
		.amdhsa_exception_fp_ieee_div_zero 0
		.amdhsa_exception_fp_ieee_overflow 0
		.amdhsa_exception_fp_ieee_underflow 0
		.amdhsa_exception_fp_ieee_inexact 0
		.amdhsa_exception_int_div_zero 0
	.end_amdhsa_kernel
	.section	.text._ZN4vllm38concat_and_cache_mla_rope_fused_kernelIN3c104HalfEfLb1E14__hip_bfloat16S3_LNS_18Fp8KVCacheDataTypeE0EEEvPKlPT_S8_PKS7_PKT0_illlliPT3_S6_iiiiPKf,"axG",@progbits,_ZN4vllm38concat_and_cache_mla_rope_fused_kernelIN3c104HalfEfLb1E14__hip_bfloat16S3_LNS_18Fp8KVCacheDataTypeE0EEEvPKlPT_S8_PKS7_PKT0_illlliPT3_S6_iiiiPKf,comdat
.Lfunc_end42:
	.size	_ZN4vllm38concat_and_cache_mla_rope_fused_kernelIN3c104HalfEfLb1E14__hip_bfloat16S3_LNS_18Fp8KVCacheDataTypeE0EEEvPKlPT_S8_PKS7_PKT0_illlliPT3_S6_iiiiPKf, .Lfunc_end42-_ZN4vllm38concat_and_cache_mla_rope_fused_kernelIN3c104HalfEfLb1E14__hip_bfloat16S3_LNS_18Fp8KVCacheDataTypeE0EEEvPKlPT_S8_PKS7_PKT0_illlliPT3_S6_iiiiPKf
                                        ; -- End function
	.section	.AMDGPU.csdata,"",@progbits
; Kernel info:
; codeLenInByte = 1996
; NumSgprs: 52
; NumVgprs: 19
; NumAgprs: 0
; TotalNumVgprs: 19
; ScratchSize: 0
; MemoryBound: 0
; FloatMode: 240
; IeeeMode: 1
; LDSByteSize: 0 bytes/workgroup (compile time only)
; SGPRBlocks: 6
; VGPRBlocks: 2
; NumSGPRsForWavesPerEU: 52
; NumVGPRsForWavesPerEU: 19
; AccumOffset: 20
; Occupancy: 8
; WaveLimiterHint : 1
; COMPUTE_PGM_RSRC2:SCRATCH_EN: 0
; COMPUTE_PGM_RSRC2:USER_SGPR: 2
; COMPUTE_PGM_RSRC2:TRAP_HANDLER: 0
; COMPUTE_PGM_RSRC2:TGID_X_EN: 1
; COMPUTE_PGM_RSRC2:TGID_Y_EN: 0
; COMPUTE_PGM_RSRC2:TGID_Z_EN: 0
; COMPUTE_PGM_RSRC2:TIDIG_COMP_CNT: 0
; COMPUTE_PGM_RSRC3_GFX90A:ACCUM_OFFSET: 4
; COMPUTE_PGM_RSRC3_GFX90A:TG_SPLIT: 0
	.section	.text._ZN4vllm38concat_and_cache_mla_rope_fused_kernelIN3c104HalfEfLb0E14__hip_bfloat16S3_LNS_18Fp8KVCacheDataTypeE0EEEvPKlPT_S8_PKS7_PKT0_illlliPT3_S6_iiiiPKf,"axG",@progbits,_ZN4vllm38concat_and_cache_mla_rope_fused_kernelIN3c104HalfEfLb0E14__hip_bfloat16S3_LNS_18Fp8KVCacheDataTypeE0EEEvPKlPT_S8_PKS7_PKT0_illlliPT3_S6_iiiiPKf,comdat
	.protected	_ZN4vllm38concat_and_cache_mla_rope_fused_kernelIN3c104HalfEfLb0E14__hip_bfloat16S3_LNS_18Fp8KVCacheDataTypeE0EEEvPKlPT_S8_PKS7_PKT0_illlliPT3_S6_iiiiPKf ; -- Begin function _ZN4vllm38concat_and_cache_mla_rope_fused_kernelIN3c104HalfEfLb0E14__hip_bfloat16S3_LNS_18Fp8KVCacheDataTypeE0EEEvPKlPT_S8_PKS7_PKT0_illlliPT3_S6_iiiiPKf
	.globl	_ZN4vllm38concat_and_cache_mla_rope_fused_kernelIN3c104HalfEfLb0E14__hip_bfloat16S3_LNS_18Fp8KVCacheDataTypeE0EEEvPKlPT_S8_PKS7_PKT0_illlliPT3_S6_iiiiPKf
	.p2align	8
	.type	_ZN4vllm38concat_and_cache_mla_rope_fused_kernelIN3c104HalfEfLb0E14__hip_bfloat16S3_LNS_18Fp8KVCacheDataTypeE0EEEvPKlPT_S8_PKS7_PKT0_illlliPT3_S6_iiiiPKf,@function
_ZN4vllm38concat_and_cache_mla_rope_fused_kernelIN3c104HalfEfLb0E14__hip_bfloat16S3_LNS_18Fp8KVCacheDataTypeE0EEEvPKlPT_S8_PKS7_PKT0_illlliPT3_S6_iiiiPKf: ; @_ZN4vllm38concat_and_cache_mla_rope_fused_kernelIN3c104HalfEfLb0E14__hip_bfloat16S3_LNS_18Fp8KVCacheDataTypeE0EEEvPKlPT_S8_PKS7_PKT0_illlliPT3_S6_iiiiPKf
; %bb.0:
	s_load_dwordx2 s[6:7], s[0:1], 0x60
	s_mov_b32 s3, 0
	s_lshl_b64 s[4:5], s[2:3], 3
	s_waitcnt lgkmcnt(0)
	s_add_u32 s6, s6, s4
	s_addc_u32 s7, s7, s5
	s_load_dwordx2 s[26:27], s[6:7], 0x0
	s_waitcnt lgkmcnt(0)
	v_cmp_lt_i64_e64 s[6:7], s[26:27], 0
	s_and_b64 vcc, exec, s[6:7]
	s_cbranch_vccnz .LBB43_13
; %bb.1:
	s_load_dword s3, s[0:1], 0x28
	s_load_dwordx2 s[6:7], s[0:1], 0x0
	s_load_dwordx4 s[12:15], s[0:1], 0x10
	s_waitcnt lgkmcnt(0)
	s_ashr_i32 s22, s3, 31
	s_add_u32 s16, s6, s4
	s_addc_u32 s17, s7, s5
	s_load_dwordx2 s[18:19], s[16:17], 0x0
	s_load_dwordx2 s[24:25], s[0:1], 0x20
	s_load_dwordx8 s[4:11], s[0:1], 0x30
	s_load_dwordx2 s[20:21], s[0:1], 0x58
	s_load_dword s23, s[0:1], 0x50
	s_waitcnt lgkmcnt(0)
	s_mul_i32 s16, s18, s22
	s_mul_hi_u32 s17, s18, s3
	s_mul_i32 s19, s19, s3
	s_add_i32 s16, s17, s16
	s_add_i32 s29, s16, s19
	s_lshr_b32 s16, s3, 31
	s_mul_i32 s28, s18, s3
	s_add_i32 s3, s3, s16
	s_ashr_i32 s22, s3, 1
	s_mul_i32 s3, s22, s23
	v_cmp_gt_i32_e32 vcc, s3, v0
	s_and_saveexec_b64 s[16:17], vcc
	s_cbranch_execz .LBB43_4
; %bb.2:
	s_load_dwordx2 s[30:31], s[0:1], 0x8
	s_load_dword s34, s[0:1], 0x8c
	s_lshl_b64 s[18:19], s[28:29], 2
	s_add_u32 s18, s24, s18
	s_mul_i32 s5, s2, s5
	s_mul_hi_u32 s33, s2, s4
	s_addc_u32 s19, s25, s19
	s_add_i32 s5, s33, s5
	s_mul_i32 s4, s2, s4
	s_ashr_i32 s23, s22, 31
	s_lshl_b64 s[4:5], s[4:5], 1
	s_waitcnt lgkmcnt(0)
	s_add_u32 s4, s30, s4
	s_addc_u32 s5, s31, s5
	s_abs_i32 s33, s22
	v_cvt_f32_u32_e32 v1, s33
	s_sub_i32 s30, 0, s33
	s_and_b32 s34, s34, 0xffff
	s_sub_i32 s35, 0, s22
	v_rcp_iflag_f32_e32 v1, v1
	s_lshl_b32 s37, s34, 1
	v_mov_b32_e32 v4, v0
	v_mul_f32_e32 v1, 0x4f7ffffe, v1
	v_cvt_u32_f32_e32 v1, v1
	v_mul_lo_u32 v2, s30, v1
	v_mul_hi_u32 v2, v1, v2
	s_lshl_b32 s30, s22, 1
	v_add_u32_e32 v1, v1, v2
	s_sub_i32 s36, 0, s30
	v_lshlrev_b32_e32 v2, 1, v0
	s_mov_b64 s[30:31], 0
.LBB43_3:                               ; =>This Inner Loop Header: Depth=1
	v_sub_u32_e32 v5, 0, v4
	v_max_i32_e32 v5, v4, v5
	v_mul_hi_u32 v6, v5, v1
	v_mul_lo_u32 v7, v6, s33
	v_sub_u32_e32 v5, v5, v7
	v_add_u32_e32 v8, 1, v6
	v_cmp_le_u32_e32 vcc, s33, v5
	v_subrev_u32_e32 v7, s33, v5
	v_ashrrev_i32_e32 v3, 31, v4
	v_cndmask_b32_e32 v6, v6, v8, vcc
	v_cndmask_b32_e32 v5, v5, v7, vcc
	v_add_u32_e32 v7, 1, v6
	v_cmp_le_u32_e32 vcc, s33, v5
	v_xor_b32_e32 v3, s23, v3
	s_nop 0
	v_cndmask_b32_e32 v5, v6, v7, vcc
	v_xor_b32_e32 v5, v5, v3
	v_sub_u32_e32 v3, v5, v3
	v_mad_u64_u32 v[6:7], s[38:39], s35, v3, v[4:5]
	v_ashrrev_i32_e32 v5, 31, v3
	v_ashrrev_i32_e32 v7, 31, v6
	v_mul_lo_u32 v12, v3, s7
	v_mad_u64_u32 v[8:9], s[38:39], v3, s6, 0
	v_mad_u64_u32 v[10:11], s[38:39], s36, v3, v[2:3]
	v_mul_lo_u32 v3, v5, s6
	v_lshl_add_u64 v[6:7], v[6:7], 2, s[18:19]
	v_add3_u32 v9, v9, v12, v3
	v_lshl_add_u64 v[12:13], s[22:23], 2, v[6:7]
	global_load_dword v3, v[6:7], off
	global_load_dword v5, v[12:13], off
	v_ashrrev_i32_e32 v11, 31, v10
	v_lshl_add_u64 v[8:9], v[8:9], 1, s[4:5]
	v_lshl_add_u64 v[6:7], v[10:11], 1, v[8:9]
	global_load_dword v8, v[6:7], off
	v_add_u32_e32 v4, s34, v4
	v_cmp_le_i32_e32 vcc, s3, v4
	v_add_u32_e32 v2, s37, v2
	s_or_b64 s[30:31], vcc, s[30:31]
	s_waitcnt vmcnt(2)
	v_cvt_f16_f32_e32 v3, v3
	s_waitcnt vmcnt(1)
	v_cvt_f16_f32_e32 v5, v5
	s_waitcnt vmcnt(0)
	v_mul_f16_sdwa v9, v8, v3 dst_sel:DWORD dst_unused:UNUSED_PAD src0_sel:WORD_1 src1_sel:DWORD
	v_mul_f16_sdwa v10, v8, v5 dst_sel:DWORD dst_unused:UNUSED_PAD src0_sel:WORD_1 src1_sel:DWORD
	v_fma_f16 v5, v8, v5, v9
	v_fma_f16 v3, v8, v3, -v10
	v_pack_b32_f16 v3, v3, v5
	global_store_dword v[6:7], v3, off
	s_andn2_b64 exec, exec, s[30:31]
	s_cbranch_execnz .LBB43_3
.LBB43_4:
	s_or_b64 exec, exec, s[16:17]
	s_load_dwordx4 s[16:19], s[0:1], 0x68
	s_waitcnt lgkmcnt(0)
	s_ashr_i32 s7, s19, 31
	s_mov_b32 s6, s19
	s_or_b64 s[4:5], s[26:27], s[6:7]
	s_mov_b32 s4, 0
	s_cmp_lg_u64 s[4:5], 0
	s_cbranch_scc0 .LBB43_14
; %bb.5:
	s_add_u32 s4, s6, s7
	s_mov_b32 s34, s7
	s_mov_b32 s35, s7
	s_addc_u32 s5, s7, s7
	s_xor_b64 s[36:37], s[4:5], s[34:35]
	v_cvt_f32_u32_e32 v1, s36
	v_cvt_f32_u32_e32 v2, s37
	s_sub_u32 s3, 0, s36
	s_subb_u32 s4, 0, s37
	v_fmamk_f32 v1, v2, 0x4f800000, v1
	v_rcp_f32_e32 v1, v1
	s_nop 0
	v_mul_f32_e32 v1, 0x5f7ffffc, v1
	v_mul_f32_e32 v2, 0x2f800000, v1
	v_trunc_f32_e32 v2, v2
	v_fmamk_f32 v1, v2, 0xcf800000, v1
	v_cvt_u32_f32_e32 v2, v2
	v_cvt_u32_f32_e32 v1, v1
	v_readfirstlane_b32 s5, v2
	v_readfirstlane_b32 s19, v1
	s_mul_i32 s23, s3, s5
	s_mul_hi_u32 s38, s3, s19
	s_mul_i32 s33, s4, s19
	s_add_i32 s23, s38, s23
	s_add_i32 s23, s23, s33
	s_mul_i32 s39, s3, s19
	s_mul_hi_u32 s33, s19, s23
	s_mul_i32 s38, s19, s23
	s_mul_hi_u32 s19, s19, s39
	s_add_u32 s19, s19, s38
	s_addc_u32 s33, 0, s33
	s_mul_hi_u32 s40, s5, s39
	s_mul_i32 s39, s5, s39
	s_add_u32 s19, s19, s39
	s_mul_hi_u32 s38, s5, s23
	s_addc_u32 s19, s33, s40
	s_addc_u32 s33, s38, 0
	s_mul_i32 s23, s5, s23
	s_add_u32 s19, s19, s23
	s_addc_u32 s23, 0, s33
	v_add_co_u32_e32 v1, vcc, s19, v1
	s_cmp_lg_u64 vcc, 0
	s_addc_u32 s5, s5, s23
	v_readfirstlane_b32 s23, v1
	s_mul_i32 s19, s3, s5
	s_mul_hi_u32 s33, s3, s23
	s_add_i32 s19, s33, s19
	s_mul_i32 s4, s4, s23
	s_add_i32 s19, s19, s4
	s_mul_i32 s3, s3, s23
	s_mul_hi_u32 s33, s5, s3
	s_mul_i32 s38, s5, s3
	s_mul_i32 s40, s23, s19
	s_mul_hi_u32 s3, s23, s3
	s_mul_hi_u32 s39, s23, s19
	s_add_u32 s3, s3, s40
	s_addc_u32 s23, 0, s39
	s_add_u32 s3, s3, s38
	s_mul_hi_u32 s4, s5, s19
	s_addc_u32 s3, s23, s33
	s_addc_u32 s4, s4, 0
	s_mul_i32 s19, s5, s19
	s_add_u32 s3, s3, s19
	s_addc_u32 s4, 0, s4
	v_add_co_u32_e32 v1, vcc, s3, v1
	s_cmp_lg_u64 vcc, 0
	s_addc_u32 s3, s5, s4
	s_ashr_i32 s38, s27, 31
	s_add_u32 s4, s26, s38
	s_mov_b32 s39, s38
	s_addc_u32 s5, s27, s38
	s_xor_b64 s[40:41], s[4:5], s[38:39]
	v_readfirstlane_b32 s19, v1
	s_mul_i32 s5, s40, s3
	s_mul_hi_u32 s23, s40, s19
	s_mul_hi_u32 s4, s40, s3
	s_add_u32 s5, s23, s5
	s_addc_u32 s4, 0, s4
	s_mul_hi_u32 s33, s41, s19
	s_mul_i32 s19, s41, s19
	s_add_u32 s5, s5, s19
	s_mul_hi_u32 s23, s41, s3
	s_addc_u32 s4, s4, s33
	s_addc_u32 s5, s23, 0
	s_mul_i32 s3, s41, s3
	s_add_u32 s3, s4, s3
	s_addc_u32 s19, 0, s5
	s_mul_i32 s4, s36, s19
	s_mul_hi_u32 s5, s36, s3
	s_add_i32 s4, s5, s4
	s_mul_i32 s5, s37, s3
	s_add_i32 s23, s4, s5
	s_mul_i32 s5, s36, s3
	v_mov_b32_e32 v1, s5
	s_sub_i32 s4, s41, s23
	v_sub_co_u32_e32 v1, vcc, s40, v1
	s_cmp_lg_u64 vcc, 0
	s_subb_u32 s33, s4, s37
	v_subrev_co_u32_e64 v2, s[4:5], s36, v1
	s_cmp_lg_u64 s[4:5], 0
	s_subb_u32 s4, s33, 0
	s_cmp_ge_u32 s4, s37
	v_readfirstlane_b32 s33, v2
	s_cselect_b32 s5, -1, 0
	s_cmp_ge_u32 s33, s36
	s_cselect_b32 s33, -1, 0
	s_cmp_eq_u32 s4, s37
	s_cselect_b32 s4, s33, s5
	s_add_u32 s5, s3, 1
	s_addc_u32 s33, s19, 0
	s_add_u32 s40, s3, 2
	s_addc_u32 s42, s19, 0
	s_cmp_lg_u32 s4, 0
	s_cselect_b32 s4, s40, s5
	s_cselect_b32 s5, s42, s33
	s_cmp_lg_u64 vcc, 0
	s_subb_u32 s23, s41, s23
	s_cmp_ge_u32 s23, s37
	v_readfirstlane_b32 s40, v1
	s_cselect_b32 s33, -1, 0
	s_cmp_ge_u32 s40, s36
	s_cselect_b32 s36, -1, 0
	s_cmp_eq_u32 s23, s37
	s_cselect_b32 s23, s36, s33
	s_cmp_lg_u32 s23, 0
	s_cselect_b32 s5, s5, s19
	s_cselect_b32 s4, s4, s3
	s_xor_b64 s[34:35], s[38:39], s[34:35]
	s_xor_b64 s[4:5], s[4:5], s[34:35]
	s_sub_u32 s4, s4, s34
	s_subb_u32 s5, s5, s35
	s_cbranch_execnz .LBB43_7
.LBB43_6:
	v_cvt_f32_u32_e32 v1, s6
	s_sub_i32 s3, 0, s6
	s_mov_b32 s5, 0
	v_rcp_iflag_f32_e32 v1, v1
	s_nop 0
	v_mul_f32_e32 v1, 0x4f7ffffe, v1
	v_cvt_u32_f32_e32 v1, v1
	s_nop 0
	v_readfirstlane_b32 s4, v1
	s_mul_i32 s3, s3, s4
	s_mul_hi_u32 s3, s4, s3
	s_add_i32 s4, s4, s3
	s_mul_hi_u32 s3, s26, s4
	s_mul_i32 s19, s3, s6
	s_sub_i32 s19, s26, s19
	s_add_i32 s4, s3, 1
	s_sub_i32 s23, s19, s6
	s_cmp_ge_u32 s19, s6
	s_cselect_b32 s3, s4, s3
	s_cselect_b32 s19, s23, s19
	s_add_i32 s4, s3, 1
	s_cmp_ge_u32 s19, s6
	s_cselect_b32 s4, s4, s3
.LBB43_7:
	s_mul_i32 s3, s4, s7
	s_mul_hi_u32 s7, s4, s6
	s_add_i32 s3, s7, s3
	s_mul_i32 s7, s5, s6
	s_add_i32 s3, s3, s7
	s_mul_i32 s6, s4, s6
	s_sub_u32 s33, s26, s6
	s_subb_u32 s3, s27, s3
	v_cmp_gt_i32_e32 vcc, s22, v0
	s_mul_hi_u32 s35, s4, s16
	s_mul_i32 s36, s5, s16
	s_mul_i32 s26, s4, s16
	s_mul_hi_u32 s34, s33, s17
	s_mul_i32 s5, s3, s17
	s_mul_i32 s6, s33, s17
	s_and_saveexec_b64 s[30:31], vcc
	s_cbranch_execz .LBB43_10
; %bb.8:
	s_load_dword s3, s[0:1], 0x8c
	s_ashr_i32 s23, s22, 31
	s_ashr_i32 s7, s16, 31
	;; [unrolled: 1-line block ×4, first 2 shown]
	s_waitcnt lgkmcnt(0)
	s_and_b32 s3, s3, 0xffff
	s_lshl_b64 s[28:29], s[28:29], 2
	s_add_u32 s24, s24, s28
	s_mul_i32 s7, s4, s7
	s_addc_u32 s25, s25, s29
	s_add_i32 s7, s35, s7
	s_add_i32 s27, s7, s36
	s_mul_i32 s7, s33, s37
	s_add_i32 s7, s34, s7
	v_lshlrev_b32_e32 v8, 2, v0
	v_mov_b32_e32 v9, 0
	s_add_i32 s7, s7, s5
	v_lshl_add_u64 v[2:3], s[24:25], 0, v[8:9]
	s_lshl_b32 s24, s3, 2
	s_lshl_b64 s[28:29], s[26:27], 1
	s_lshl_b64 s[38:39], s[6:7], 1
	s_add_u32 s7, s28, s38
	v_lshl_add_u64 v[4:5], s[22:23], 2, v[2:3]
	s_addc_u32 s23, s29, s39
	s_lshl_b64 s[28:29], s[18:19], 1
	s_add_u32 s19, s20, s28
	s_addc_u32 s25, s21, s29
	s_add_u32 s28, s19, s7
	s_mul_i32 s7, s9, s2
	s_mul_hi_u32 s9, s8, s2
	s_addc_u32 s29, s25, s23
	s_add_i32 s9, s9, s7
	s_mul_i32 s8, s8, s2
	s_lshl_b64 s[8:9], s[8:9], 1
	s_add_u32 s8, s12, s8
	v_lshl_add_u64 v[6:7], s[28:29], 0, v[8:9]
	s_addc_u32 s9, s13, s9
	v_lshl_add_u64 v[6:7], v[6:7], 0, 2
	v_lshl_add_u64 v[8:9], s[8:9], 0, v[8:9]
	s_mov_b64 s[8:9], 0
	s_mov_b64 s[12:13], 0
	v_mov_b32_e32 v1, v0
.LBB43_9:                               ; =>This Inner Loop Header: Depth=1
	v_lshl_add_u64 v[12:13], v[4:5], 0, s[12:13]
	v_lshl_add_u64 v[10:11], v[2:3], 0, s[12:13]
	;; [unrolled: 1-line block ×3, first 2 shown]
	global_load_dword v16, v[12:13], off
	global_load_dword v17, v[10:11], off
	;; [unrolled: 1-line block ×3, first 2 shown]
	v_lshl_add_u64 v[10:11], v[6:7], 0, s[12:13]
	v_add_u32_e32 v1, s3, v1
	s_add_u32 s12, s12, s24
	s_addc_u32 s13, s13, 0
	v_cmp_le_i32_e32 vcc, s22, v1
	s_or_b64 s[8:9], vcc, s[8:9]
	s_waitcnt vmcnt(2)
	v_cvt_f16_f32_e32 v12, v16
	s_waitcnt vmcnt(1)
	v_cvt_f16_f32_e32 v13, v17
	s_waitcnt vmcnt(0)
	v_mul_f16_sdwa v16, v18, v12 dst_sel:DWORD dst_unused:UNUSED_PAD src0_sel:WORD_1 src1_sel:DWORD
	v_mul_f16_sdwa v17, v18, v13 dst_sel:DWORD dst_unused:UNUSED_PAD src0_sel:WORD_1 src1_sel:DWORD
	v_fma_f16 v13, v18, v13, -v16
	v_fma_f16 v12, v18, v12, v17
	v_pack_b32_f16 v12, v13, v12
	global_store_dword v[14:15], v12, off
	global_store_dword v[10:11], v12, off offset:-2
	s_andn2_b64 exec, exec, s[8:9]
	s_cbranch_execnz .LBB43_9
.LBB43_10:
	s_or_b64 exec, exec, s[30:31]
	v_cmp_gt_i32_e32 vcc, s18, v0
	s_and_saveexec_b64 s[8:9], vcc
	s_cbranch_execz .LBB43_13
; %bb.11:
	s_mul_i32 s3, s2, s11
	s_mul_hi_u32 s7, s2, s10
	s_add_i32 s3, s7, s3
	s_mul_i32 s2, s2, s10
	s_lshl_b64 s[2:3], s[2:3], 1
	s_add_u32 s2, s14, s2
	s_addc_u32 s3, s15, s3
	s_ashr_i32 s7, s16, 31
	s_mul_i32 s4, s4, s7
	s_add_i32 s4, s35, s4
	s_add_i32 s27, s4, s36
	s_lshl_b64 s[8:9], s[26:27], 1
	s_add_u32 s4, s20, s8
	s_addc_u32 s8, s21, s9
	s_ashr_i32 s7, s17, 31
	s_mul_i32 s33, s33, s7
	s_load_dword s9, s[0:1], 0x8c
	s_add_i32 s7, s34, s33
	s_add_i32 s7, s7, s5
	s_lshl_b64 s[0:1], s[6:7], 1
	s_add_u32 s0, s4, s0
	s_addc_u32 s1, s8, s1
	s_waitcnt lgkmcnt(0)
	s_and_b32 s6, s9, 0xffff
	s_mov_b64 s[4:5], 0
.LBB43_12:                              ; =>This Inner Loop Header: Depth=1
	v_ashrrev_i32_e32 v1, 31, v0
	v_lshlrev_b64 v[2:3], 1, v[0:1]
	v_lshl_add_u64 v[4:5], s[2:3], 0, v[2:3]
	global_load_ushort v1, v[4:5], off
	v_add_u32_e32 v0, s6, v0
	v_cmp_le_i32_e32 vcc, s18, v0
	v_lshl_add_u64 v[2:3], s[0:1], 0, v[2:3]
	s_or_b64 s[4:5], vcc, s[4:5]
	s_waitcnt vmcnt(0)
	global_store_short v[2:3], v1, off
	s_andn2_b64 exec, exec, s[4:5]
	s_cbranch_execnz .LBB43_12
.LBB43_13:
	s_endpgm
.LBB43_14:
                                        ; implicit-def: $sgpr4_sgpr5
	s_branch .LBB43_6
	.section	.rodata,"a",@progbits
	.p2align	6, 0x0
	.amdhsa_kernel _ZN4vllm38concat_and_cache_mla_rope_fused_kernelIN3c104HalfEfLb0E14__hip_bfloat16S3_LNS_18Fp8KVCacheDataTypeE0EEEvPKlPT_S8_PKS7_PKT0_illlliPT3_S6_iiiiPKf
		.amdhsa_group_segment_fixed_size 0
		.amdhsa_private_segment_fixed_size 0
		.amdhsa_kernarg_size 384
		.amdhsa_user_sgpr_count 2
		.amdhsa_user_sgpr_dispatch_ptr 0
		.amdhsa_user_sgpr_queue_ptr 0
		.amdhsa_user_sgpr_kernarg_segment_ptr 1
		.amdhsa_user_sgpr_dispatch_id 0
		.amdhsa_user_sgpr_kernarg_preload_length 0
		.amdhsa_user_sgpr_kernarg_preload_offset 0
		.amdhsa_user_sgpr_private_segment_size 0
		.amdhsa_uses_dynamic_stack 0
		.amdhsa_enable_private_segment 0
		.amdhsa_system_sgpr_workgroup_id_x 1
		.amdhsa_system_sgpr_workgroup_id_y 0
		.amdhsa_system_sgpr_workgroup_id_z 0
		.amdhsa_system_sgpr_workgroup_info 0
		.amdhsa_system_vgpr_workitem_id 0
		.amdhsa_next_free_vgpr 19
		.amdhsa_next_free_sgpr 43
		.amdhsa_accum_offset 20
		.amdhsa_reserve_vcc 1
		.amdhsa_float_round_mode_32 0
		.amdhsa_float_round_mode_16_64 0
		.amdhsa_float_denorm_mode_32 3
		.amdhsa_float_denorm_mode_16_64 3
		.amdhsa_dx10_clamp 1
		.amdhsa_ieee_mode 1
		.amdhsa_fp16_overflow 0
		.amdhsa_tg_split 0
		.amdhsa_exception_fp_ieee_invalid_op 0
		.amdhsa_exception_fp_denorm_src 0
		.amdhsa_exception_fp_ieee_div_zero 0
		.amdhsa_exception_fp_ieee_overflow 0
		.amdhsa_exception_fp_ieee_underflow 0
		.amdhsa_exception_fp_ieee_inexact 0
		.amdhsa_exception_int_div_zero 0
	.end_amdhsa_kernel
	.section	.text._ZN4vllm38concat_and_cache_mla_rope_fused_kernelIN3c104HalfEfLb0E14__hip_bfloat16S3_LNS_18Fp8KVCacheDataTypeE0EEEvPKlPT_S8_PKS7_PKT0_illlliPT3_S6_iiiiPKf,"axG",@progbits,_ZN4vllm38concat_and_cache_mla_rope_fused_kernelIN3c104HalfEfLb0E14__hip_bfloat16S3_LNS_18Fp8KVCacheDataTypeE0EEEvPKlPT_S8_PKS7_PKT0_illlliPT3_S6_iiiiPKf,comdat
.Lfunc_end43:
	.size	_ZN4vllm38concat_and_cache_mla_rope_fused_kernelIN3c104HalfEfLb0E14__hip_bfloat16S3_LNS_18Fp8KVCacheDataTypeE0EEEvPKlPT_S8_PKS7_PKT0_illlliPT3_S6_iiiiPKf, .Lfunc_end43-_ZN4vllm38concat_and_cache_mla_rope_fused_kernelIN3c104HalfEfLb0E14__hip_bfloat16S3_LNS_18Fp8KVCacheDataTypeE0EEEvPKlPT_S8_PKS7_PKT0_illlliPT3_S6_iiiiPKf
                                        ; -- End function
	.section	.AMDGPU.csdata,"",@progbits
; Kernel info:
; codeLenInByte = 1940
; NumSgprs: 49
; NumVgprs: 19
; NumAgprs: 0
; TotalNumVgprs: 19
; ScratchSize: 0
; MemoryBound: 0
; FloatMode: 240
; IeeeMode: 1
; LDSByteSize: 0 bytes/workgroup (compile time only)
; SGPRBlocks: 6
; VGPRBlocks: 2
; NumSGPRsForWavesPerEU: 49
; NumVGPRsForWavesPerEU: 19
; AccumOffset: 20
; Occupancy: 8
; WaveLimiterHint : 1
; COMPUTE_PGM_RSRC2:SCRATCH_EN: 0
; COMPUTE_PGM_RSRC2:USER_SGPR: 2
; COMPUTE_PGM_RSRC2:TRAP_HANDLER: 0
; COMPUTE_PGM_RSRC2:TGID_X_EN: 1
; COMPUTE_PGM_RSRC2:TGID_Y_EN: 0
; COMPUTE_PGM_RSRC2:TGID_Z_EN: 0
; COMPUTE_PGM_RSRC2:TIDIG_COMP_CNT: 0
; COMPUTE_PGM_RSRC3_GFX90A:ACCUM_OFFSET: 4
; COMPUTE_PGM_RSRC3_GFX90A:TG_SPLIT: 0
	.section	.text._ZN4vllm38concat_and_cache_mla_rope_fused_kernelIN3c104HalfES2_Lb1E14__hip_bfloat16S3_LNS_18Fp8KVCacheDataTypeE0EEEvPKlPT_S8_PKS7_PKT0_illlliPT3_S6_iiiiPKf,"axG",@progbits,_ZN4vllm38concat_and_cache_mla_rope_fused_kernelIN3c104HalfES2_Lb1E14__hip_bfloat16S3_LNS_18Fp8KVCacheDataTypeE0EEEvPKlPT_S8_PKS7_PKT0_illlliPT3_S6_iiiiPKf,comdat
	.protected	_ZN4vllm38concat_and_cache_mla_rope_fused_kernelIN3c104HalfES2_Lb1E14__hip_bfloat16S3_LNS_18Fp8KVCacheDataTypeE0EEEvPKlPT_S8_PKS7_PKT0_illlliPT3_S6_iiiiPKf ; -- Begin function _ZN4vllm38concat_and_cache_mla_rope_fused_kernelIN3c104HalfES2_Lb1E14__hip_bfloat16S3_LNS_18Fp8KVCacheDataTypeE0EEEvPKlPT_S8_PKS7_PKT0_illlliPT3_S6_iiiiPKf
	.globl	_ZN4vllm38concat_and_cache_mla_rope_fused_kernelIN3c104HalfES2_Lb1E14__hip_bfloat16S3_LNS_18Fp8KVCacheDataTypeE0EEEvPKlPT_S8_PKS7_PKT0_illlliPT3_S6_iiiiPKf
	.p2align	8
	.type	_ZN4vllm38concat_and_cache_mla_rope_fused_kernelIN3c104HalfES2_Lb1E14__hip_bfloat16S3_LNS_18Fp8KVCacheDataTypeE0EEEvPKlPT_S8_PKS7_PKT0_illlliPT3_S6_iiiiPKf,@function
_ZN4vllm38concat_and_cache_mla_rope_fused_kernelIN3c104HalfES2_Lb1E14__hip_bfloat16S3_LNS_18Fp8KVCacheDataTypeE0EEEvPKlPT_S8_PKS7_PKT0_illlliPT3_S6_iiiiPKf: ; @_ZN4vllm38concat_and_cache_mla_rope_fused_kernelIN3c104HalfES2_Lb1E14__hip_bfloat16S3_LNS_18Fp8KVCacheDataTypeE0EEEvPKlPT_S8_PKS7_PKT0_illlliPT3_S6_iiiiPKf
; %bb.0:
	s_load_dwordx2 s[6:7], s[0:1], 0x60
	s_mov_b32 s3, 0
	s_lshl_b64 s[4:5], s[2:3], 3
	s_waitcnt lgkmcnt(0)
	s_add_u32 s6, s6, s4
	s_addc_u32 s7, s7, s5
	s_load_dwordx2 s[30:31], s[6:7], 0x0
	s_waitcnt lgkmcnt(0)
	v_cmp_lt_i64_e64 s[6:7], s[30:31], 0
	s_and_b64 vcc, exec, s[6:7]
	s_cbranch_vccnz .LBB44_13
; %bb.1:
	s_load_dword s3, s[0:1], 0x28
	s_load_dwordx2 s[6:7], s[0:1], 0x0
	s_load_dwordx4 s[12:15], s[0:1], 0x10
	s_waitcnt lgkmcnt(0)
	s_ashr_i32 s22, s3, 31
	s_add_u32 s16, s6, s4
	s_addc_u32 s17, s7, s5
	s_load_dwordx2 s[18:19], s[16:17], 0x0
	s_load_dwordx2 s[26:27], s[0:1], 0x20
	s_load_dwordx8 s[4:11], s[0:1], 0x30
	s_load_dwordx2 s[20:21], s[0:1], 0x58
	s_load_dword s25, s[0:1], 0x50
	s_waitcnt lgkmcnt(0)
	s_mul_i32 s16, s18, s22
	s_mul_hi_u32 s17, s18, s3
	s_mul_i32 s19, s19, s3
	s_add_i32 s16, s17, s16
	s_add_i32 s17, s16, s19
	s_mul_i32 s16, s18, s3
	s_lshl_b64 s[28:29], s[16:17], 1
	s_add_u32 s22, s26, s28
	s_addc_u32 s23, s27, s29
	s_lshr_b32 s16, s3, 31
	s_add_i32 s3, s3, s16
	s_ashr_i32 s24, s3, 1
	s_mul_i32 s3, s24, s25
	v_cmp_gt_i32_e32 vcc, s3, v0
	s_and_saveexec_b64 s[16:17], vcc
	s_cbranch_execz .LBB44_4
; %bb.2:
	s_load_dwordx2 s[18:19], s[0:1], 0x8
	s_load_dword s34, s[0:1], 0x8c
	s_mul_i32 s5, s2, s5
	s_mul_hi_u32 s33, s2, s4
	s_add_i32 s5, s33, s5
	s_mul_i32 s4, s2, s4
	s_ashr_i32 s25, s24, 31
	s_lshl_b64 s[4:5], s[4:5], 1
	s_waitcnt lgkmcnt(0)
	s_add_u32 s4, s18, s4
	s_addc_u32 s5, s19, s5
	s_abs_i32 s33, s24
	v_cvt_f32_u32_e32 v1, s33
	s_sub_i32 s38, 0, s33
	s_mov_b64 s[18:19], 0
	s_and_b32 s36, s34, 0xffff
	v_rcp_iflag_f32_e32 v1, v1
	s_sub_i32 s37, 0, s24
	s_lshl_b64 s[34:35], s[24:25], 1
	v_mul_f32_e32 v1, 0x4f7ffffe, v1
	v_cvt_u32_f32_e32 v1, v1
	v_mul_lo_u32 v2, s38, v1
	v_mul_hi_u32 v2, v1, v2
	v_add_u32_e32 v1, v1, v2
	v_mov_b32_e32 v2, v0
.LBB44_3:                               ; =>This Inner Loop Header: Depth=1
	v_sub_u32_e32 v4, 0, v2
	v_max_i32_e32 v4, v2, v4
	v_mul_hi_u32 v5, v4, v1
	v_mul_lo_u32 v6, v5, s33
	v_sub_u32_e32 v4, v4, v6
	v_add_u32_e32 v7, 1, v5
	v_cmp_le_u32_e32 vcc, s33, v4
	v_subrev_u32_e32 v6, s33, v4
	v_ashrrev_i32_e32 v3, 31, v2
	v_cndmask_b32_e32 v5, v5, v7, vcc
	v_cndmask_b32_e32 v4, v4, v6, vcc
	v_add_u32_e32 v6, 1, v5
	v_cmp_le_u32_e32 vcc, s33, v4
	v_xor_b32_e32 v3, s25, v3
	s_nop 0
	v_cndmask_b32_e32 v4, v5, v6, vcc
	v_xor_b32_e32 v4, v4, v3
	v_sub_u32_e32 v3, v4, v3
	v_ashrrev_i32_e32 v8, 31, v3
	v_mad_u64_u32 v[4:5], s[38:39], s37, v3, v[2:3]
	v_mul_lo_u32 v9, v3, s7
	v_mad_u64_u32 v[6:7], s[38:39], v3, s6, 0
	v_mul_lo_u32 v3, v8, s6
	v_ashrrev_i32_e32 v5, 31, v4
	v_add3_u32 v7, v7, v9, v3
	v_lshlrev_b64 v[4:5], 1, v[4:5]
	v_lshl_add_u64 v[6:7], v[6:7], 1, s[4:5]
	v_lshl_add_u64 v[8:9], s[22:23], 0, v[4:5]
	;; [unrolled: 1-line block ×4, first 2 shown]
	global_load_ushort v3, v[8:9], off
	global_load_ushort v12, v[10:11], off
	v_lshl_add_u64 v[6:7], v[4:5], 0, s[34:35]
	global_load_ushort v8, v[4:5], off
	global_load_ushort v9, v[6:7], off
	v_add_u32_e32 v2, s36, v2
	v_cmp_le_i32_e32 vcc, s3, v2
	s_or_b64 s[18:19], vcc, s[18:19]
	s_waitcnt vmcnt(0)
	v_mul_f16_e32 v10, v12, v9
	v_mul_f16_e32 v9, v3, v9
	v_fma_f16 v3, v3, v8, -v10
	v_fma_f16 v8, v12, v8, v9
	global_store_short v[4:5], v3, off
	global_store_short v[6:7], v8, off
	s_andn2_b64 exec, exec, s[18:19]
	s_cbranch_execnz .LBB44_3
.LBB44_4:
	s_or_b64 exec, exec, s[16:17]
	s_load_dwordx4 s[16:19], s[0:1], 0x68
	s_waitcnt lgkmcnt(0)
	s_ashr_i32 s7, s19, 31
	s_mov_b32 s6, s19
	s_or_b64 s[4:5], s[30:31], s[6:7]
	s_mov_b32 s4, 0
	s_cmp_lg_u64 s[4:5], 0
	s_cbranch_scc0 .LBB44_14
; %bb.5:
	s_add_u32 s4, s6, s7
	s_mov_b32 s36, s7
	s_mov_b32 s37, s7
	s_addc_u32 s5, s7, s7
	s_xor_b64 s[38:39], s[4:5], s[36:37]
	v_cvt_f32_u32_e32 v1, s38
	v_cvt_f32_u32_e32 v2, s39
	s_sub_u32 s3, 0, s38
	s_subb_u32 s4, 0, s39
	v_fmamk_f32 v1, v2, 0x4f800000, v1
	v_rcp_f32_e32 v1, v1
	s_nop 0
	v_mul_f32_e32 v1, 0x5f7ffffc, v1
	v_mul_f32_e32 v2, 0x2f800000, v1
	v_trunc_f32_e32 v2, v2
	v_fmamk_f32 v1, v2, 0xcf800000, v1
	v_cvt_u32_f32_e32 v2, v2
	v_cvt_u32_f32_e32 v1, v1
	v_readfirstlane_b32 s5, v2
	v_readfirstlane_b32 s19, v1
	s_mul_i32 s25, s3, s5
	s_mul_hi_u32 s40, s3, s19
	s_mul_i32 s33, s4, s19
	s_add_i32 s25, s40, s25
	s_add_i32 s25, s25, s33
	s_mul_i32 s41, s3, s19
	s_mul_hi_u32 s33, s19, s25
	s_mul_i32 s40, s19, s25
	s_mul_hi_u32 s19, s19, s41
	s_add_u32 s19, s19, s40
	s_addc_u32 s33, 0, s33
	s_mul_hi_u32 s42, s5, s41
	s_mul_i32 s41, s5, s41
	s_add_u32 s19, s19, s41
	s_mul_hi_u32 s40, s5, s25
	s_addc_u32 s19, s33, s42
	s_addc_u32 s33, s40, 0
	s_mul_i32 s25, s5, s25
	s_add_u32 s19, s19, s25
	s_addc_u32 s25, 0, s33
	v_add_co_u32_e32 v1, vcc, s19, v1
	s_cmp_lg_u64 vcc, 0
	s_addc_u32 s5, s5, s25
	v_readfirstlane_b32 s25, v1
	s_mul_i32 s19, s3, s5
	s_mul_hi_u32 s33, s3, s25
	s_add_i32 s19, s33, s19
	s_mul_i32 s4, s4, s25
	s_add_i32 s19, s19, s4
	s_mul_i32 s3, s3, s25
	s_mul_hi_u32 s33, s5, s3
	s_mul_i32 s40, s5, s3
	s_mul_i32 s42, s25, s19
	s_mul_hi_u32 s3, s25, s3
	s_mul_hi_u32 s41, s25, s19
	s_add_u32 s3, s3, s42
	s_addc_u32 s25, 0, s41
	s_add_u32 s3, s3, s40
	s_mul_hi_u32 s4, s5, s19
	s_addc_u32 s3, s25, s33
	s_addc_u32 s4, s4, 0
	s_mul_i32 s19, s5, s19
	s_add_u32 s3, s3, s19
	s_addc_u32 s4, 0, s4
	v_add_co_u32_e32 v1, vcc, s3, v1
	s_cmp_lg_u64 vcc, 0
	s_addc_u32 s3, s5, s4
	s_ashr_i32 s40, s31, 31
	s_add_u32 s4, s30, s40
	s_mov_b32 s41, s40
	s_addc_u32 s5, s31, s40
	s_xor_b64 s[42:43], s[4:5], s[40:41]
	v_readfirstlane_b32 s19, v1
	s_mul_i32 s5, s42, s3
	s_mul_hi_u32 s25, s42, s19
	s_mul_hi_u32 s4, s42, s3
	s_add_u32 s5, s25, s5
	s_addc_u32 s4, 0, s4
	s_mul_hi_u32 s33, s43, s19
	s_mul_i32 s19, s43, s19
	s_add_u32 s5, s5, s19
	s_mul_hi_u32 s25, s43, s3
	s_addc_u32 s4, s4, s33
	s_addc_u32 s5, s25, 0
	s_mul_i32 s3, s43, s3
	s_add_u32 s3, s4, s3
	s_addc_u32 s19, 0, s5
	s_mul_i32 s4, s38, s19
	s_mul_hi_u32 s5, s38, s3
	s_add_i32 s4, s5, s4
	s_mul_i32 s5, s39, s3
	s_add_i32 s25, s4, s5
	s_mul_i32 s5, s38, s3
	v_mov_b32_e32 v1, s5
	s_sub_i32 s4, s43, s25
	v_sub_co_u32_e32 v1, vcc, s42, v1
	s_cmp_lg_u64 vcc, 0
	s_subb_u32 s33, s4, s39
	v_subrev_co_u32_e64 v2, s[4:5], s38, v1
	s_cmp_lg_u64 s[4:5], 0
	s_subb_u32 s4, s33, 0
	s_cmp_ge_u32 s4, s39
	v_readfirstlane_b32 s33, v2
	s_cselect_b32 s5, -1, 0
	s_cmp_ge_u32 s33, s38
	s_cselect_b32 s33, -1, 0
	s_cmp_eq_u32 s4, s39
	s_cselect_b32 s4, s33, s5
	s_add_u32 s5, s3, 1
	s_addc_u32 s33, s19, 0
	s_add_u32 s42, s3, 2
	s_addc_u32 s44, s19, 0
	s_cmp_lg_u32 s4, 0
	s_cselect_b32 s4, s42, s5
	s_cselect_b32 s5, s44, s33
	s_cmp_lg_u64 vcc, 0
	s_subb_u32 s25, s43, s25
	s_cmp_ge_u32 s25, s39
	v_readfirstlane_b32 s42, v1
	s_cselect_b32 s33, -1, 0
	s_cmp_ge_u32 s42, s38
	s_cselect_b32 s38, -1, 0
	s_cmp_eq_u32 s25, s39
	s_cselect_b32 s25, s38, s33
	s_cmp_lg_u32 s25, 0
	s_cselect_b32 s5, s5, s19
	s_cselect_b32 s4, s4, s3
	s_xor_b64 s[36:37], s[40:41], s[36:37]
	s_xor_b64 s[4:5], s[4:5], s[36:37]
	s_sub_u32 s4, s4, s36
	s_subb_u32 s5, s5, s37
	s_cbranch_execnz .LBB44_7
.LBB44_6:
	v_cvt_f32_u32_e32 v1, s6
	s_sub_i32 s3, 0, s6
	s_mov_b32 s5, 0
	v_rcp_iflag_f32_e32 v1, v1
	s_nop 0
	v_mul_f32_e32 v1, 0x4f7ffffe, v1
	v_cvt_u32_f32_e32 v1, v1
	s_nop 0
	v_readfirstlane_b32 s4, v1
	s_mul_i32 s3, s3, s4
	s_mul_hi_u32 s3, s4, s3
	s_add_i32 s4, s4, s3
	s_mul_hi_u32 s3, s30, s4
	s_mul_i32 s19, s3, s6
	s_sub_i32 s19, s30, s19
	s_add_i32 s4, s3, 1
	s_sub_i32 s25, s19, s6
	s_cmp_ge_u32 s19, s6
	s_cselect_b32 s3, s4, s3
	s_cselect_b32 s19, s25, s19
	s_add_i32 s4, s3, 1
	s_cmp_ge_u32 s19, s6
	s_cselect_b32 s4, s4, s3
.LBB44_7:
	s_mul_i32 s3, s4, s7
	s_mul_hi_u32 s7, s4, s6
	s_add_i32 s3, s7, s3
	s_mul_i32 s7, s5, s6
	s_add_i32 s3, s3, s7
	s_mul_i32 s6, s4, s6
	s_sub_u32 s33, s30, s6
	s_subb_u32 s3, s31, s3
	v_cmp_gt_i32_e32 vcc, s24, v0
	s_mul_hi_u32 s41, s4, s16
	s_mul_i32 s42, s5, s16
	s_mul_i32 s30, s4, s16
	s_mul_hi_u32 s40, s33, s17
	s_mul_i32 s5, s3, s17
	s_mul_i32 s6, s33, s17
	s_and_saveexec_b64 s[34:35], vcc
	s_cbranch_execz .LBB44_10
; %bb.8:
	s_mul_i32 s3, s2, s9
	s_mul_hi_u32 s7, s2, s8
	s_add_i32 s9, s7, s3
	s_mul_i32 s8, s2, s8
	s_ashr_i32 s25, s24, 31
	s_lshl_b64 s[38:39], s[8:9], 1
	s_add_u32 s8, s12, s38
	s_addc_u32 s9, s13, s39
	s_ashr_i32 s3, s16, 31
	s_mul_i32 s3, s4, s3
	s_add_i32 s3, s41, s3
	s_add_i32 s31, s3, s42
	s_ashr_i32 s3, s17, 31
	s_mul_i32 s3, s33, s3
	s_add_i32 s3, s40, s3
	s_add_i32 s7, s3, s5
	s_lshl_b64 s[36:37], s[30:31], 1
	s_lshl_b64 s[44:45], s[6:7], 1
	s_add_u32 s31, s36, s44
	s_addc_u32 s43, s37, s45
	s_load_dword s46, s[0:1], 0x8c
	s_add_u32 s3, s31, s20
	s_addc_u32 s7, s43, s21
	s_ashr_i32 s19, s18, 31
	s_lshl_b64 s[44:45], s[18:19], 1
	s_add_u32 s36, s3, s44
	s_addc_u32 s37, s7, s45
	s_waitcnt lgkmcnt(0)
	s_and_b32 s3, s46, 0xffff
	s_lshl_b32 s7, s3, 1
	s_lshl_b64 s[46:47], s[24:25], 1
	s_add_u32 s19, s28, s46
	s_addc_u32 s25, s29, s47
	s_add_u32 s26, s26, s19
	s_addc_u32 s27, s27, s25
	;; [unrolled: 2-line block ×6, first 2 shown]
	s_add_u32 s28, s20, s19
	v_lshlrev_b32_e32 v2, 1, v0
	v_mov_b32_e32 v3, 0
	s_addc_u32 s29, s21, s25
	s_mov_b64 s[38:39], 0
	v_mov_b32_e32 v1, v0
.LBB44_9:                               ; =>This Inner Loop Header: Depth=1
	v_lshl_add_u64 v[6:7], s[26:27], 0, v[2:3]
	v_lshl_add_u64 v[4:5], s[22:23], 0, v[2:3]
	;; [unrolled: 1-line block ×4, first 2 shown]
	global_load_ushort v12, v[6:7], off
	global_load_ushort v13, v[10:11], off
	;; [unrolled: 1-line block ×4, first 2 shown]
	s_add_u32 s22, s22, s7
	s_addc_u32 s23, s23, 0
	s_add_u32 s26, s26, s7
	s_addc_u32 s27, s27, 0
	;; [unrolled: 2-line block ×4, first 2 shown]
	v_lshl_add_u64 v[6:7], s[28:29], 0, v[2:3]
	s_add_u32 s28, s28, s7
	s_addc_u32 s29, s29, 0
	v_lshl_add_u64 v[4:5], s[36:37], 0, v[2:3]
	v_add_u32_e32 v1, s3, v1
	s_add_u32 s36, s36, s7
	v_cmp_le_i32_e32 vcc, s24, v1
	s_addc_u32 s37, s37, 0
	s_or_b64 s[38:39], vcc, s[38:39]
	s_waitcnt vmcnt(2)
	v_mul_f16_e32 v16, v12, v13
	s_waitcnt vmcnt(1)
	v_mul_f16_e32 v13, v14, v13
	s_waitcnt vmcnt(0)
	v_fma_f16 v14, v14, v15, -v16
	v_fma_f16 v12, v12, v15, v13
	global_store_short v[8:9], v14, off
	global_store_short v[10:11], v12, off
	;; [unrolled: 1-line block ×4, first 2 shown]
	s_andn2_b64 exec, exec, s[38:39]
	s_cbranch_execnz .LBB44_9
.LBB44_10:
	s_or_b64 exec, exec, s[34:35]
	v_cmp_gt_i32_e32 vcc, s18, v0
	s_and_saveexec_b64 s[8:9], vcc
	s_cbranch_execz .LBB44_13
; %bb.11:
	s_mul_i32 s3, s2, s11
	s_mul_hi_u32 s7, s2, s10
	s_add_i32 s3, s7, s3
	s_mul_i32 s2, s2, s10
	s_lshl_b64 s[2:3], s[2:3], 1
	s_add_u32 s2, s14, s2
	s_addc_u32 s3, s15, s3
	s_ashr_i32 s7, s16, 31
	s_mul_i32 s4, s4, s7
	s_add_i32 s4, s41, s4
	s_add_i32 s31, s4, s42
	s_lshl_b64 s[8:9], s[30:31], 1
	s_add_u32 s4, s20, s8
	s_addc_u32 s8, s21, s9
	s_ashr_i32 s7, s17, 31
	s_mul_i32 s33, s33, s7
	s_load_dword s9, s[0:1], 0x8c
	s_add_i32 s7, s40, s33
	s_add_i32 s7, s7, s5
	s_lshl_b64 s[0:1], s[6:7], 1
	s_add_u32 s0, s4, s0
	s_addc_u32 s1, s8, s1
	s_waitcnt lgkmcnt(0)
	s_and_b32 s6, s9, 0xffff
	s_mov_b64 s[4:5], 0
.LBB44_12:                              ; =>This Inner Loop Header: Depth=1
	v_ashrrev_i32_e32 v1, 31, v0
	v_lshlrev_b64 v[2:3], 1, v[0:1]
	v_lshl_add_u64 v[4:5], s[2:3], 0, v[2:3]
	global_load_ushort v1, v[4:5], off
	v_add_u32_e32 v0, s6, v0
	v_cmp_le_i32_e32 vcc, s18, v0
	v_lshl_add_u64 v[2:3], s[0:1], 0, v[2:3]
	s_or_b64 s[4:5], vcc, s[4:5]
	s_waitcnt vmcnt(0)
	global_store_short v[2:3], v1, off
	s_andn2_b64 exec, exec, s[4:5]
	s_cbranch_execnz .LBB44_12
.LBB44_13:
	s_endpgm
.LBB44_14:
                                        ; implicit-def: $sgpr4_sgpr5
	s_branch .LBB44_6
	.section	.rodata,"a",@progbits
	.p2align	6, 0x0
	.amdhsa_kernel _ZN4vllm38concat_and_cache_mla_rope_fused_kernelIN3c104HalfES2_Lb1E14__hip_bfloat16S3_LNS_18Fp8KVCacheDataTypeE0EEEvPKlPT_S8_PKS7_PKT0_illlliPT3_S6_iiiiPKf
		.amdhsa_group_segment_fixed_size 0
		.amdhsa_private_segment_fixed_size 0
		.amdhsa_kernarg_size 384
		.amdhsa_user_sgpr_count 2
		.amdhsa_user_sgpr_dispatch_ptr 0
		.amdhsa_user_sgpr_queue_ptr 0
		.amdhsa_user_sgpr_kernarg_segment_ptr 1
		.amdhsa_user_sgpr_dispatch_id 0
		.amdhsa_user_sgpr_kernarg_preload_length 0
		.amdhsa_user_sgpr_kernarg_preload_offset 0
		.amdhsa_user_sgpr_private_segment_size 0
		.amdhsa_uses_dynamic_stack 0
		.amdhsa_enable_private_segment 0
		.amdhsa_system_sgpr_workgroup_id_x 1
		.amdhsa_system_sgpr_workgroup_id_y 0
		.amdhsa_system_sgpr_workgroup_id_z 0
		.amdhsa_system_sgpr_workgroup_info 0
		.amdhsa_system_vgpr_workitem_id 0
		.amdhsa_next_free_vgpr 17
		.amdhsa_next_free_sgpr 48
		.amdhsa_accum_offset 20
		.amdhsa_reserve_vcc 1
		.amdhsa_float_round_mode_32 0
		.amdhsa_float_round_mode_16_64 0
		.amdhsa_float_denorm_mode_32 3
		.amdhsa_float_denorm_mode_16_64 3
		.amdhsa_dx10_clamp 1
		.amdhsa_ieee_mode 1
		.amdhsa_fp16_overflow 0
		.amdhsa_tg_split 0
		.amdhsa_exception_fp_ieee_invalid_op 0
		.amdhsa_exception_fp_denorm_src 0
		.amdhsa_exception_fp_ieee_div_zero 0
		.amdhsa_exception_fp_ieee_overflow 0
		.amdhsa_exception_fp_ieee_underflow 0
		.amdhsa_exception_fp_ieee_inexact 0
		.amdhsa_exception_int_div_zero 0
	.end_amdhsa_kernel
	.section	.text._ZN4vllm38concat_and_cache_mla_rope_fused_kernelIN3c104HalfES2_Lb1E14__hip_bfloat16S3_LNS_18Fp8KVCacheDataTypeE0EEEvPKlPT_S8_PKS7_PKT0_illlliPT3_S6_iiiiPKf,"axG",@progbits,_ZN4vllm38concat_and_cache_mla_rope_fused_kernelIN3c104HalfES2_Lb1E14__hip_bfloat16S3_LNS_18Fp8KVCacheDataTypeE0EEEvPKlPT_S8_PKS7_PKT0_illlliPT3_S6_iiiiPKf,comdat
.Lfunc_end44:
	.size	_ZN4vllm38concat_and_cache_mla_rope_fused_kernelIN3c104HalfES2_Lb1E14__hip_bfloat16S3_LNS_18Fp8KVCacheDataTypeE0EEEvPKlPT_S8_PKS7_PKT0_illlliPT3_S6_iiiiPKf, .Lfunc_end44-_ZN4vllm38concat_and_cache_mla_rope_fused_kernelIN3c104HalfES2_Lb1E14__hip_bfloat16S3_LNS_18Fp8KVCacheDataTypeE0EEEvPKlPT_S8_PKS7_PKT0_illlliPT3_S6_iiiiPKf
                                        ; -- End function
	.section	.AMDGPU.csdata,"",@progbits
; Kernel info:
; codeLenInByte = 1972
; NumSgprs: 54
; NumVgprs: 17
; NumAgprs: 0
; TotalNumVgprs: 17
; ScratchSize: 0
; MemoryBound: 0
; FloatMode: 240
; IeeeMode: 1
; LDSByteSize: 0 bytes/workgroup (compile time only)
; SGPRBlocks: 6
; VGPRBlocks: 2
; NumSGPRsForWavesPerEU: 54
; NumVGPRsForWavesPerEU: 17
; AccumOffset: 20
; Occupancy: 8
; WaveLimiterHint : 1
; COMPUTE_PGM_RSRC2:SCRATCH_EN: 0
; COMPUTE_PGM_RSRC2:USER_SGPR: 2
; COMPUTE_PGM_RSRC2:TRAP_HANDLER: 0
; COMPUTE_PGM_RSRC2:TGID_X_EN: 1
; COMPUTE_PGM_RSRC2:TGID_Y_EN: 0
; COMPUTE_PGM_RSRC2:TGID_Z_EN: 0
; COMPUTE_PGM_RSRC2:TIDIG_COMP_CNT: 0
; COMPUTE_PGM_RSRC3_GFX90A:ACCUM_OFFSET: 4
; COMPUTE_PGM_RSRC3_GFX90A:TG_SPLIT: 0
	.section	.text._ZN4vllm38concat_and_cache_mla_rope_fused_kernelIN3c104HalfES2_Lb0E14__hip_bfloat16S3_LNS_18Fp8KVCacheDataTypeE0EEEvPKlPT_S8_PKS7_PKT0_illlliPT3_S6_iiiiPKf,"axG",@progbits,_ZN4vllm38concat_and_cache_mla_rope_fused_kernelIN3c104HalfES2_Lb0E14__hip_bfloat16S3_LNS_18Fp8KVCacheDataTypeE0EEEvPKlPT_S8_PKS7_PKT0_illlliPT3_S6_iiiiPKf,comdat
	.protected	_ZN4vllm38concat_and_cache_mla_rope_fused_kernelIN3c104HalfES2_Lb0E14__hip_bfloat16S3_LNS_18Fp8KVCacheDataTypeE0EEEvPKlPT_S8_PKS7_PKT0_illlliPT3_S6_iiiiPKf ; -- Begin function _ZN4vllm38concat_and_cache_mla_rope_fused_kernelIN3c104HalfES2_Lb0E14__hip_bfloat16S3_LNS_18Fp8KVCacheDataTypeE0EEEvPKlPT_S8_PKS7_PKT0_illlliPT3_S6_iiiiPKf
	.globl	_ZN4vllm38concat_and_cache_mla_rope_fused_kernelIN3c104HalfES2_Lb0E14__hip_bfloat16S3_LNS_18Fp8KVCacheDataTypeE0EEEvPKlPT_S8_PKS7_PKT0_illlliPT3_S6_iiiiPKf
	.p2align	8
	.type	_ZN4vllm38concat_and_cache_mla_rope_fused_kernelIN3c104HalfES2_Lb0E14__hip_bfloat16S3_LNS_18Fp8KVCacheDataTypeE0EEEvPKlPT_S8_PKS7_PKT0_illlliPT3_S6_iiiiPKf,@function
_ZN4vllm38concat_and_cache_mla_rope_fused_kernelIN3c104HalfES2_Lb0E14__hip_bfloat16S3_LNS_18Fp8KVCacheDataTypeE0EEEvPKlPT_S8_PKS7_PKT0_illlliPT3_S6_iiiiPKf: ; @_ZN4vllm38concat_and_cache_mla_rope_fused_kernelIN3c104HalfES2_Lb0E14__hip_bfloat16S3_LNS_18Fp8KVCacheDataTypeE0EEEvPKlPT_S8_PKS7_PKT0_illlliPT3_S6_iiiiPKf
; %bb.0:
	s_load_dwordx2 s[6:7], s[0:1], 0x60
	s_mov_b32 s3, 0
	s_lshl_b64 s[4:5], s[2:3], 3
	s_waitcnt lgkmcnt(0)
	s_add_u32 s6, s6, s4
	s_addc_u32 s7, s7, s5
	s_load_dwordx2 s[26:27], s[6:7], 0x0
	s_waitcnt lgkmcnt(0)
	v_cmp_lt_i64_e64 s[6:7], s[26:27], 0
	s_and_b64 vcc, exec, s[6:7]
	s_cbranch_vccnz .LBB45_13
; %bb.1:
	s_load_dword s3, s[0:1], 0x28
	s_load_dwordx2 s[6:7], s[0:1], 0x0
	s_load_dwordx4 s[12:15], s[0:1], 0x10
	v_lshlrev_b32_e32 v2, 1, v0
	s_waitcnt lgkmcnt(0)
	s_ashr_i32 s22, s3, 31
	s_add_u32 s16, s6, s4
	s_addc_u32 s17, s7, s5
	s_load_dwordx2 s[18:19], s[16:17], 0x0
	s_load_dwordx2 s[24:25], s[0:1], 0x20
	s_load_dwordx8 s[4:11], s[0:1], 0x30
	s_load_dwordx2 s[20:21], s[0:1], 0x58
	s_load_dword s23, s[0:1], 0x50
	s_waitcnt lgkmcnt(0)
	s_mul_i32 s16, s18, s22
	s_mul_hi_u32 s17, s18, s3
	s_mul_i32 s19, s19, s3
	s_add_i32 s16, s17, s16
	s_add_i32 s29, s16, s19
	s_lshr_b32 s16, s3, 31
	s_mul_i32 s28, s18, s3
	s_add_i32 s3, s3, s16
	s_ashr_i32 s22, s3, 1
	s_mul_i32 s3, s22, s23
	v_cmp_gt_i32_e32 vcc, s3, v0
	s_and_saveexec_b64 s[16:17], vcc
	s_cbranch_execz .LBB45_4
; %bb.2:
	s_load_dwordx2 s[30:31], s[0:1], 0x8
	s_load_dword s34, s[0:1], 0x8c
	s_lshl_b64 s[18:19], s[28:29], 1
	s_add_u32 s18, s24, s18
	s_mul_i32 s5, s2, s5
	s_mul_hi_u32 s33, s2, s4
	s_addc_u32 s19, s25, s19
	s_add_i32 s5, s33, s5
	s_mul_i32 s4, s2, s4
	s_ashr_i32 s23, s22, 31
	s_lshl_b64 s[4:5], s[4:5], 1
	s_waitcnt lgkmcnt(0)
	s_add_u32 s4, s30, s4
	s_addc_u32 s5, s31, s5
	s_abs_i32 s33, s22
	v_cvt_f32_u32_e32 v1, s33
	s_sub_i32 s30, 0, s33
	s_and_b32 s34, s34, 0xffff
	s_sub_i32 s35, 0, s22
	v_rcp_iflag_f32_e32 v1, v1
	s_lshl_b32 s37, s34, 1
	v_mov_b32_e32 v4, v2
	v_mov_b32_e32 v6, v0
	v_mul_f32_e32 v1, 0x4f7ffffe, v1
	v_cvt_u32_f32_e32 v1, v1
	v_mul_lo_u32 v3, s30, v1
	v_mul_hi_u32 v3, v1, v3
	s_lshl_b32 s30, s22, 1
	v_add_u32_e32 v1, v1, v3
	s_sub_i32 s36, 0, s30
	s_mov_b64 s[30:31], 0
.LBB45_3:                               ; =>This Inner Loop Header: Depth=1
	v_sub_u32_e32 v5, 0, v6
	v_max_i32_e32 v5, v6, v5
	v_mul_hi_u32 v7, v5, v1
	v_mul_lo_u32 v8, v7, s33
	v_sub_u32_e32 v5, v5, v8
	v_add_u32_e32 v9, 1, v7
	v_cmp_le_u32_e32 vcc, s33, v5
	v_subrev_u32_e32 v8, s33, v5
	v_ashrrev_i32_e32 v3, 31, v6
	v_cndmask_b32_e32 v7, v7, v9, vcc
	v_cndmask_b32_e32 v5, v5, v8, vcc
	v_add_u32_e32 v8, 1, v7
	v_cmp_le_u32_e32 vcc, s33, v5
	v_xor_b32_e32 v3, s23, v3
	s_nop 0
	v_cndmask_b32_e32 v5, v7, v8, vcc
	v_xor_b32_e32 v5, v5, v3
	v_sub_u32_e32 v3, v5, v3
	v_ashrrev_i32_e32 v5, 31, v3
	v_mad_u64_u32 v[8:9], s[38:39], s35, v3, v[6:7]
	v_mul_lo_u32 v7, v3, s7
	v_mad_u64_u32 v[10:11], s[38:39], v3, s6, 0
	v_mad_u64_u32 v[12:13], s[38:39], s36, v3, v[4:5]
	v_mul_lo_u32 v3, v5, s6
	v_ashrrev_i32_e32 v9, 31, v8
	v_add3_u32 v11, v11, v7, v3
	v_ashrrev_i32_e32 v13, 31, v12
	v_lshl_add_u64 v[8:9], v[8:9], 1, s[18:19]
	v_lshl_add_u64 v[10:11], v[10:11], 1, s[4:5]
	;; [unrolled: 1-line block ×3, first 2 shown]
	global_load_ushort v3, v[8:9], off
	global_load_ushort v5, v[14:15], off
	v_lshl_add_u64 v[8:9], v[12:13], 1, v[10:11]
	global_load_dword v7, v[8:9], off
	v_add_u32_e32 v6, s34, v6
	v_cmp_le_i32_e32 vcc, s3, v6
	v_add_u32_e32 v4, s37, v4
	s_or_b64 s[30:31], vcc, s[30:31]
	s_waitcnt vmcnt(0)
	v_mul_f16_sdwa v10, v5, v7 dst_sel:DWORD dst_unused:UNUSED_PAD src0_sel:DWORD src1_sel:WORD_1
	v_mul_f16_sdwa v11, v3, v7 dst_sel:DWORD dst_unused:UNUSED_PAD src0_sel:DWORD src1_sel:WORD_1
	v_fma_f16 v3, v3, v7, -v10
	v_fma_f16 v5, v5, v7, v11
	v_pack_b32_f16 v3, v3, v5
	global_store_dword v[8:9], v3, off
	s_andn2_b64 exec, exec, s[30:31]
	s_cbranch_execnz .LBB45_3
.LBB45_4:
	s_or_b64 exec, exec, s[16:17]
	s_load_dwordx4 s[16:19], s[0:1], 0x68
	s_waitcnt lgkmcnt(0)
	s_ashr_i32 s7, s19, 31
	s_mov_b32 s6, s19
	s_or_b64 s[4:5], s[26:27], s[6:7]
	s_mov_b32 s4, 0
	s_cmp_lg_u64 s[4:5], 0
	s_cbranch_scc0 .LBB45_14
; %bb.5:
	s_add_u32 s4, s6, s7
	s_mov_b32 s34, s7
	s_mov_b32 s35, s7
	s_addc_u32 s5, s7, s7
	s_xor_b64 s[36:37], s[4:5], s[34:35]
	v_cvt_f32_u32_e32 v1, s36
	v_cvt_f32_u32_e32 v3, s37
	s_sub_u32 s3, 0, s36
	s_subb_u32 s4, 0, s37
	v_fmamk_f32 v1, v3, 0x4f800000, v1
	v_rcp_f32_e32 v1, v1
	s_nop 0
	v_mul_f32_e32 v1, 0x5f7ffffc, v1
	v_mul_f32_e32 v3, 0x2f800000, v1
	v_trunc_f32_e32 v3, v3
	v_fmamk_f32 v1, v3, 0xcf800000, v1
	v_cvt_u32_f32_e32 v3, v3
	v_cvt_u32_f32_e32 v1, v1
	v_readfirstlane_b32 s5, v3
	v_readfirstlane_b32 s19, v1
	s_mul_i32 s23, s3, s5
	s_mul_hi_u32 s38, s3, s19
	s_mul_i32 s33, s4, s19
	s_add_i32 s23, s38, s23
	s_add_i32 s23, s23, s33
	s_mul_i32 s39, s3, s19
	s_mul_hi_u32 s33, s19, s23
	s_mul_i32 s38, s19, s23
	s_mul_hi_u32 s19, s19, s39
	s_add_u32 s19, s19, s38
	s_addc_u32 s33, 0, s33
	s_mul_hi_u32 s40, s5, s39
	s_mul_i32 s39, s5, s39
	s_add_u32 s19, s19, s39
	s_mul_hi_u32 s38, s5, s23
	s_addc_u32 s19, s33, s40
	s_addc_u32 s33, s38, 0
	s_mul_i32 s23, s5, s23
	s_add_u32 s19, s19, s23
	s_addc_u32 s23, 0, s33
	v_add_co_u32_e32 v1, vcc, s19, v1
	s_cmp_lg_u64 vcc, 0
	s_addc_u32 s5, s5, s23
	v_readfirstlane_b32 s23, v1
	s_mul_i32 s19, s3, s5
	s_mul_hi_u32 s33, s3, s23
	s_add_i32 s19, s33, s19
	s_mul_i32 s4, s4, s23
	s_add_i32 s19, s19, s4
	s_mul_i32 s3, s3, s23
	s_mul_hi_u32 s33, s5, s3
	s_mul_i32 s38, s5, s3
	s_mul_i32 s40, s23, s19
	s_mul_hi_u32 s3, s23, s3
	s_mul_hi_u32 s39, s23, s19
	s_add_u32 s3, s3, s40
	s_addc_u32 s23, 0, s39
	s_add_u32 s3, s3, s38
	s_mul_hi_u32 s4, s5, s19
	s_addc_u32 s3, s23, s33
	s_addc_u32 s4, s4, 0
	s_mul_i32 s19, s5, s19
	s_add_u32 s3, s3, s19
	s_addc_u32 s4, 0, s4
	v_add_co_u32_e32 v1, vcc, s3, v1
	s_cmp_lg_u64 vcc, 0
	s_addc_u32 s3, s5, s4
	s_ashr_i32 s38, s27, 31
	s_add_u32 s4, s26, s38
	s_mov_b32 s39, s38
	s_addc_u32 s5, s27, s38
	s_xor_b64 s[40:41], s[4:5], s[38:39]
	v_readfirstlane_b32 s19, v1
	s_mul_i32 s5, s40, s3
	s_mul_hi_u32 s23, s40, s19
	s_mul_hi_u32 s4, s40, s3
	s_add_u32 s5, s23, s5
	s_addc_u32 s4, 0, s4
	s_mul_hi_u32 s33, s41, s19
	s_mul_i32 s19, s41, s19
	s_add_u32 s5, s5, s19
	s_mul_hi_u32 s23, s41, s3
	s_addc_u32 s4, s4, s33
	s_addc_u32 s5, s23, 0
	s_mul_i32 s3, s41, s3
	s_add_u32 s3, s4, s3
	s_addc_u32 s19, 0, s5
	s_mul_i32 s4, s36, s19
	s_mul_hi_u32 s5, s36, s3
	s_add_i32 s4, s5, s4
	s_mul_i32 s5, s37, s3
	s_add_i32 s23, s4, s5
	s_mul_i32 s5, s36, s3
	v_mov_b32_e32 v1, s5
	s_sub_i32 s4, s41, s23
	v_sub_co_u32_e32 v1, vcc, s40, v1
	s_cmp_lg_u64 vcc, 0
	s_subb_u32 s33, s4, s37
	v_subrev_co_u32_e64 v3, s[4:5], s36, v1
	s_cmp_lg_u64 s[4:5], 0
	s_subb_u32 s4, s33, 0
	s_cmp_ge_u32 s4, s37
	v_readfirstlane_b32 s33, v3
	s_cselect_b32 s5, -1, 0
	s_cmp_ge_u32 s33, s36
	s_cselect_b32 s33, -1, 0
	s_cmp_eq_u32 s4, s37
	s_cselect_b32 s4, s33, s5
	s_add_u32 s5, s3, 1
	s_addc_u32 s33, s19, 0
	s_add_u32 s40, s3, 2
	s_addc_u32 s42, s19, 0
	s_cmp_lg_u32 s4, 0
	s_cselect_b32 s4, s40, s5
	s_cselect_b32 s5, s42, s33
	s_cmp_lg_u64 vcc, 0
	s_subb_u32 s23, s41, s23
	s_cmp_ge_u32 s23, s37
	v_readfirstlane_b32 s40, v1
	s_cselect_b32 s33, -1, 0
	s_cmp_ge_u32 s40, s36
	s_cselect_b32 s36, -1, 0
	s_cmp_eq_u32 s23, s37
	s_cselect_b32 s23, s36, s33
	s_cmp_lg_u32 s23, 0
	s_cselect_b32 s5, s5, s19
	s_cselect_b32 s4, s4, s3
	s_xor_b64 s[34:35], s[38:39], s[34:35]
	s_xor_b64 s[4:5], s[4:5], s[34:35]
	s_sub_u32 s4, s4, s34
	s_subb_u32 s5, s5, s35
	s_cbranch_execnz .LBB45_7
.LBB45_6:
	v_cvt_f32_u32_e32 v1, s6
	s_sub_i32 s3, 0, s6
	s_mov_b32 s5, 0
	v_rcp_iflag_f32_e32 v1, v1
	s_nop 0
	v_mul_f32_e32 v1, 0x4f7ffffe, v1
	v_cvt_u32_f32_e32 v1, v1
	s_nop 0
	v_readfirstlane_b32 s4, v1
	s_mul_i32 s3, s3, s4
	s_mul_hi_u32 s3, s4, s3
	s_add_i32 s4, s4, s3
	s_mul_hi_u32 s3, s26, s4
	s_mul_i32 s19, s3, s6
	s_sub_i32 s19, s26, s19
	s_add_i32 s4, s3, 1
	s_sub_i32 s23, s19, s6
	s_cmp_ge_u32 s19, s6
	s_cselect_b32 s3, s4, s3
	s_cselect_b32 s19, s23, s19
	s_add_i32 s4, s3, 1
	s_cmp_ge_u32 s19, s6
	s_cselect_b32 s4, s4, s3
.LBB45_7:
	s_mul_i32 s3, s4, s7
	s_mul_hi_u32 s7, s4, s6
	s_add_i32 s3, s7, s3
	s_mul_i32 s7, s5, s6
	s_add_i32 s3, s3, s7
	s_mul_i32 s6, s4, s6
	s_sub_u32 s33, s26, s6
	s_subb_u32 s3, s27, s3
	v_cmp_gt_i32_e32 vcc, s22, v0
	s_mul_hi_u32 s35, s4, s16
	s_mul_i32 s36, s5, s16
	s_mul_i32 s26, s4, s16
	s_mul_hi_u32 s34, s33, s17
	s_mul_i32 s5, s3, s17
	s_mul_i32 s6, s33, s17
	s_and_saveexec_b64 s[30:31], vcc
	s_cbranch_execz .LBB45_10
; %bb.8:
	s_load_dword s3, s[0:1], 0x8c
	s_ashr_i32 s23, s22, 31
	s_ashr_i32 s7, s16, 31
	;; [unrolled: 1-line block ×4, first 2 shown]
	s_waitcnt lgkmcnt(0)
	s_and_b32 s3, s3, 0xffff
	s_lshl_b64 s[38:39], s[28:29], 1
	s_add_u32 s24, s24, s38
	s_mul_i32 s7, s4, s7
	s_addc_u32 s25, s25, s39
	s_add_i32 s7, s35, s7
	s_add_i32 s27, s7, s36
	s_mul_i32 s7, s33, s37
	s_add_i32 s7, s34, s7
	v_mov_b32_e32 v3, 0
	s_add_i32 s7, s7, s5
	v_lshl_add_u64 v[4:5], s[24:25], 0, v[2:3]
	s_lshl_b32 s28, s3, 1
	s_lshl_b64 s[24:25], s[22:23], 1
	s_lshl_b64 s[38:39], s[26:27], 1
	;; [unrolled: 1-line block ×3, first 2 shown]
	s_add_u32 s7, s38, s40
	s_addc_u32 s23, s39, s41
	s_lshl_b64 s[38:39], s[18:19], 1
	s_add_u32 s19, s20, s38
	s_addc_u32 s27, s21, s39
	s_add_u32 s38, s19, s7
	s_mul_i32 s9, s9, s2
	s_mul_hi_u32 s19, s8, s2
	s_addc_u32 s39, s27, s23
	s_add_i32 s9, s19, s9
	s_mul_i32 s8, s8, s2
	s_lshl_b32 s7, s3, 2
	s_lshl_b64 s[8:9], s[8:9], 1
	v_lshlrev_b32_e32 v2, 2, v0
	s_add_u32 s8, s12, s8
	v_lshl_add_u64 v[6:7], s[38:39], 0, v[2:3]
	s_addc_u32 s9, s13, s9
	s_mov_b32 s29, 0
	v_lshl_add_u64 v[6:7], v[6:7], 0, 2
	v_lshl_add_u64 v[2:3], s[8:9], 0, v[2:3]
	s_mov_b64 s[8:9], 0
	s_mov_b64 s[12:13], 0
	v_mov_b32_e32 v1, v0
.LBB45_9:                               ; =>This Inner Loop Header: Depth=1
	v_lshl_add_u64 v[8:9], v[4:5], 0, s[24:25]
	global_load_ushort v12, v[4:5], off
	v_lshl_add_u64 v[10:11], v[2:3], 0, s[12:13]
	global_load_ushort v13, v[8:9], off
	global_load_dword v14, v[10:11], off
	v_lshl_add_u64 v[8:9], v[6:7], 0, s[12:13]
	v_add_u32_e32 v1, s3, v1
	s_add_u32 s12, s12, s7
	s_addc_u32 s13, s13, 0
	v_cmp_le_i32_e32 vcc, s22, v1
	v_lshl_add_u64 v[4:5], v[4:5], 0, s[28:29]
	s_or_b64 s[8:9], vcc, s[8:9]
	s_waitcnt vmcnt(0)
	v_mul_f16_sdwa v15, v13, v14 dst_sel:DWORD dst_unused:UNUSED_PAD src0_sel:DWORD src1_sel:WORD_1
	v_mul_f16_sdwa v16, v12, v14 dst_sel:DWORD dst_unused:UNUSED_PAD src0_sel:DWORD src1_sel:WORD_1
	v_fma_f16 v12, v12, v14, -v15
	v_fma_f16 v13, v13, v14, v16
	v_pack_b32_f16 v12, v12, v13
	global_store_dword v[10:11], v12, off
	global_store_dword v[8:9], v12, off offset:-2
	s_andn2_b64 exec, exec, s[8:9]
	s_cbranch_execnz .LBB45_9
.LBB45_10:
	s_or_b64 exec, exec, s[30:31]
	v_cmp_gt_i32_e32 vcc, s18, v0
	s_and_saveexec_b64 s[8:9], vcc
	s_cbranch_execz .LBB45_13
; %bb.11:
	s_mul_i32 s3, s2, s11
	s_mul_hi_u32 s7, s2, s10
	s_add_i32 s3, s7, s3
	s_mul_i32 s2, s2, s10
	s_lshl_b64 s[2:3], s[2:3], 1
	s_add_u32 s2, s14, s2
	s_addc_u32 s3, s15, s3
	s_ashr_i32 s7, s16, 31
	s_mul_i32 s4, s4, s7
	s_add_i32 s4, s35, s4
	s_add_i32 s27, s4, s36
	s_lshl_b64 s[8:9], s[26:27], 1
	s_add_u32 s4, s20, s8
	s_addc_u32 s8, s21, s9
	s_ashr_i32 s7, s17, 31
	s_mul_i32 s33, s33, s7
	s_load_dword s9, s[0:1], 0x8c
	s_add_i32 s7, s34, s33
	s_add_i32 s7, s7, s5
	s_lshl_b64 s[0:1], s[6:7], 1
	s_add_u32 s0, s4, s0
	s_addc_u32 s1, s8, s1
	s_waitcnt lgkmcnt(0)
	s_and_b32 s6, s9, 0xffff
	s_mov_b64 s[4:5], 0
.LBB45_12:                              ; =>This Inner Loop Header: Depth=1
	v_ashrrev_i32_e32 v1, 31, v0
	v_lshlrev_b64 v[2:3], 1, v[0:1]
	v_lshl_add_u64 v[4:5], s[2:3], 0, v[2:3]
	global_load_ushort v1, v[4:5], off
	v_add_u32_e32 v0, s6, v0
	v_cmp_le_i32_e32 vcc, s18, v0
	v_lshl_add_u64 v[2:3], s[0:1], 0, v[2:3]
	s_or_b64 s[4:5], vcc, s[4:5]
	s_waitcnt vmcnt(0)
	global_store_short v[2:3], v1, off
	s_andn2_b64 exec, exec, s[4:5]
	s_cbranch_execnz .LBB45_12
.LBB45_13:
	s_endpgm
.LBB45_14:
                                        ; implicit-def: $sgpr4_sgpr5
	s_branch .LBB45_6
	.section	.rodata,"a",@progbits
	.p2align	6, 0x0
	.amdhsa_kernel _ZN4vllm38concat_and_cache_mla_rope_fused_kernelIN3c104HalfES2_Lb0E14__hip_bfloat16S3_LNS_18Fp8KVCacheDataTypeE0EEEvPKlPT_S8_PKS7_PKT0_illlliPT3_S6_iiiiPKf
		.amdhsa_group_segment_fixed_size 0
		.amdhsa_private_segment_fixed_size 0
		.amdhsa_kernarg_size 384
		.amdhsa_user_sgpr_count 2
		.amdhsa_user_sgpr_dispatch_ptr 0
		.amdhsa_user_sgpr_queue_ptr 0
		.amdhsa_user_sgpr_kernarg_segment_ptr 1
		.amdhsa_user_sgpr_dispatch_id 0
		.amdhsa_user_sgpr_kernarg_preload_length 0
		.amdhsa_user_sgpr_kernarg_preload_offset 0
		.amdhsa_user_sgpr_private_segment_size 0
		.amdhsa_uses_dynamic_stack 0
		.amdhsa_enable_private_segment 0
		.amdhsa_system_sgpr_workgroup_id_x 1
		.amdhsa_system_sgpr_workgroup_id_y 0
		.amdhsa_system_sgpr_workgroup_id_z 0
		.amdhsa_system_sgpr_workgroup_info 0
		.amdhsa_system_vgpr_workitem_id 0
		.amdhsa_next_free_vgpr 17
		.amdhsa_next_free_sgpr 43
		.amdhsa_accum_offset 20
		.amdhsa_reserve_vcc 1
		.amdhsa_float_round_mode_32 0
		.amdhsa_float_round_mode_16_64 0
		.amdhsa_float_denorm_mode_32 3
		.amdhsa_float_denorm_mode_16_64 3
		.amdhsa_dx10_clamp 1
		.amdhsa_ieee_mode 1
		.amdhsa_fp16_overflow 0
		.amdhsa_tg_split 0
		.amdhsa_exception_fp_ieee_invalid_op 0
		.amdhsa_exception_fp_denorm_src 0
		.amdhsa_exception_fp_ieee_div_zero 0
		.amdhsa_exception_fp_ieee_overflow 0
		.amdhsa_exception_fp_ieee_underflow 0
		.amdhsa_exception_fp_ieee_inexact 0
		.amdhsa_exception_int_div_zero 0
	.end_amdhsa_kernel
	.section	.text._ZN4vllm38concat_and_cache_mla_rope_fused_kernelIN3c104HalfES2_Lb0E14__hip_bfloat16S3_LNS_18Fp8KVCacheDataTypeE0EEEvPKlPT_S8_PKS7_PKT0_illlliPT3_S6_iiiiPKf,"axG",@progbits,_ZN4vllm38concat_and_cache_mla_rope_fused_kernelIN3c104HalfES2_Lb0E14__hip_bfloat16S3_LNS_18Fp8KVCacheDataTypeE0EEEvPKlPT_S8_PKS7_PKT0_illlliPT3_S6_iiiiPKf,comdat
.Lfunc_end45:
	.size	_ZN4vllm38concat_and_cache_mla_rope_fused_kernelIN3c104HalfES2_Lb0E14__hip_bfloat16S3_LNS_18Fp8KVCacheDataTypeE0EEEvPKlPT_S8_PKS7_PKT0_illlliPT3_S6_iiiiPKf, .Lfunc_end45-_ZN4vllm38concat_and_cache_mla_rope_fused_kernelIN3c104HalfES2_Lb0E14__hip_bfloat16S3_LNS_18Fp8KVCacheDataTypeE0EEEvPKlPT_S8_PKS7_PKT0_illlliPT3_S6_iiiiPKf
                                        ; -- End function
	.section	.AMDGPU.csdata,"",@progbits
; Kernel info:
; codeLenInByte = 1916
; NumSgprs: 49
; NumVgprs: 17
; NumAgprs: 0
; TotalNumVgprs: 17
; ScratchSize: 0
; MemoryBound: 0
; FloatMode: 240
; IeeeMode: 1
; LDSByteSize: 0 bytes/workgroup (compile time only)
; SGPRBlocks: 6
; VGPRBlocks: 2
; NumSGPRsForWavesPerEU: 49
; NumVGPRsForWavesPerEU: 17
; AccumOffset: 20
; Occupancy: 8
; WaveLimiterHint : 1
; COMPUTE_PGM_RSRC2:SCRATCH_EN: 0
; COMPUTE_PGM_RSRC2:USER_SGPR: 2
; COMPUTE_PGM_RSRC2:TRAP_HANDLER: 0
; COMPUTE_PGM_RSRC2:TGID_X_EN: 1
; COMPUTE_PGM_RSRC2:TGID_Y_EN: 0
; COMPUTE_PGM_RSRC2:TGID_Z_EN: 0
; COMPUTE_PGM_RSRC2:TIDIG_COMP_CNT: 0
; COMPUTE_PGM_RSRC3_GFX90A:ACCUM_OFFSET: 4
; COMPUTE_PGM_RSRC3_GFX90A:TG_SPLIT: 0
	.section	.text._ZN4vllm38concat_and_cache_mla_rope_fused_kernelIN3c104HalfENS1_8BFloat16ELb1E14__hip_bfloat16S4_LNS_18Fp8KVCacheDataTypeE0EEEvPKlPT_S9_PKS8_PKT0_illlliPT3_S7_iiiiPKf,"axG",@progbits,_ZN4vllm38concat_and_cache_mla_rope_fused_kernelIN3c104HalfENS1_8BFloat16ELb1E14__hip_bfloat16S4_LNS_18Fp8KVCacheDataTypeE0EEEvPKlPT_S9_PKS8_PKT0_illlliPT3_S7_iiiiPKf,comdat
	.protected	_ZN4vllm38concat_and_cache_mla_rope_fused_kernelIN3c104HalfENS1_8BFloat16ELb1E14__hip_bfloat16S4_LNS_18Fp8KVCacheDataTypeE0EEEvPKlPT_S9_PKS8_PKT0_illlliPT3_S7_iiiiPKf ; -- Begin function _ZN4vllm38concat_and_cache_mla_rope_fused_kernelIN3c104HalfENS1_8BFloat16ELb1E14__hip_bfloat16S4_LNS_18Fp8KVCacheDataTypeE0EEEvPKlPT_S9_PKS8_PKT0_illlliPT3_S7_iiiiPKf
	.globl	_ZN4vllm38concat_and_cache_mla_rope_fused_kernelIN3c104HalfENS1_8BFloat16ELb1E14__hip_bfloat16S4_LNS_18Fp8KVCacheDataTypeE0EEEvPKlPT_S9_PKS8_PKT0_illlliPT3_S7_iiiiPKf
	.p2align	8
	.type	_ZN4vllm38concat_and_cache_mla_rope_fused_kernelIN3c104HalfENS1_8BFloat16ELb1E14__hip_bfloat16S4_LNS_18Fp8KVCacheDataTypeE0EEEvPKlPT_S9_PKS8_PKT0_illlliPT3_S7_iiiiPKf,@function
_ZN4vllm38concat_and_cache_mla_rope_fused_kernelIN3c104HalfENS1_8BFloat16ELb1E14__hip_bfloat16S4_LNS_18Fp8KVCacheDataTypeE0EEEvPKlPT_S9_PKS8_PKT0_illlliPT3_S7_iiiiPKf: ; @_ZN4vllm38concat_and_cache_mla_rope_fused_kernelIN3c104HalfENS1_8BFloat16ELb1E14__hip_bfloat16S4_LNS_18Fp8KVCacheDataTypeE0EEEvPKlPT_S9_PKS8_PKT0_illlliPT3_S7_iiiiPKf
; %bb.0:
	s_load_dwordx2 s[6:7], s[0:1], 0x60
	s_mov_b32 s3, 0
	s_lshl_b64 s[4:5], s[2:3], 3
	s_waitcnt lgkmcnt(0)
	s_add_u32 s6, s6, s4
	s_addc_u32 s7, s7, s5
	s_load_dwordx2 s[30:31], s[6:7], 0x0
	s_waitcnt lgkmcnt(0)
	v_cmp_lt_i64_e64 s[6:7], s[30:31], 0
	s_and_b64 vcc, exec, s[6:7]
	s_cbranch_vccnz .LBB46_13
; %bb.1:
	s_load_dword s3, s[0:1], 0x28
	s_load_dwordx2 s[6:7], s[0:1], 0x0
	s_load_dwordx4 s[12:15], s[0:1], 0x10
	s_waitcnt lgkmcnt(0)
	s_ashr_i32 s22, s3, 31
	s_add_u32 s16, s6, s4
	s_addc_u32 s17, s7, s5
	s_load_dwordx2 s[18:19], s[16:17], 0x0
	s_load_dwordx2 s[26:27], s[0:1], 0x20
	s_load_dwordx8 s[4:11], s[0:1], 0x30
	s_load_dwordx2 s[20:21], s[0:1], 0x58
	s_load_dword s25, s[0:1], 0x50
	s_waitcnt lgkmcnt(0)
	s_mul_i32 s16, s18, s22
	s_mul_hi_u32 s17, s18, s3
	s_mul_i32 s19, s19, s3
	s_add_i32 s16, s17, s16
	s_add_i32 s17, s16, s19
	s_mul_i32 s16, s18, s3
	s_lshl_b64 s[28:29], s[16:17], 1
	s_add_u32 s22, s26, s28
	s_addc_u32 s23, s27, s29
	s_lshr_b32 s16, s3, 31
	s_add_i32 s3, s3, s16
	s_ashr_i32 s24, s3, 1
	s_mul_i32 s3, s24, s25
	v_cmp_gt_i32_e32 vcc, s3, v0
	s_and_saveexec_b64 s[16:17], vcc
	s_cbranch_execz .LBB46_4
; %bb.2:
	s_load_dwordx2 s[18:19], s[0:1], 0x8
	s_load_dword s34, s[0:1], 0x8c
	s_mul_i32 s5, s2, s5
	s_mul_hi_u32 s33, s2, s4
	s_add_i32 s5, s33, s5
	s_mul_i32 s4, s2, s4
	s_ashr_i32 s25, s24, 31
	s_lshl_b64 s[4:5], s[4:5], 1
	s_waitcnt lgkmcnt(0)
	s_add_u32 s4, s18, s4
	s_addc_u32 s5, s19, s5
	s_abs_i32 s33, s24
	v_cvt_f32_u32_e32 v1, s33
	s_sub_i32 s38, 0, s33
	s_mov_b64 s[18:19], 0
	s_and_b32 s36, s34, 0xffff
	v_rcp_iflag_f32_e32 v1, v1
	s_sub_i32 s37, 0, s24
	s_lshl_b64 s[34:35], s[24:25], 1
	v_mul_f32_e32 v1, 0x4f7ffffe, v1
	v_cvt_u32_f32_e32 v1, v1
	v_mul_lo_u32 v2, s38, v1
	v_mul_hi_u32 v2, v1, v2
	v_add_u32_e32 v1, v1, v2
	v_mov_b32_e32 v2, v0
.LBB46_3:                               ; =>This Inner Loop Header: Depth=1
	v_sub_u32_e32 v4, 0, v2
	v_max_i32_e32 v4, v2, v4
	v_mul_hi_u32 v5, v4, v1
	v_mul_lo_u32 v6, v5, s33
	v_sub_u32_e32 v4, v4, v6
	v_add_u32_e32 v7, 1, v5
	v_cmp_le_u32_e32 vcc, s33, v4
	v_subrev_u32_e32 v6, s33, v4
	v_ashrrev_i32_e32 v3, 31, v2
	v_cndmask_b32_e32 v5, v5, v7, vcc
	v_cndmask_b32_e32 v4, v4, v6, vcc
	v_add_u32_e32 v6, 1, v5
	v_cmp_le_u32_e32 vcc, s33, v4
	v_xor_b32_e32 v3, s25, v3
	s_nop 0
	v_cndmask_b32_e32 v4, v5, v6, vcc
	v_xor_b32_e32 v4, v4, v3
	v_sub_u32_e32 v3, v4, v3
	v_mad_u64_u32 v[4:5], s[38:39], s37, v3, v[2:3]
	v_ashrrev_i32_e32 v8, 31, v3
	v_ashrrev_i32_e32 v5, 31, v4
	v_mul_lo_u32 v9, v3, s7
	v_mad_u64_u32 v[6:7], s[38:39], v3, s6, 0
	v_mul_lo_u32 v3, v8, s6
	v_lshlrev_b64 v[4:5], 1, v[4:5]
	v_add3_u32 v7, v7, v9, v3
	v_lshl_add_u64 v[8:9], s[22:23], 0, v[4:5]
	v_lshl_add_u64 v[10:11], v[8:9], 0, s[34:35]
	global_load_ushort v3, v[8:9], off
	v_lshl_add_u64 v[6:7], v[6:7], 1, s[4:5]
	global_load_ushort v8, v[10:11], off
	v_lshl_add_u64 v[4:5], v[6:7], 0, v[4:5]
	v_lshl_add_u64 v[6:7], v[4:5], 0, s[34:35]
	global_load_ushort v9, v[4:5], off
	global_load_ushort v10, v[6:7], off
	v_add_u32_e32 v2, s36, v2
	v_cmp_le_i32_e32 vcc, s3, v2
	s_or_b64 s[18:19], vcc, s[18:19]
	s_waitcnt vmcnt(3)
	v_lshlrev_b32_e32 v3, 16, v3
	v_cvt_f16_f32_e32 v3, v3
	s_waitcnt vmcnt(2)
	v_lshlrev_b32_e32 v8, 16, v8
	v_cvt_f16_f32_e32 v8, v8
	s_waitcnt vmcnt(0)
	v_mul_f16_e32 v11, v10, v8
	v_mul_f16_e32 v8, v9, v8
	v_fma_f16 v9, v9, v3, -v11
	v_fma_f16 v3, v10, v3, v8
	global_store_short v[4:5], v9, off
	global_store_short v[6:7], v3, off
	s_andn2_b64 exec, exec, s[18:19]
	s_cbranch_execnz .LBB46_3
.LBB46_4:
	s_or_b64 exec, exec, s[16:17]
	s_load_dwordx4 s[16:19], s[0:1], 0x68
	s_waitcnt lgkmcnt(0)
	s_ashr_i32 s7, s19, 31
	s_mov_b32 s6, s19
	s_or_b64 s[4:5], s[30:31], s[6:7]
	s_mov_b32 s4, 0
	s_cmp_lg_u64 s[4:5], 0
	s_cbranch_scc0 .LBB46_14
; %bb.5:
	s_add_u32 s4, s6, s7
	s_mov_b32 s36, s7
	s_mov_b32 s37, s7
	s_addc_u32 s5, s7, s7
	s_xor_b64 s[38:39], s[4:5], s[36:37]
	v_cvt_f32_u32_e32 v1, s38
	v_cvt_f32_u32_e32 v2, s39
	s_sub_u32 s3, 0, s38
	s_subb_u32 s4, 0, s39
	v_fmamk_f32 v1, v2, 0x4f800000, v1
	v_rcp_f32_e32 v1, v1
	s_nop 0
	v_mul_f32_e32 v1, 0x5f7ffffc, v1
	v_mul_f32_e32 v2, 0x2f800000, v1
	v_trunc_f32_e32 v2, v2
	v_fmamk_f32 v1, v2, 0xcf800000, v1
	v_cvt_u32_f32_e32 v2, v2
	v_cvt_u32_f32_e32 v1, v1
	v_readfirstlane_b32 s5, v2
	v_readfirstlane_b32 s19, v1
	s_mul_i32 s25, s3, s5
	s_mul_hi_u32 s40, s3, s19
	s_mul_i32 s33, s4, s19
	s_add_i32 s25, s40, s25
	s_add_i32 s25, s25, s33
	s_mul_i32 s41, s3, s19
	s_mul_hi_u32 s33, s19, s25
	s_mul_i32 s40, s19, s25
	s_mul_hi_u32 s19, s19, s41
	s_add_u32 s19, s19, s40
	s_addc_u32 s33, 0, s33
	s_mul_hi_u32 s42, s5, s41
	s_mul_i32 s41, s5, s41
	s_add_u32 s19, s19, s41
	s_mul_hi_u32 s40, s5, s25
	s_addc_u32 s19, s33, s42
	s_addc_u32 s33, s40, 0
	s_mul_i32 s25, s5, s25
	s_add_u32 s19, s19, s25
	s_addc_u32 s25, 0, s33
	v_add_co_u32_e32 v1, vcc, s19, v1
	s_cmp_lg_u64 vcc, 0
	s_addc_u32 s5, s5, s25
	v_readfirstlane_b32 s25, v1
	s_mul_i32 s19, s3, s5
	s_mul_hi_u32 s33, s3, s25
	s_add_i32 s19, s33, s19
	s_mul_i32 s4, s4, s25
	s_add_i32 s19, s19, s4
	s_mul_i32 s3, s3, s25
	s_mul_hi_u32 s33, s5, s3
	s_mul_i32 s40, s5, s3
	s_mul_i32 s42, s25, s19
	s_mul_hi_u32 s3, s25, s3
	s_mul_hi_u32 s41, s25, s19
	s_add_u32 s3, s3, s42
	s_addc_u32 s25, 0, s41
	s_add_u32 s3, s3, s40
	s_mul_hi_u32 s4, s5, s19
	s_addc_u32 s3, s25, s33
	s_addc_u32 s4, s4, 0
	s_mul_i32 s19, s5, s19
	s_add_u32 s3, s3, s19
	s_addc_u32 s4, 0, s4
	v_add_co_u32_e32 v1, vcc, s3, v1
	s_cmp_lg_u64 vcc, 0
	s_addc_u32 s3, s5, s4
	s_ashr_i32 s40, s31, 31
	s_add_u32 s4, s30, s40
	s_mov_b32 s41, s40
	s_addc_u32 s5, s31, s40
	s_xor_b64 s[42:43], s[4:5], s[40:41]
	v_readfirstlane_b32 s19, v1
	s_mul_i32 s5, s42, s3
	s_mul_hi_u32 s25, s42, s19
	s_mul_hi_u32 s4, s42, s3
	s_add_u32 s5, s25, s5
	s_addc_u32 s4, 0, s4
	s_mul_hi_u32 s33, s43, s19
	s_mul_i32 s19, s43, s19
	s_add_u32 s5, s5, s19
	s_mul_hi_u32 s25, s43, s3
	s_addc_u32 s4, s4, s33
	s_addc_u32 s5, s25, 0
	s_mul_i32 s3, s43, s3
	s_add_u32 s3, s4, s3
	s_addc_u32 s19, 0, s5
	s_mul_i32 s4, s38, s19
	s_mul_hi_u32 s5, s38, s3
	s_add_i32 s4, s5, s4
	s_mul_i32 s5, s39, s3
	s_add_i32 s25, s4, s5
	s_mul_i32 s5, s38, s3
	v_mov_b32_e32 v1, s5
	s_sub_i32 s4, s43, s25
	v_sub_co_u32_e32 v1, vcc, s42, v1
	s_cmp_lg_u64 vcc, 0
	s_subb_u32 s33, s4, s39
	v_subrev_co_u32_e64 v2, s[4:5], s38, v1
	s_cmp_lg_u64 s[4:5], 0
	s_subb_u32 s4, s33, 0
	s_cmp_ge_u32 s4, s39
	v_readfirstlane_b32 s33, v2
	s_cselect_b32 s5, -1, 0
	s_cmp_ge_u32 s33, s38
	s_cselect_b32 s33, -1, 0
	s_cmp_eq_u32 s4, s39
	s_cselect_b32 s4, s33, s5
	s_add_u32 s5, s3, 1
	s_addc_u32 s33, s19, 0
	s_add_u32 s42, s3, 2
	s_addc_u32 s44, s19, 0
	s_cmp_lg_u32 s4, 0
	s_cselect_b32 s4, s42, s5
	s_cselect_b32 s5, s44, s33
	s_cmp_lg_u64 vcc, 0
	s_subb_u32 s25, s43, s25
	s_cmp_ge_u32 s25, s39
	v_readfirstlane_b32 s42, v1
	s_cselect_b32 s33, -1, 0
	s_cmp_ge_u32 s42, s38
	s_cselect_b32 s38, -1, 0
	s_cmp_eq_u32 s25, s39
	s_cselect_b32 s25, s38, s33
	s_cmp_lg_u32 s25, 0
	s_cselect_b32 s5, s5, s19
	s_cselect_b32 s4, s4, s3
	s_xor_b64 s[36:37], s[40:41], s[36:37]
	s_xor_b64 s[4:5], s[4:5], s[36:37]
	s_sub_u32 s4, s4, s36
	s_subb_u32 s5, s5, s37
	s_cbranch_execnz .LBB46_7
.LBB46_6:
	v_cvt_f32_u32_e32 v1, s6
	s_sub_i32 s3, 0, s6
	s_mov_b32 s5, 0
	v_rcp_iflag_f32_e32 v1, v1
	s_nop 0
	v_mul_f32_e32 v1, 0x4f7ffffe, v1
	v_cvt_u32_f32_e32 v1, v1
	s_nop 0
	v_readfirstlane_b32 s4, v1
	s_mul_i32 s3, s3, s4
	s_mul_hi_u32 s3, s4, s3
	s_add_i32 s4, s4, s3
	s_mul_hi_u32 s3, s30, s4
	s_mul_i32 s19, s3, s6
	s_sub_i32 s19, s30, s19
	s_add_i32 s4, s3, 1
	s_sub_i32 s25, s19, s6
	s_cmp_ge_u32 s19, s6
	s_cselect_b32 s3, s4, s3
	s_cselect_b32 s19, s25, s19
	s_add_i32 s4, s3, 1
	s_cmp_ge_u32 s19, s6
	s_cselect_b32 s4, s4, s3
.LBB46_7:
	s_mul_i32 s3, s4, s7
	s_mul_hi_u32 s7, s4, s6
	s_add_i32 s3, s7, s3
	s_mul_i32 s7, s5, s6
	s_add_i32 s3, s3, s7
	s_mul_i32 s6, s4, s6
	s_sub_u32 s33, s30, s6
	s_subb_u32 s3, s31, s3
	v_cmp_gt_i32_e32 vcc, s24, v0
	s_mul_hi_u32 s41, s4, s16
	s_mul_i32 s42, s5, s16
	s_mul_i32 s30, s4, s16
	s_mul_hi_u32 s40, s33, s17
	s_mul_i32 s5, s3, s17
	s_mul_i32 s6, s33, s17
	s_and_saveexec_b64 s[34:35], vcc
	s_cbranch_execz .LBB46_10
; %bb.8:
	s_mul_i32 s3, s2, s9
	s_mul_hi_u32 s7, s2, s8
	s_add_i32 s9, s7, s3
	s_mul_i32 s8, s2, s8
	s_ashr_i32 s25, s24, 31
	s_lshl_b64 s[38:39], s[8:9], 1
	s_add_u32 s8, s12, s38
	s_addc_u32 s9, s13, s39
	s_ashr_i32 s3, s16, 31
	s_mul_i32 s3, s4, s3
	s_add_i32 s3, s41, s3
	s_add_i32 s31, s3, s42
	s_ashr_i32 s3, s17, 31
	s_mul_i32 s3, s33, s3
	s_add_i32 s3, s40, s3
	s_add_i32 s7, s3, s5
	s_lshl_b64 s[36:37], s[30:31], 1
	s_lshl_b64 s[44:45], s[6:7], 1
	s_add_u32 s31, s36, s44
	s_addc_u32 s43, s37, s45
	s_load_dword s46, s[0:1], 0x8c
	s_add_u32 s3, s31, s20
	s_addc_u32 s7, s43, s21
	s_ashr_i32 s19, s18, 31
	s_lshl_b64 s[44:45], s[18:19], 1
	s_add_u32 s36, s3, s44
	s_addc_u32 s37, s7, s45
	s_waitcnt lgkmcnt(0)
	s_and_b32 s3, s46, 0xffff
	s_lshl_b32 s7, s3, 1
	s_lshl_b64 s[46:47], s[24:25], 1
	s_add_u32 s19, s28, s46
	s_addc_u32 s25, s29, s47
	s_add_u32 s26, s26, s19
	s_addc_u32 s27, s27, s25
	;; [unrolled: 2-line block ×6, first 2 shown]
	s_add_u32 s28, s20, s19
	v_lshlrev_b32_e32 v2, 1, v0
	v_mov_b32_e32 v3, 0
	s_addc_u32 s29, s21, s25
	s_mov_b64 s[38:39], 0
	v_mov_b32_e32 v1, v0
.LBB46_9:                               ; =>This Inner Loop Header: Depth=1
	v_lshl_add_u64 v[4:5], s[22:23], 0, v[2:3]
	v_lshl_add_u64 v[6:7], s[26:27], 0, v[2:3]
	v_lshl_add_u64 v[8:9], s[8:9], 0, v[2:3]
	v_lshl_add_u64 v[10:11], s[12:13], 0, v[2:3]
	global_load_ushort v12, v[4:5], off
	global_load_ushort v13, v[6:7], off
	;; [unrolled: 1-line block ×4, first 2 shown]
	s_add_u32 s22, s22, s7
	s_addc_u32 s23, s23, 0
	s_add_u32 s26, s26, s7
	s_addc_u32 s27, s27, 0
	;; [unrolled: 2-line block ×4, first 2 shown]
	v_lshl_add_u64 v[6:7], s[28:29], 0, v[2:3]
	s_add_u32 s28, s28, s7
	s_addc_u32 s29, s29, 0
	v_lshl_add_u64 v[4:5], s[36:37], 0, v[2:3]
	v_add_u32_e32 v1, s3, v1
	s_add_u32 s36, s36, s7
	v_cmp_le_i32_e32 vcc, s24, v1
	s_addc_u32 s37, s37, 0
	s_or_b64 s[38:39], vcc, s[38:39]
	s_waitcnt vmcnt(3)
	v_lshlrev_b32_e32 v12, 16, v12
	s_waitcnt vmcnt(2)
	v_lshlrev_b32_e32 v13, 16, v13
	v_cvt_f16_f32_e32 v13, v13
	v_cvt_f16_f32_e32 v12, v12
	s_waitcnt vmcnt(1)
	v_mul_f16_e32 v16, v14, v13
	s_waitcnt vmcnt(0)
	v_mul_f16_e32 v13, v15, v13
	v_fma_f16 v15, v15, v12, -v16
	v_fma_f16 v12, v14, v12, v13
	global_store_short v[8:9], v15, off
	global_store_short v[10:11], v12, off
	;; [unrolled: 1-line block ×4, first 2 shown]
	s_andn2_b64 exec, exec, s[38:39]
	s_cbranch_execnz .LBB46_9
.LBB46_10:
	s_or_b64 exec, exec, s[34:35]
	v_cmp_gt_i32_e32 vcc, s18, v0
	s_and_saveexec_b64 s[8:9], vcc
	s_cbranch_execz .LBB46_13
; %bb.11:
	s_mul_i32 s3, s2, s11
	s_mul_hi_u32 s7, s2, s10
	s_add_i32 s3, s7, s3
	s_mul_i32 s2, s2, s10
	s_lshl_b64 s[2:3], s[2:3], 1
	s_add_u32 s2, s14, s2
	s_addc_u32 s3, s15, s3
	s_ashr_i32 s7, s16, 31
	s_mul_i32 s4, s4, s7
	s_add_i32 s4, s41, s4
	s_add_i32 s31, s4, s42
	s_lshl_b64 s[8:9], s[30:31], 1
	s_add_u32 s4, s20, s8
	s_addc_u32 s8, s21, s9
	s_ashr_i32 s7, s17, 31
	s_mul_i32 s33, s33, s7
	s_load_dword s9, s[0:1], 0x8c
	s_add_i32 s7, s40, s33
	s_add_i32 s7, s7, s5
	s_lshl_b64 s[0:1], s[6:7], 1
	s_add_u32 s0, s4, s0
	s_addc_u32 s1, s8, s1
	s_waitcnt lgkmcnt(0)
	s_and_b32 s6, s9, 0xffff
	s_mov_b64 s[4:5], 0
.LBB46_12:                              ; =>This Inner Loop Header: Depth=1
	v_ashrrev_i32_e32 v1, 31, v0
	v_lshlrev_b64 v[2:3], 1, v[0:1]
	v_lshl_add_u64 v[4:5], s[2:3], 0, v[2:3]
	global_load_ushort v1, v[4:5], off
	v_add_u32_e32 v0, s6, v0
	v_cmp_le_i32_e32 vcc, s18, v0
	v_lshl_add_u64 v[2:3], s[0:1], 0, v[2:3]
	s_or_b64 s[4:5], vcc, s[4:5]
	s_waitcnt vmcnt(0)
	global_store_short v[2:3], v1, off
	s_andn2_b64 exec, exec, s[4:5]
	s_cbranch_execnz .LBB46_12
.LBB46_13:
	s_endpgm
.LBB46_14:
                                        ; implicit-def: $sgpr4_sgpr5
	s_branch .LBB46_6
	.section	.rodata,"a",@progbits
	.p2align	6, 0x0
	.amdhsa_kernel _ZN4vllm38concat_and_cache_mla_rope_fused_kernelIN3c104HalfENS1_8BFloat16ELb1E14__hip_bfloat16S4_LNS_18Fp8KVCacheDataTypeE0EEEvPKlPT_S9_PKS8_PKT0_illlliPT3_S7_iiiiPKf
		.amdhsa_group_segment_fixed_size 0
		.amdhsa_private_segment_fixed_size 0
		.amdhsa_kernarg_size 384
		.amdhsa_user_sgpr_count 2
		.amdhsa_user_sgpr_dispatch_ptr 0
		.amdhsa_user_sgpr_queue_ptr 0
		.amdhsa_user_sgpr_kernarg_segment_ptr 1
		.amdhsa_user_sgpr_dispatch_id 0
		.amdhsa_user_sgpr_kernarg_preload_length 0
		.amdhsa_user_sgpr_kernarg_preload_offset 0
		.amdhsa_user_sgpr_private_segment_size 0
		.amdhsa_uses_dynamic_stack 0
		.amdhsa_enable_private_segment 0
		.amdhsa_system_sgpr_workgroup_id_x 1
		.amdhsa_system_sgpr_workgroup_id_y 0
		.amdhsa_system_sgpr_workgroup_id_z 0
		.amdhsa_system_sgpr_workgroup_info 0
		.amdhsa_system_vgpr_workitem_id 0
		.amdhsa_next_free_vgpr 17
		.amdhsa_next_free_sgpr 48
		.amdhsa_accum_offset 20
		.amdhsa_reserve_vcc 1
		.amdhsa_float_round_mode_32 0
		.amdhsa_float_round_mode_16_64 0
		.amdhsa_float_denorm_mode_32 3
		.amdhsa_float_denorm_mode_16_64 3
		.amdhsa_dx10_clamp 1
		.amdhsa_ieee_mode 1
		.amdhsa_fp16_overflow 0
		.amdhsa_tg_split 0
		.amdhsa_exception_fp_ieee_invalid_op 0
		.amdhsa_exception_fp_denorm_src 0
		.amdhsa_exception_fp_ieee_div_zero 0
		.amdhsa_exception_fp_ieee_overflow 0
		.amdhsa_exception_fp_ieee_underflow 0
		.amdhsa_exception_fp_ieee_inexact 0
		.amdhsa_exception_int_div_zero 0
	.end_amdhsa_kernel
	.section	.text._ZN4vllm38concat_and_cache_mla_rope_fused_kernelIN3c104HalfENS1_8BFloat16ELb1E14__hip_bfloat16S4_LNS_18Fp8KVCacheDataTypeE0EEEvPKlPT_S9_PKS8_PKT0_illlliPT3_S7_iiiiPKf,"axG",@progbits,_ZN4vllm38concat_and_cache_mla_rope_fused_kernelIN3c104HalfENS1_8BFloat16ELb1E14__hip_bfloat16S4_LNS_18Fp8KVCacheDataTypeE0EEEvPKlPT_S9_PKS8_PKT0_illlliPT3_S7_iiiiPKf,comdat
.Lfunc_end46:
	.size	_ZN4vllm38concat_and_cache_mla_rope_fused_kernelIN3c104HalfENS1_8BFloat16ELb1E14__hip_bfloat16S4_LNS_18Fp8KVCacheDataTypeE0EEEvPKlPT_S9_PKS8_PKT0_illlliPT3_S7_iiiiPKf, .Lfunc_end46-_ZN4vllm38concat_and_cache_mla_rope_fused_kernelIN3c104HalfENS1_8BFloat16ELb1E14__hip_bfloat16S4_LNS_18Fp8KVCacheDataTypeE0EEEvPKlPT_S9_PKS8_PKT0_illlliPT3_S7_iiiiPKf
                                        ; -- End function
	.section	.AMDGPU.csdata,"",@progbits
; Kernel info:
; codeLenInByte = 2016
; NumSgprs: 54
; NumVgprs: 17
; NumAgprs: 0
; TotalNumVgprs: 17
; ScratchSize: 0
; MemoryBound: 0
; FloatMode: 240
; IeeeMode: 1
; LDSByteSize: 0 bytes/workgroup (compile time only)
; SGPRBlocks: 6
; VGPRBlocks: 2
; NumSGPRsForWavesPerEU: 54
; NumVGPRsForWavesPerEU: 17
; AccumOffset: 20
; Occupancy: 8
; WaveLimiterHint : 1
; COMPUTE_PGM_RSRC2:SCRATCH_EN: 0
; COMPUTE_PGM_RSRC2:USER_SGPR: 2
; COMPUTE_PGM_RSRC2:TRAP_HANDLER: 0
; COMPUTE_PGM_RSRC2:TGID_X_EN: 1
; COMPUTE_PGM_RSRC2:TGID_Y_EN: 0
; COMPUTE_PGM_RSRC2:TGID_Z_EN: 0
; COMPUTE_PGM_RSRC2:TIDIG_COMP_CNT: 0
; COMPUTE_PGM_RSRC3_GFX90A:ACCUM_OFFSET: 4
; COMPUTE_PGM_RSRC3_GFX90A:TG_SPLIT: 0
	.section	.text._ZN4vllm38concat_and_cache_mla_rope_fused_kernelIN3c104HalfENS1_8BFloat16ELb0E14__hip_bfloat16S4_LNS_18Fp8KVCacheDataTypeE0EEEvPKlPT_S9_PKS8_PKT0_illlliPT3_S7_iiiiPKf,"axG",@progbits,_ZN4vllm38concat_and_cache_mla_rope_fused_kernelIN3c104HalfENS1_8BFloat16ELb0E14__hip_bfloat16S4_LNS_18Fp8KVCacheDataTypeE0EEEvPKlPT_S9_PKS8_PKT0_illlliPT3_S7_iiiiPKf,comdat
	.protected	_ZN4vllm38concat_and_cache_mla_rope_fused_kernelIN3c104HalfENS1_8BFloat16ELb0E14__hip_bfloat16S4_LNS_18Fp8KVCacheDataTypeE0EEEvPKlPT_S9_PKS8_PKT0_illlliPT3_S7_iiiiPKf ; -- Begin function _ZN4vllm38concat_and_cache_mla_rope_fused_kernelIN3c104HalfENS1_8BFloat16ELb0E14__hip_bfloat16S4_LNS_18Fp8KVCacheDataTypeE0EEEvPKlPT_S9_PKS8_PKT0_illlliPT3_S7_iiiiPKf
	.globl	_ZN4vllm38concat_and_cache_mla_rope_fused_kernelIN3c104HalfENS1_8BFloat16ELb0E14__hip_bfloat16S4_LNS_18Fp8KVCacheDataTypeE0EEEvPKlPT_S9_PKS8_PKT0_illlliPT3_S7_iiiiPKf
	.p2align	8
	.type	_ZN4vllm38concat_and_cache_mla_rope_fused_kernelIN3c104HalfENS1_8BFloat16ELb0E14__hip_bfloat16S4_LNS_18Fp8KVCacheDataTypeE0EEEvPKlPT_S9_PKS8_PKT0_illlliPT3_S7_iiiiPKf,@function
_ZN4vllm38concat_and_cache_mla_rope_fused_kernelIN3c104HalfENS1_8BFloat16ELb0E14__hip_bfloat16S4_LNS_18Fp8KVCacheDataTypeE0EEEvPKlPT_S9_PKS8_PKT0_illlliPT3_S7_iiiiPKf: ; @_ZN4vllm38concat_and_cache_mla_rope_fused_kernelIN3c104HalfENS1_8BFloat16ELb0E14__hip_bfloat16S4_LNS_18Fp8KVCacheDataTypeE0EEEvPKlPT_S9_PKS8_PKT0_illlliPT3_S7_iiiiPKf
; %bb.0:
	s_load_dwordx2 s[6:7], s[0:1], 0x60
	s_mov_b32 s3, 0
	s_lshl_b64 s[4:5], s[2:3], 3
	s_waitcnt lgkmcnt(0)
	s_add_u32 s6, s6, s4
	s_addc_u32 s7, s7, s5
	s_load_dwordx2 s[26:27], s[6:7], 0x0
	s_waitcnt lgkmcnt(0)
	v_cmp_lt_i64_e64 s[6:7], s[26:27], 0
	s_and_b64 vcc, exec, s[6:7]
	s_cbranch_vccnz .LBB47_13
; %bb.1:
	s_load_dword s3, s[0:1], 0x28
	s_load_dwordx2 s[6:7], s[0:1], 0x0
	s_load_dwordx4 s[12:15], s[0:1], 0x10
	v_lshlrev_b32_e32 v2, 1, v0
	s_waitcnt lgkmcnt(0)
	s_ashr_i32 s22, s3, 31
	s_add_u32 s16, s6, s4
	s_addc_u32 s17, s7, s5
	s_load_dwordx2 s[18:19], s[16:17], 0x0
	s_load_dwordx2 s[24:25], s[0:1], 0x20
	s_load_dwordx8 s[4:11], s[0:1], 0x30
	s_load_dwordx2 s[20:21], s[0:1], 0x58
	s_load_dword s23, s[0:1], 0x50
	s_waitcnt lgkmcnt(0)
	s_mul_i32 s16, s18, s22
	s_mul_hi_u32 s17, s18, s3
	s_mul_i32 s19, s19, s3
	s_add_i32 s16, s17, s16
	s_add_i32 s29, s16, s19
	s_lshr_b32 s16, s3, 31
	s_mul_i32 s28, s18, s3
	s_add_i32 s3, s3, s16
	s_ashr_i32 s22, s3, 1
	s_mul_i32 s3, s22, s23
	v_cmp_gt_i32_e32 vcc, s3, v0
	s_and_saveexec_b64 s[16:17], vcc
	s_cbranch_execz .LBB47_4
; %bb.2:
	s_load_dwordx2 s[30:31], s[0:1], 0x8
	s_load_dword s34, s[0:1], 0x8c
	s_lshl_b64 s[18:19], s[28:29], 1
	s_add_u32 s18, s24, s18
	s_mul_i32 s5, s2, s5
	s_mul_hi_u32 s33, s2, s4
	s_addc_u32 s19, s25, s19
	s_add_i32 s5, s33, s5
	s_mul_i32 s4, s2, s4
	s_ashr_i32 s23, s22, 31
	s_lshl_b64 s[4:5], s[4:5], 1
	s_waitcnt lgkmcnt(0)
	s_add_u32 s4, s30, s4
	s_addc_u32 s5, s31, s5
	s_abs_i32 s33, s22
	v_cvt_f32_u32_e32 v1, s33
	s_sub_i32 s30, 0, s33
	s_and_b32 s34, s34, 0xffff
	s_sub_i32 s35, 0, s22
	v_rcp_iflag_f32_e32 v1, v1
	s_lshl_b32 s37, s34, 1
	v_mov_b32_e32 v4, v2
	v_mov_b32_e32 v6, v0
	v_mul_f32_e32 v1, 0x4f7ffffe, v1
	v_cvt_u32_f32_e32 v1, v1
	v_mul_lo_u32 v3, s30, v1
	v_mul_hi_u32 v3, v1, v3
	s_lshl_b32 s30, s22, 1
	v_add_u32_e32 v1, v1, v3
	s_sub_i32 s36, 0, s30
	s_mov_b64 s[30:31], 0
.LBB47_3:                               ; =>This Inner Loop Header: Depth=1
	v_sub_u32_e32 v5, 0, v6
	v_max_i32_e32 v5, v6, v5
	v_mul_hi_u32 v7, v5, v1
	v_mul_lo_u32 v8, v7, s33
	v_sub_u32_e32 v5, v5, v8
	v_add_u32_e32 v9, 1, v7
	v_cmp_le_u32_e32 vcc, s33, v5
	v_subrev_u32_e32 v8, s33, v5
	v_ashrrev_i32_e32 v3, 31, v6
	v_cndmask_b32_e32 v7, v7, v9, vcc
	v_cndmask_b32_e32 v5, v5, v8, vcc
	v_add_u32_e32 v8, 1, v7
	v_cmp_le_u32_e32 vcc, s33, v5
	v_xor_b32_e32 v3, s23, v3
	s_nop 0
	v_cndmask_b32_e32 v5, v7, v8, vcc
	v_xor_b32_e32 v5, v5, v3
	v_sub_u32_e32 v3, v5, v3
	v_mad_u64_u32 v[8:9], s[38:39], s35, v3, v[6:7]
	v_ashrrev_i32_e32 v9, 31, v8
	v_ashrrev_i32_e32 v5, 31, v3
	v_lshl_add_u64 v[8:9], v[8:9], 1, s[18:19]
	v_mul_lo_u32 v7, v3, s7
	v_mad_u64_u32 v[10:11], s[38:39], v3, s6, 0
	v_mad_u64_u32 v[12:13], s[38:39], s36, v3, v[4:5]
	v_mul_lo_u32 v3, v5, s6
	v_lshl_add_u64 v[14:15], s[22:23], 1, v[8:9]
	v_add3_u32 v11, v11, v7, v3
	global_load_ushort v3, v[8:9], off
	global_load_ushort v5, v[14:15], off
	v_ashrrev_i32_e32 v13, 31, v12
	v_lshl_add_u64 v[8:9], v[10:11], 1, s[4:5]
	v_lshl_add_u64 v[8:9], v[12:13], 1, v[8:9]
	global_load_dword v7, v[8:9], off
	v_add_u32_e32 v6, s34, v6
	v_cmp_le_i32_e32 vcc, s3, v6
	v_add_u32_e32 v4, s37, v4
	s_or_b64 s[30:31], vcc, s[30:31]
	s_waitcnt vmcnt(2)
	v_lshlrev_b32_e32 v3, 16, v3
	s_waitcnt vmcnt(1)
	v_lshlrev_b32_e32 v5, 16, v5
	v_cvt_f16_f32_e32 v5, v5
	v_cvt_f16_f32_e32 v3, v3
	s_waitcnt vmcnt(0)
	v_lshrrev_b32_e32 v10, 16, v7
	v_mul_f16_e32 v11, v10, v5
	v_mul_f16_e32 v5, v7, v5
	v_fma_f16 v7, v7, v3, -v11
	v_fma_f16 v3, v10, v3, v5
	v_pack_b32_f16 v3, v7, v3
	global_store_dword v[8:9], v3, off
	s_andn2_b64 exec, exec, s[30:31]
	s_cbranch_execnz .LBB47_3
.LBB47_4:
	s_or_b64 exec, exec, s[16:17]
	s_load_dwordx4 s[16:19], s[0:1], 0x68
	s_waitcnt lgkmcnt(0)
	s_ashr_i32 s7, s19, 31
	s_mov_b32 s6, s19
	s_or_b64 s[4:5], s[26:27], s[6:7]
	s_mov_b32 s4, 0
	s_cmp_lg_u64 s[4:5], 0
	s_cbranch_scc0 .LBB47_14
; %bb.5:
	s_add_u32 s4, s6, s7
	s_mov_b32 s34, s7
	s_mov_b32 s35, s7
	s_addc_u32 s5, s7, s7
	s_xor_b64 s[36:37], s[4:5], s[34:35]
	v_cvt_f32_u32_e32 v1, s36
	v_cvt_f32_u32_e32 v3, s37
	s_sub_u32 s3, 0, s36
	s_subb_u32 s4, 0, s37
	v_fmamk_f32 v1, v3, 0x4f800000, v1
	v_rcp_f32_e32 v1, v1
	s_nop 0
	v_mul_f32_e32 v1, 0x5f7ffffc, v1
	v_mul_f32_e32 v3, 0x2f800000, v1
	v_trunc_f32_e32 v3, v3
	v_fmamk_f32 v1, v3, 0xcf800000, v1
	v_cvt_u32_f32_e32 v3, v3
	v_cvt_u32_f32_e32 v1, v1
	v_readfirstlane_b32 s5, v3
	v_readfirstlane_b32 s19, v1
	s_mul_i32 s23, s3, s5
	s_mul_hi_u32 s38, s3, s19
	s_mul_i32 s33, s4, s19
	s_add_i32 s23, s38, s23
	s_add_i32 s23, s23, s33
	s_mul_i32 s39, s3, s19
	s_mul_hi_u32 s33, s19, s23
	s_mul_i32 s38, s19, s23
	s_mul_hi_u32 s19, s19, s39
	s_add_u32 s19, s19, s38
	s_addc_u32 s33, 0, s33
	s_mul_hi_u32 s40, s5, s39
	s_mul_i32 s39, s5, s39
	s_add_u32 s19, s19, s39
	s_mul_hi_u32 s38, s5, s23
	s_addc_u32 s19, s33, s40
	s_addc_u32 s33, s38, 0
	s_mul_i32 s23, s5, s23
	s_add_u32 s19, s19, s23
	s_addc_u32 s23, 0, s33
	v_add_co_u32_e32 v1, vcc, s19, v1
	s_cmp_lg_u64 vcc, 0
	s_addc_u32 s5, s5, s23
	v_readfirstlane_b32 s23, v1
	s_mul_i32 s19, s3, s5
	s_mul_hi_u32 s33, s3, s23
	s_add_i32 s19, s33, s19
	s_mul_i32 s4, s4, s23
	s_add_i32 s19, s19, s4
	s_mul_i32 s3, s3, s23
	s_mul_hi_u32 s33, s5, s3
	s_mul_i32 s38, s5, s3
	s_mul_i32 s40, s23, s19
	s_mul_hi_u32 s3, s23, s3
	s_mul_hi_u32 s39, s23, s19
	s_add_u32 s3, s3, s40
	s_addc_u32 s23, 0, s39
	s_add_u32 s3, s3, s38
	s_mul_hi_u32 s4, s5, s19
	s_addc_u32 s3, s23, s33
	s_addc_u32 s4, s4, 0
	s_mul_i32 s19, s5, s19
	s_add_u32 s3, s3, s19
	s_addc_u32 s4, 0, s4
	v_add_co_u32_e32 v1, vcc, s3, v1
	s_cmp_lg_u64 vcc, 0
	s_addc_u32 s3, s5, s4
	s_ashr_i32 s38, s27, 31
	s_add_u32 s4, s26, s38
	s_mov_b32 s39, s38
	s_addc_u32 s5, s27, s38
	s_xor_b64 s[40:41], s[4:5], s[38:39]
	v_readfirstlane_b32 s19, v1
	s_mul_i32 s5, s40, s3
	s_mul_hi_u32 s23, s40, s19
	s_mul_hi_u32 s4, s40, s3
	s_add_u32 s5, s23, s5
	s_addc_u32 s4, 0, s4
	s_mul_hi_u32 s33, s41, s19
	s_mul_i32 s19, s41, s19
	s_add_u32 s5, s5, s19
	s_mul_hi_u32 s23, s41, s3
	s_addc_u32 s4, s4, s33
	s_addc_u32 s5, s23, 0
	s_mul_i32 s3, s41, s3
	s_add_u32 s3, s4, s3
	s_addc_u32 s19, 0, s5
	s_mul_i32 s4, s36, s19
	s_mul_hi_u32 s5, s36, s3
	s_add_i32 s4, s5, s4
	s_mul_i32 s5, s37, s3
	s_add_i32 s23, s4, s5
	s_mul_i32 s5, s36, s3
	v_mov_b32_e32 v1, s5
	s_sub_i32 s4, s41, s23
	v_sub_co_u32_e32 v1, vcc, s40, v1
	s_cmp_lg_u64 vcc, 0
	s_subb_u32 s33, s4, s37
	v_subrev_co_u32_e64 v3, s[4:5], s36, v1
	s_cmp_lg_u64 s[4:5], 0
	s_subb_u32 s4, s33, 0
	s_cmp_ge_u32 s4, s37
	v_readfirstlane_b32 s33, v3
	s_cselect_b32 s5, -1, 0
	s_cmp_ge_u32 s33, s36
	s_cselect_b32 s33, -1, 0
	s_cmp_eq_u32 s4, s37
	s_cselect_b32 s4, s33, s5
	s_add_u32 s5, s3, 1
	s_addc_u32 s33, s19, 0
	s_add_u32 s40, s3, 2
	s_addc_u32 s42, s19, 0
	s_cmp_lg_u32 s4, 0
	s_cselect_b32 s4, s40, s5
	s_cselect_b32 s5, s42, s33
	s_cmp_lg_u64 vcc, 0
	s_subb_u32 s23, s41, s23
	s_cmp_ge_u32 s23, s37
	v_readfirstlane_b32 s40, v1
	s_cselect_b32 s33, -1, 0
	s_cmp_ge_u32 s40, s36
	s_cselect_b32 s36, -1, 0
	s_cmp_eq_u32 s23, s37
	s_cselect_b32 s23, s36, s33
	s_cmp_lg_u32 s23, 0
	s_cselect_b32 s5, s5, s19
	s_cselect_b32 s4, s4, s3
	s_xor_b64 s[34:35], s[38:39], s[34:35]
	s_xor_b64 s[4:5], s[4:5], s[34:35]
	s_sub_u32 s4, s4, s34
	s_subb_u32 s5, s5, s35
	s_cbranch_execnz .LBB47_7
.LBB47_6:
	v_cvt_f32_u32_e32 v1, s6
	s_sub_i32 s3, 0, s6
	s_mov_b32 s5, 0
	v_rcp_iflag_f32_e32 v1, v1
	s_nop 0
	v_mul_f32_e32 v1, 0x4f7ffffe, v1
	v_cvt_u32_f32_e32 v1, v1
	s_nop 0
	v_readfirstlane_b32 s4, v1
	s_mul_i32 s3, s3, s4
	s_mul_hi_u32 s3, s4, s3
	s_add_i32 s4, s4, s3
	s_mul_hi_u32 s3, s26, s4
	s_mul_i32 s19, s3, s6
	s_sub_i32 s19, s26, s19
	s_add_i32 s4, s3, 1
	s_sub_i32 s23, s19, s6
	s_cmp_ge_u32 s19, s6
	s_cselect_b32 s3, s4, s3
	s_cselect_b32 s19, s23, s19
	s_add_i32 s4, s3, 1
	s_cmp_ge_u32 s19, s6
	s_cselect_b32 s4, s4, s3
.LBB47_7:
	s_mul_i32 s3, s4, s7
	s_mul_hi_u32 s7, s4, s6
	s_add_i32 s3, s7, s3
	s_mul_i32 s7, s5, s6
	s_add_i32 s3, s3, s7
	s_mul_i32 s6, s4, s6
	s_sub_u32 s33, s26, s6
	s_subb_u32 s3, s27, s3
	v_cmp_gt_i32_e32 vcc, s22, v0
	s_mul_hi_u32 s35, s4, s16
	s_mul_i32 s36, s5, s16
	s_mul_i32 s26, s4, s16
	s_mul_hi_u32 s34, s33, s17
	s_mul_i32 s5, s3, s17
	s_mul_i32 s6, s33, s17
	s_and_saveexec_b64 s[30:31], vcc
	s_cbranch_execz .LBB47_10
; %bb.8:
	s_load_dword s3, s[0:1], 0x8c
	s_ashr_i32 s23, s22, 31
	s_ashr_i32 s7, s16, 31
	;; [unrolled: 1-line block ×4, first 2 shown]
	s_waitcnt lgkmcnt(0)
	s_and_b32 s3, s3, 0xffff
	s_lshl_b64 s[38:39], s[28:29], 1
	s_add_u32 s24, s24, s38
	s_mul_i32 s7, s4, s7
	s_addc_u32 s25, s25, s39
	s_add_i32 s7, s35, s7
	s_add_i32 s27, s7, s36
	s_mul_i32 s7, s33, s37
	s_add_i32 s7, s34, s7
	v_mov_b32_e32 v3, 0
	s_add_i32 s7, s7, s5
	v_lshl_add_u64 v[4:5], s[24:25], 0, v[2:3]
	s_lshl_b32 s28, s3, 1
	s_lshl_b64 s[24:25], s[22:23], 1
	s_lshl_b64 s[38:39], s[26:27], 1
	s_lshl_b64 s[40:41], s[6:7], 1
	s_add_u32 s7, s38, s40
	s_addc_u32 s23, s39, s41
	s_lshl_b64 s[38:39], s[18:19], 1
	s_add_u32 s19, s20, s38
	s_addc_u32 s27, s21, s39
	s_add_u32 s38, s19, s7
	s_mul_i32 s9, s9, s2
	s_mul_hi_u32 s19, s8, s2
	s_addc_u32 s39, s27, s23
	s_add_i32 s9, s19, s9
	s_mul_i32 s8, s8, s2
	s_lshl_b32 s7, s3, 2
	s_lshl_b64 s[8:9], s[8:9], 1
	v_lshlrev_b32_e32 v2, 2, v0
	s_add_u32 s8, s12, s8
	v_lshl_add_u64 v[6:7], s[38:39], 0, v[2:3]
	s_addc_u32 s9, s13, s9
	s_mov_b32 s29, 0
	v_lshl_add_u64 v[6:7], v[6:7], 0, 2
	v_lshl_add_u64 v[2:3], s[8:9], 0, v[2:3]
	s_mov_b64 s[8:9], 0
	s_mov_b64 s[12:13], 0
	v_mov_b32_e32 v1, v0
.LBB47_9:                               ; =>This Inner Loop Header: Depth=1
	v_lshl_add_u64 v[8:9], v[4:5], 0, s[24:25]
	global_load_ushort v12, v[4:5], off
	v_lshl_add_u64 v[10:11], v[2:3], 0, s[12:13]
	global_load_ushort v13, v[8:9], off
	global_load_dword v14, v[10:11], off
	v_lshl_add_u64 v[8:9], v[6:7], 0, s[12:13]
	v_add_u32_e32 v1, s3, v1
	s_add_u32 s12, s12, s7
	s_addc_u32 s13, s13, 0
	v_cmp_le_i32_e32 vcc, s22, v1
	v_lshl_add_u64 v[4:5], v[4:5], 0, s[28:29]
	s_or_b64 s[8:9], vcc, s[8:9]
	s_waitcnt vmcnt(2)
	v_lshlrev_b32_e32 v12, 16, v12
	s_waitcnt vmcnt(1)
	v_lshlrev_b32_e32 v13, 16, v13
	v_cvt_f16_f32_e32 v13, v13
	v_cvt_f16_f32_e32 v12, v12
	s_waitcnt vmcnt(0)
	v_lshrrev_b32_e32 v15, 16, v14
	v_mul_f16_e32 v16, v15, v13
	v_mul_f16_e32 v13, v14, v13
	v_fma_f16 v14, v14, v12, -v16
	v_fma_f16 v12, v15, v12, v13
	v_pack_b32_f16 v12, v14, v12
	global_store_dword v[10:11], v12, off
	global_store_dword v[8:9], v12, off offset:-2
	s_andn2_b64 exec, exec, s[8:9]
	s_cbranch_execnz .LBB47_9
.LBB47_10:
	s_or_b64 exec, exec, s[30:31]
	v_cmp_gt_i32_e32 vcc, s18, v0
	s_and_saveexec_b64 s[8:9], vcc
	s_cbranch_execz .LBB47_13
; %bb.11:
	s_mul_i32 s3, s2, s11
	s_mul_hi_u32 s7, s2, s10
	s_add_i32 s3, s7, s3
	s_mul_i32 s2, s2, s10
	s_lshl_b64 s[2:3], s[2:3], 1
	s_add_u32 s2, s14, s2
	s_addc_u32 s3, s15, s3
	s_ashr_i32 s7, s16, 31
	s_mul_i32 s4, s4, s7
	s_add_i32 s4, s35, s4
	s_add_i32 s27, s4, s36
	s_lshl_b64 s[8:9], s[26:27], 1
	s_add_u32 s4, s20, s8
	s_addc_u32 s8, s21, s9
	s_ashr_i32 s7, s17, 31
	s_mul_i32 s33, s33, s7
	s_load_dword s9, s[0:1], 0x8c
	s_add_i32 s7, s34, s33
	s_add_i32 s7, s7, s5
	s_lshl_b64 s[0:1], s[6:7], 1
	s_add_u32 s0, s4, s0
	s_addc_u32 s1, s8, s1
	s_waitcnt lgkmcnt(0)
	s_and_b32 s6, s9, 0xffff
	s_mov_b64 s[4:5], 0
.LBB47_12:                              ; =>This Inner Loop Header: Depth=1
	v_ashrrev_i32_e32 v1, 31, v0
	v_lshlrev_b64 v[2:3], 1, v[0:1]
	v_lshl_add_u64 v[4:5], s[2:3], 0, v[2:3]
	global_load_ushort v1, v[4:5], off
	v_add_u32_e32 v0, s6, v0
	v_cmp_le_i32_e32 vcc, s18, v0
	v_lshl_add_u64 v[2:3], s[0:1], 0, v[2:3]
	s_or_b64 s[4:5], vcc, s[4:5]
	s_waitcnt vmcnt(0)
	global_store_short v[2:3], v1, off
	s_andn2_b64 exec, exec, s[4:5]
	s_cbranch_execnz .LBB47_12
.LBB47_13:
	s_endpgm
.LBB47_14:
                                        ; implicit-def: $sgpr4_sgpr5
	s_branch .LBB47_6
	.section	.rodata,"a",@progbits
	.p2align	6, 0x0
	.amdhsa_kernel _ZN4vllm38concat_and_cache_mla_rope_fused_kernelIN3c104HalfENS1_8BFloat16ELb0E14__hip_bfloat16S4_LNS_18Fp8KVCacheDataTypeE0EEEvPKlPT_S9_PKS8_PKT0_illlliPT3_S7_iiiiPKf
		.amdhsa_group_segment_fixed_size 0
		.amdhsa_private_segment_fixed_size 0
		.amdhsa_kernarg_size 384
		.amdhsa_user_sgpr_count 2
		.amdhsa_user_sgpr_dispatch_ptr 0
		.amdhsa_user_sgpr_queue_ptr 0
		.amdhsa_user_sgpr_kernarg_segment_ptr 1
		.amdhsa_user_sgpr_dispatch_id 0
		.amdhsa_user_sgpr_kernarg_preload_length 0
		.amdhsa_user_sgpr_kernarg_preload_offset 0
		.amdhsa_user_sgpr_private_segment_size 0
		.amdhsa_uses_dynamic_stack 0
		.amdhsa_enable_private_segment 0
		.amdhsa_system_sgpr_workgroup_id_x 1
		.amdhsa_system_sgpr_workgroup_id_y 0
		.amdhsa_system_sgpr_workgroup_id_z 0
		.amdhsa_system_sgpr_workgroup_info 0
		.amdhsa_system_vgpr_workitem_id 0
		.amdhsa_next_free_vgpr 17
		.amdhsa_next_free_sgpr 43
		.amdhsa_accum_offset 20
		.amdhsa_reserve_vcc 1
		.amdhsa_float_round_mode_32 0
		.amdhsa_float_round_mode_16_64 0
		.amdhsa_float_denorm_mode_32 3
		.amdhsa_float_denorm_mode_16_64 3
		.amdhsa_dx10_clamp 1
		.amdhsa_ieee_mode 1
		.amdhsa_fp16_overflow 0
		.amdhsa_tg_split 0
		.amdhsa_exception_fp_ieee_invalid_op 0
		.amdhsa_exception_fp_denorm_src 0
		.amdhsa_exception_fp_ieee_div_zero 0
		.amdhsa_exception_fp_ieee_overflow 0
		.amdhsa_exception_fp_ieee_underflow 0
		.amdhsa_exception_fp_ieee_inexact 0
		.amdhsa_exception_int_div_zero 0
	.end_amdhsa_kernel
	.section	.text._ZN4vllm38concat_and_cache_mla_rope_fused_kernelIN3c104HalfENS1_8BFloat16ELb0E14__hip_bfloat16S4_LNS_18Fp8KVCacheDataTypeE0EEEvPKlPT_S9_PKS8_PKT0_illlliPT3_S7_iiiiPKf,"axG",@progbits,_ZN4vllm38concat_and_cache_mla_rope_fused_kernelIN3c104HalfENS1_8BFloat16ELb0E14__hip_bfloat16S4_LNS_18Fp8KVCacheDataTypeE0EEEvPKlPT_S9_PKS8_PKT0_illlliPT3_S7_iiiiPKf,comdat
.Lfunc_end47:
	.size	_ZN4vllm38concat_and_cache_mla_rope_fused_kernelIN3c104HalfENS1_8BFloat16ELb0E14__hip_bfloat16S4_LNS_18Fp8KVCacheDataTypeE0EEEvPKlPT_S9_PKS8_PKT0_illlliPT3_S7_iiiiPKf, .Lfunc_end47-_ZN4vllm38concat_and_cache_mla_rope_fused_kernelIN3c104HalfENS1_8BFloat16ELb0E14__hip_bfloat16S4_LNS_18Fp8KVCacheDataTypeE0EEEvPKlPT_S9_PKS8_PKT0_illlliPT3_S7_iiiiPKf
                                        ; -- End function
	.section	.AMDGPU.csdata,"",@progbits
; Kernel info:
; codeLenInByte = 1956
; NumSgprs: 49
; NumVgprs: 17
; NumAgprs: 0
; TotalNumVgprs: 17
; ScratchSize: 0
; MemoryBound: 0
; FloatMode: 240
; IeeeMode: 1
; LDSByteSize: 0 bytes/workgroup (compile time only)
; SGPRBlocks: 6
; VGPRBlocks: 2
; NumSGPRsForWavesPerEU: 49
; NumVGPRsForWavesPerEU: 17
; AccumOffset: 20
; Occupancy: 8
; WaveLimiterHint : 1
; COMPUTE_PGM_RSRC2:SCRATCH_EN: 0
; COMPUTE_PGM_RSRC2:USER_SGPR: 2
; COMPUTE_PGM_RSRC2:TRAP_HANDLER: 0
; COMPUTE_PGM_RSRC2:TGID_X_EN: 1
; COMPUTE_PGM_RSRC2:TGID_Y_EN: 0
; COMPUTE_PGM_RSRC2:TGID_Z_EN: 0
; COMPUTE_PGM_RSRC2:TIDIG_COMP_CNT: 0
; COMPUTE_PGM_RSRC3_GFX90A:ACCUM_OFFSET: 4
; COMPUTE_PGM_RSRC3_GFX90A:TG_SPLIT: 0
	.section	.text._ZN4vllm38concat_and_cache_mla_rope_fused_kernelIN3c108BFloat16EfLb1E14__hip_bfloat16S3_LNS_18Fp8KVCacheDataTypeE0EEEvPKlPT_S8_PKS7_PKT0_illlliPT3_S6_iiiiPKf,"axG",@progbits,_ZN4vllm38concat_and_cache_mla_rope_fused_kernelIN3c108BFloat16EfLb1E14__hip_bfloat16S3_LNS_18Fp8KVCacheDataTypeE0EEEvPKlPT_S8_PKS7_PKT0_illlliPT3_S6_iiiiPKf,comdat
	.protected	_ZN4vllm38concat_and_cache_mla_rope_fused_kernelIN3c108BFloat16EfLb1E14__hip_bfloat16S3_LNS_18Fp8KVCacheDataTypeE0EEEvPKlPT_S8_PKS7_PKT0_illlliPT3_S6_iiiiPKf ; -- Begin function _ZN4vllm38concat_and_cache_mla_rope_fused_kernelIN3c108BFloat16EfLb1E14__hip_bfloat16S3_LNS_18Fp8KVCacheDataTypeE0EEEvPKlPT_S8_PKS7_PKT0_illlliPT3_S6_iiiiPKf
	.globl	_ZN4vllm38concat_and_cache_mla_rope_fused_kernelIN3c108BFloat16EfLb1E14__hip_bfloat16S3_LNS_18Fp8KVCacheDataTypeE0EEEvPKlPT_S8_PKS7_PKT0_illlliPT3_S6_iiiiPKf
	.p2align	8
	.type	_ZN4vllm38concat_and_cache_mla_rope_fused_kernelIN3c108BFloat16EfLb1E14__hip_bfloat16S3_LNS_18Fp8KVCacheDataTypeE0EEEvPKlPT_S8_PKS7_PKT0_illlliPT3_S6_iiiiPKf,@function
_ZN4vllm38concat_and_cache_mla_rope_fused_kernelIN3c108BFloat16EfLb1E14__hip_bfloat16S3_LNS_18Fp8KVCacheDataTypeE0EEEvPKlPT_S8_PKS7_PKT0_illlliPT3_S6_iiiiPKf: ; @_ZN4vllm38concat_and_cache_mla_rope_fused_kernelIN3c108BFloat16EfLb1E14__hip_bfloat16S3_LNS_18Fp8KVCacheDataTypeE0EEEvPKlPT_S8_PKS7_PKT0_illlliPT3_S6_iiiiPKf
; %bb.0:
	s_load_dwordx2 s[6:7], s[0:1], 0x60
	s_mov_b32 s3, 0
	s_lshl_b64 s[4:5], s[2:3], 3
	s_waitcnt lgkmcnt(0)
	s_add_u32 s6, s6, s4
	s_addc_u32 s7, s7, s5
	s_load_dwordx2 s[34:35], s[6:7], 0x0
	s_waitcnt lgkmcnt(0)
	v_cmp_lt_i64_e64 s[6:7], s[34:35], 0
	s_and_b64 vcc, exec, s[6:7]
	s_cbranch_vccnz .LBB48_13
; %bb.1:
	s_load_dword s3, s[0:1], 0x28
	s_load_dwordx2 s[6:7], s[0:1], 0x0
	s_load_dwordx4 s[16:19], s[0:1], 0x10
	s_waitcnt lgkmcnt(0)
	s_ashr_i32 s20, s3, 31
	s_add_u32 s4, s6, s4
	s_addc_u32 s5, s7, s5
	s_load_dwordx2 s[6:7], s[4:5], 0x0
	s_load_dwordx2 s[28:29], s[0:1], 0x20
	s_load_dwordx8 s[8:15], s[0:1], 0x30
	s_load_dwordx2 s[24:25], s[0:1], 0x58
	s_load_dword s21, s[0:1], 0x50
	s_waitcnt lgkmcnt(0)
	s_mul_i32 s4, s6, s20
	s_mul_hi_u32 s5, s6, s3
	s_mul_i32 s7, s7, s3
	s_add_i32 s4, s5, s4
	s_add_i32 s31, s4, s7
	s_lshr_b32 s4, s3, 31
	s_mul_i32 s30, s6, s3
	s_add_i32 s3, s3, s4
	s_ashr_i32 s26, s3, 1
	s_mul_i32 s3, s26, s21
	v_cmp_gt_i32_e32 vcc, s3, v0
	s_and_saveexec_b64 s[20:21], vcc
	s_cbranch_execz .LBB48_4
; %bb.2:
	s_lshl_b64 s[4:5], s[30:31], 2
	s_add_u32 s22, s28, s4
	s_addc_u32 s23, s29, s5
	s_load_dwordx2 s[4:5], s[0:1], 0x8
	s_mul_i32 s6, s2, s9
	s_mul_hi_u32 s7, s2, s8
	s_add_i32 s7, s7, s6
	s_mul_i32 s6, s2, s8
	s_load_dword s8, s[0:1], 0x8c
	s_ashr_i32 s27, s26, 31
	s_lshl_b64 s[6:7], s[6:7], 1
	s_waitcnt lgkmcnt(0)
	s_add_u32 s36, s4, s6
	s_addc_u32 s37, s5, s7
	s_abs_i32 s33, s26
	v_cvt_f32_u32_e32 v1, s33
	s_sub_i32 s4, 0, s33
	s_and_b32 s40, s8, 0xffff
	s_sub_i32 s41, 0, s26
	v_rcp_iflag_f32_e32 v1, v1
	s_mov_b64 s[38:39], 0
	s_movk_i32 s42, 0x7fff
	v_mov_b32_e32 v3, 0x7fc00000
	v_mul_f32_e32 v1, 0x4f7ffffe, v1
	v_cvt_u32_f32_e32 v1, v1
	v_mov_b32_e32 v4, 0x7fc0
	v_mul_lo_u32 v2, s4, v1
	v_mul_hi_u32 v2, v1, v2
	v_add_u32_e32 v1, v1, v2
	v_mov_b32_e32 v2, v0
.LBB48_3:                               ; =>This Inner Loop Header: Depth=1
	v_sub_u32_e32 v6, 0, v2
	v_max_i32_e32 v6, v2, v6
	v_mul_hi_u32 v7, v6, v1
	v_mul_lo_u32 v8, v7, s33
	v_sub_u32_e32 v6, v6, v8
	v_add_u32_e32 v9, 1, v7
	v_cmp_le_u32_e32 vcc, s33, v6
	v_subrev_u32_e32 v8, s33, v6
	v_ashrrev_i32_e32 v5, 31, v2
	v_cndmask_b32_e32 v7, v7, v9, vcc
	v_cndmask_b32_e32 v6, v6, v8, vcc
	v_add_u32_e32 v8, 1, v7
	v_cmp_le_u32_e32 vcc, s33, v6
	v_xor_b32_e32 v5, s27, v5
	s_nop 0
	v_cndmask_b32_e32 v6, v7, v8, vcc
	v_xor_b32_e32 v6, v6, v5
	v_sub_u32_e32 v5, v6, v5
	v_mad_u64_u32 v[6:7], s[4:5], s41, v5, v[2:3]
	v_ashrrev_i32_e32 v10, 31, v5
	v_mul_lo_u32 v12, v5, s11
	v_mad_u64_u32 v[8:9], s[4:5], v5, s10, 0
	v_ashrrev_i32_e32 v7, 31, v6
	v_mul_lo_u32 v5, v10, s10
	v_lshl_add_u64 v[10:11], v[6:7], 2, s[22:23]
	v_add3_u32 v9, v9, v12, v5
	v_lshl_add_u64 v[12:13], s[26:27], 2, v[10:11]
	v_lshl_add_u64 v[8:9], v[8:9], 1, s[36:37]
	global_load_dword v5, v[10:11], off
	global_load_dword v14, v[12:13], off
	v_lshl_add_u64 v[6:7], v[6:7], 1, v[8:9]
	v_lshl_add_u64 v[8:9], s[26:27], 1, v[6:7]
	global_load_ushort v10, v[6:7], off
	global_load_ushort v12, v[8:9], off
	v_add_u32_e32 v2, s40, v2
	v_cmp_le_i32_e32 vcc, s3, v2
	s_or_b64 s[38:39], vcc, s[38:39]
	s_waitcnt vmcnt(3)
	v_bfe_u32 v11, v5, 16, 1
	s_waitcnt vmcnt(2)
	v_bfe_u32 v13, v14, 16, 1
	v_add3_u32 v11, v5, v11, s42
	v_add3_u32 v13, v14, v13, s42
	v_and_b32_e32 v15, 0xffff0000, v11
	v_cmp_o_f32_e32 vcc, v5, v5
	v_and_b32_e32 v5, 0xffff0000, v13
	s_waitcnt vmcnt(1)
	v_lshlrev_b32_e32 v11, 16, v10
	s_waitcnt vmcnt(0)
	v_lshlrev_b32_e32 v10, 16, v12
	v_cndmask_b32_e32 v12, v3, v15, vcc
	v_cmp_o_f32_e32 vcc, v14, v14
	v_mov_b32_e32 v14, v11
	v_mov_b32_e32 v15, v10
	v_cndmask_b32_e32 v13, v3, v5, vcc
	v_pk_mul_f32 v[14:15], v[12:13], v[14:15]
	v_pk_mul_f32 v[10:11], v[12:13], v[10:11]
	v_bfe_u32 v5, v14, 16, 1
	v_bfe_u32 v12, v15, 16, 1
	;; [unrolled: 1-line block ×4, first 2 shown]
	v_add3_u32 v12, v15, v12, s42
	v_add3_u32 v5, v14, v5, s42
	;; [unrolled: 1-line block ×4, first 2 shown]
	v_and_b32_e32 v5, 0xffff0000, v5
	v_and_b32_e32 v12, 0xffff0000, v12
	v_cmp_o_f32_e32 vcc, v14, v14
	v_cmp_o_f32_e64 s[8:9], v15, v15
	v_and_b32_e32 v13, 0xffff0000, v13
	v_and_b32_e32 v14, 0xffff0000, v16
	v_cmp_o_f32_e64 s[4:5], v11, v11
	v_cmp_o_f32_e64 s[6:7], v10, v10
	v_cndmask_b32_e64 v10, v3, v12, s[8:9]
	v_cndmask_b32_e32 v5, v3, v5, vcc
	v_cndmask_b32_e64 v11, v3, v14, s[4:5]
	v_cndmask_b32_e64 v12, v3, v13, s[6:7]
	v_sub_f32_e32 v5, v5, v10
	v_add_f32_e32 v10, v12, v11
	v_bfe_u32 v11, v5, 16, 1
	v_bfe_u32 v12, v10, 16, 1
	v_add3_u32 v11, v5, v11, s42
	v_add3_u32 v12, v10, v12, s42
	v_lshrrev_b32_e32 v11, 16, v11
	v_cmp_o_f32_e64 s[4:5], v5, v5
	v_lshrrev_b32_e32 v12, 16, v12
	v_cmp_o_f32_e32 vcc, v10, v10
	v_cndmask_b32_e64 v5, v4, v11, s[4:5]
	s_nop 0
	v_cndmask_b32_e32 v10, v4, v12, vcc
	global_store_short v[6:7], v5, off
	global_store_short v[8:9], v10, off
	s_andn2_b64 exec, exec, s[38:39]
	s_cbranch_execnz .LBB48_3
.LBB48_4:
	s_or_b64 exec, exec, s[20:21]
	s_load_dwordx4 s[20:23], s[0:1], 0x68
	s_waitcnt lgkmcnt(0)
	s_ashr_i32 s7, s23, 31
	s_mov_b32 s6, s23
	s_or_b64 s[4:5], s[34:35], s[6:7]
	s_mov_b32 s4, 0
	s_cmp_lg_u64 s[4:5], 0
	s_cbranch_scc0 .LBB48_14
; %bb.5:
	s_add_u32 s4, s6, s7
	s_mov_b32 s10, s7
	s_mov_b32 s11, s7
	s_addc_u32 s5, s7, s7
	s_xor_b64 s[36:37], s[4:5], s[10:11]
	v_cvt_f32_u32_e32 v1, s36
	v_cvt_f32_u32_e32 v2, s37
	s_sub_u32 s3, 0, s36
	s_subb_u32 s4, 0, s37
	v_fmamk_f32 v1, v2, 0x4f800000, v1
	v_rcp_f32_e32 v1, v1
	s_nop 0
	v_mul_f32_e32 v1, 0x5f7ffffc, v1
	v_mul_f32_e32 v2, 0x2f800000, v1
	v_trunc_f32_e32 v2, v2
	v_fmamk_f32 v1, v2, 0xcf800000, v1
	v_cvt_u32_f32_e32 v2, v2
	v_cvt_u32_f32_e32 v1, v1
	v_readfirstlane_b32 s5, v2
	v_readfirstlane_b32 s23, v1
	s_mul_i32 s27, s3, s5
	s_mul_hi_u32 s38, s3, s23
	s_mul_i32 s33, s4, s23
	s_add_i32 s27, s38, s27
	s_add_i32 s27, s27, s33
	s_mul_i32 s39, s3, s23
	s_mul_hi_u32 s33, s23, s27
	s_mul_i32 s38, s23, s27
	s_mul_hi_u32 s23, s23, s39
	s_add_u32 s23, s23, s38
	s_addc_u32 s33, 0, s33
	s_mul_hi_u32 s40, s5, s39
	s_mul_i32 s39, s5, s39
	s_add_u32 s23, s23, s39
	s_mul_hi_u32 s38, s5, s27
	s_addc_u32 s23, s33, s40
	s_addc_u32 s33, s38, 0
	s_mul_i32 s27, s5, s27
	s_add_u32 s23, s23, s27
	s_addc_u32 s27, 0, s33
	v_add_co_u32_e32 v1, vcc, s23, v1
	s_cmp_lg_u64 vcc, 0
	s_addc_u32 s5, s5, s27
	v_readfirstlane_b32 s27, v1
	s_mul_i32 s23, s3, s5
	s_mul_hi_u32 s33, s3, s27
	s_add_i32 s23, s33, s23
	s_mul_i32 s4, s4, s27
	s_add_i32 s23, s23, s4
	s_mul_i32 s3, s3, s27
	s_mul_hi_u32 s33, s5, s3
	s_mul_i32 s38, s5, s3
	s_mul_i32 s40, s27, s23
	s_mul_hi_u32 s3, s27, s3
	s_mul_hi_u32 s39, s27, s23
	s_add_u32 s3, s3, s40
	s_addc_u32 s27, 0, s39
	s_add_u32 s3, s3, s38
	s_mul_hi_u32 s4, s5, s23
	s_addc_u32 s3, s27, s33
	s_addc_u32 s4, s4, 0
	s_mul_i32 s23, s5, s23
	s_add_u32 s3, s3, s23
	s_addc_u32 s4, 0, s4
	v_add_co_u32_e32 v1, vcc, s3, v1
	s_cmp_lg_u64 vcc, 0
	s_addc_u32 s3, s5, s4
	s_ashr_i32 s38, s35, 31
	s_add_u32 s4, s34, s38
	s_mov_b32 s39, s38
	s_addc_u32 s5, s35, s38
	s_xor_b64 s[40:41], s[4:5], s[38:39]
	v_readfirstlane_b32 s23, v1
	s_mul_i32 s5, s40, s3
	s_mul_hi_u32 s27, s40, s23
	s_mul_hi_u32 s4, s40, s3
	s_add_u32 s5, s27, s5
	s_addc_u32 s4, 0, s4
	s_mul_hi_u32 s33, s41, s23
	s_mul_i32 s23, s41, s23
	s_add_u32 s5, s5, s23
	s_mul_hi_u32 s27, s41, s3
	s_addc_u32 s4, s4, s33
	s_addc_u32 s5, s27, 0
	s_mul_i32 s3, s41, s3
	s_add_u32 s3, s4, s3
	s_addc_u32 s23, 0, s5
	s_mul_i32 s4, s36, s23
	s_mul_hi_u32 s5, s36, s3
	s_add_i32 s4, s5, s4
	s_mul_i32 s5, s37, s3
	s_add_i32 s27, s4, s5
	s_mul_i32 s5, s36, s3
	v_mov_b32_e32 v1, s5
	s_sub_i32 s4, s41, s27
	v_sub_co_u32_e32 v1, vcc, s40, v1
	s_cmp_lg_u64 vcc, 0
	s_subb_u32 s33, s4, s37
	v_subrev_co_u32_e64 v2, s[4:5], s36, v1
	s_cmp_lg_u64 s[4:5], 0
	s_subb_u32 s4, s33, 0
	s_cmp_ge_u32 s4, s37
	v_readfirstlane_b32 s33, v2
	s_cselect_b32 s5, -1, 0
	s_cmp_ge_u32 s33, s36
	s_cselect_b32 s33, -1, 0
	s_cmp_eq_u32 s4, s37
	s_cselect_b32 s4, s33, s5
	s_add_u32 s5, s3, 1
	s_addc_u32 s33, s23, 0
	s_add_u32 s40, s3, 2
	s_addc_u32 s42, s23, 0
	s_cmp_lg_u32 s4, 0
	s_cselect_b32 s4, s40, s5
	s_cselect_b32 s5, s42, s33
	s_cmp_lg_u64 vcc, 0
	s_subb_u32 s27, s41, s27
	s_cmp_ge_u32 s27, s37
	v_readfirstlane_b32 s40, v1
	s_cselect_b32 s33, -1, 0
	s_cmp_ge_u32 s40, s36
	s_cselect_b32 s36, -1, 0
	s_cmp_eq_u32 s27, s37
	s_cselect_b32 s27, s36, s33
	s_cmp_lg_u32 s27, 0
	s_cselect_b32 s5, s5, s23
	s_cselect_b32 s4, s4, s3
	s_xor_b64 s[10:11], s[38:39], s[10:11]
	s_xor_b64 s[4:5], s[4:5], s[10:11]
	s_sub_u32 s10, s4, s10
	s_subb_u32 s11, s5, s11
	s_cbranch_execnz .LBB48_7
.LBB48_6:
	v_cvt_f32_u32_e32 v1, s6
	s_sub_i32 s3, 0, s6
	s_mov_b32 s11, 0
	v_rcp_iflag_f32_e32 v1, v1
	s_nop 0
	v_mul_f32_e32 v1, 0x4f7ffffe, v1
	v_cvt_u32_f32_e32 v1, v1
	s_nop 0
	v_readfirstlane_b32 s4, v1
	s_mul_i32 s3, s3, s4
	s_mul_hi_u32 s3, s4, s3
	s_add_i32 s4, s4, s3
	s_mul_hi_u32 s3, s34, s4
	s_mul_i32 s5, s3, s6
	s_sub_i32 s5, s34, s5
	s_add_i32 s4, s3, 1
	s_sub_i32 s8, s5, s6
	s_cmp_ge_u32 s5, s6
	s_cselect_b32 s3, s4, s3
	s_cselect_b32 s5, s8, s5
	s_add_i32 s4, s3, 1
	s_cmp_ge_u32 s5, s6
	s_cselect_b32 s10, s4, s3
.LBB48_7:
	s_mul_i32 s3, s10, s7
	s_mul_hi_u32 s4, s10, s6
	s_add_i32 s3, s4, s3
	s_mul_i32 s4, s11, s6
	s_add_i32 s3, s3, s4
	s_mul_i32 s4, s10, s6
	s_sub_u32 s33, s34, s4
	s_subb_u32 s3, s35, s3
	v_cmp_gt_i32_e32 vcc, s26, v0
	s_mul_hi_u32 s47, s10, s20
	s_mul_i32 s48, s11, s20
	s_mul_i32 s36, s10, s20
	s_mul_hi_u32 s46, s33, s21
	s_mul_i32 s11, s3, s21
	s_mul_i32 s34, s33, s21
	s_and_saveexec_b64 s[38:39], vcc
	s_cbranch_execz .LBB48_10
; %bb.8:
	s_mul_i32 s3, s2, s13
	s_mul_hi_u32 s4, s2, s12
	s_add_i32 s5, s4, s3
	s_mul_i32 s4, s2, s12
	s_ashr_i32 s27, s26, 31
	s_lshl_b64 s[4:5], s[4:5], 1
	s_add_u32 s12, s16, s4
	s_addc_u32 s13, s17, s5
	s_ashr_i32 s3, s20, 31
	s_mul_i32 s3, s10, s3
	s_add_i32 s3, s47, s3
	s_add_i32 s37, s3, s48
	s_ashr_i32 s3, s21, 31
	s_mul_i32 s3, s33, s3
	s_add_i32 s3, s46, s3
	s_add_i32 s35, s3, s11
	s_lshl_b64 s[6:7], s[36:37], 1
	s_lshl_b64 s[8:9], s[34:35], 1
	s_add_u32 s35, s6, s8
	s_addc_u32 s37, s7, s9
	s_load_dword s9, s[0:1], 0x8c
	s_add_u32 s3, s35, s24
	s_addc_u32 s8, s37, s25
	s_ashr_i32 s23, s22, 31
	s_lshl_b64 s[6:7], s[22:23], 1
	s_add_u32 s40, s3, s6
	s_addc_u32 s41, s8, s7
	s_waitcnt lgkmcnt(0)
	s_and_b32 s3, s9, 0xffff
	s_lshl_b64 s[8:9], s[30:31], 2
	s_add_u32 s8, s28, s8
	v_lshlrev_b32_e32 v2, 2, v0
	v_mov_b32_e32 v3, 0
	s_addc_u32 s9, s29, s9
	v_lshl_add_u64 v[4:5], s[8:9], 0, v[2:3]
	s_lshl_b32 s30, s3, 2
	s_lshl_b64 s[28:29], s[26:27], 2
	s_lshl_b64 s[8:9], s[26:27], 1
	s_add_u32 s4, s4, s8
	s_addc_u32 s5, s5, s9
	s_add_u32 s16, s16, s4
	s_addc_u32 s17, s17, s5
	s_lshl_b32 s23, s3, 1
	s_add_u32 s4, s35, s8
	s_addc_u32 s5, s37, s9
	s_add_u32 s4, s4, s6
	s_addc_u32 s5, s5, s7
	s_add_u32 s42, s24, s4
	s_mov_b32 s31, 0
	v_lshlrev_b32_e32 v2, 1, v0
	s_addc_u32 s43, s25, s5
	s_mov_b64 s[44:45], 0
	s_movk_i32 s27, 0x7fff
	v_mov_b32_e32 v1, 0x7fc00000
	v_mov_b32_e32 v10, 0x7fc0
	;; [unrolled: 1-line block ×3, first 2 shown]
.LBB48_9:                               ; =>This Inner Loop Header: Depth=1
	global_load_dword v20, v[4:5], off
	v_lshl_add_u64 v[12:13], v[4:5], 0, s[28:29]
	v_lshl_add_u64 v[6:7], s[12:13], 0, v[2:3]
	;; [unrolled: 1-line block ×3, first 2 shown]
	global_load_dword v21, v[12:13], off
	global_load_ushort v16, v[6:7], off
	global_load_ushort v18, v[8:9], off
	s_add_u32 s16, s16, s23
	s_addc_u32 s17, s17, 0
	s_add_u32 s12, s12, s23
	s_addc_u32 s13, s13, 0
	v_lshl_add_u64 v[14:15], s[42:43], 0, v[2:3]
	s_add_u32 s42, s42, s23
	s_addc_u32 s43, s43, 0
	v_lshl_add_u64 v[12:13], s[40:41], 0, v[2:3]
	v_add_u32_e32 v11, s3, v11
	s_add_u32 s40, s40, s23
	v_cmp_le_i32_e32 vcc, s26, v11
	s_addc_u32 s41, s41, 0
	s_or_b64 s[44:45], vcc, s[44:45]
	v_lshl_add_u64 v[4:5], v[4:5], 0, s[30:31]
	s_waitcnt vmcnt(3)
	v_bfe_u32 v17, v20, 16, 1
	v_add3_u32 v22, v20, v17, s27
	s_waitcnt vmcnt(2)
	v_bfe_u32 v19, v21, 16, 1
	v_add3_u32 v23, v21, v19, s27
	v_and_b32_e32 v22, 0xffff0000, v22
	v_cmp_o_f32_e32 vcc, v20, v20
	s_waitcnt vmcnt(1)
	v_lshlrev_b32_e32 v17, 16, v16
	s_waitcnt vmcnt(0)
	v_lshlrev_b32_e32 v16, 16, v18
	v_and_b32_e32 v23, 0xffff0000, v23
	v_cndmask_b32_e32 v20, v1, v22, vcc
	v_cmp_o_f32_e32 vcc, v21, v21
	v_mov_b32_e32 v18, v17
	v_mov_b32_e32 v19, v16
	v_cndmask_b32_e32 v21, v1, v23, vcc
	v_pk_mul_f32 v[18:19], v[20:21], v[18:19]
	v_pk_mul_f32 v[16:17], v[20:21], v[16:17]
	v_bfe_u32 v20, v18, 16, 1
	v_bfe_u32 v21, v19, 16, 1
	;; [unrolled: 1-line block ×4, first 2 shown]
	v_add3_u32 v21, v19, v21, s27
	v_add3_u32 v20, v18, v20, s27
	;; [unrolled: 1-line block ×4, first 2 shown]
	v_and_b32_e32 v20, 0xffff0000, v20
	v_and_b32_e32 v21, 0xffff0000, v21
	v_cmp_o_f32_e32 vcc, v18, v18
	v_cmp_o_f32_e64 s[8:9], v19, v19
	v_and_b32_e32 v18, 0xffff0000, v22
	v_and_b32_e32 v22, 0xffff0000, v23
	v_cmp_o_f32_e64 s[4:5], v17, v17
	v_cmp_o_f32_e64 s[6:7], v16, v16
	v_cndmask_b32_e64 v16, v1, v21, s[8:9]
	v_cndmask_b32_e32 v17, v1, v20, vcc
	v_cndmask_b32_e64 v19, v1, v22, s[4:5]
	v_cndmask_b32_e64 v18, v1, v18, s[6:7]
	v_sub_f32_e32 v16, v17, v16
	v_add_f32_e32 v17, v18, v19
	v_bfe_u32 v18, v16, 16, 1
	v_bfe_u32 v19, v17, 16, 1
	v_add3_u32 v18, v16, v18, s27
	v_add3_u32 v19, v17, v19, s27
	v_lshrrev_b32_e32 v18, 16, v18
	v_cmp_o_f32_e64 s[4:5], v16, v16
	v_lshrrev_b32_e32 v19, 16, v19
	v_cmp_o_f32_e32 vcc, v17, v17
	v_cndmask_b32_e64 v16, v10, v18, s[4:5]
	s_nop 0
	v_cndmask_b32_e32 v17, v10, v19, vcc
	global_store_short v[6:7], v16, off
	global_store_short v[8:9], v17, off
	;; [unrolled: 1-line block ×4, first 2 shown]
	s_andn2_b64 exec, exec, s[44:45]
	s_cbranch_execnz .LBB48_9
.LBB48_10:
	s_or_b64 exec, exec, s[38:39]
	v_cmp_gt_i32_e32 vcc, s22, v0
	s_and_saveexec_b64 s[4:5], vcc
	s_cbranch_execz .LBB48_13
; %bb.11:
	s_mul_i32 s3, s2, s15
	s_mul_hi_u32 s4, s2, s14
	s_add_i32 s3, s4, s3
	s_mul_i32 s2, s2, s14
	s_lshl_b64 s[2:3], s[2:3], 1
	s_add_u32 s2, s18, s2
	s_addc_u32 s3, s19, s3
	s_ashr_i32 s4, s20, 31
	s_mul_i32 s4, s10, s4
	s_add_i32 s4, s47, s4
	s_add_i32 s37, s4, s48
	s_lshl_b64 s[4:5], s[36:37], 1
	s_add_u32 s4, s24, s4
	s_addc_u32 s5, s25, s5
	s_ashr_i32 s6, s21, 31
	s_mul_i32 s33, s33, s6
	s_load_dword s7, s[0:1], 0x8c
	s_add_i32 s6, s46, s33
	s_add_i32 s35, s6, s11
	s_lshl_b64 s[0:1], s[34:35], 1
	s_add_u32 s0, s4, s0
	s_addc_u32 s1, s5, s1
	s_waitcnt lgkmcnt(0)
	s_and_b32 s6, s7, 0xffff
	s_mov_b64 s[4:5], 0
.LBB48_12:                              ; =>This Inner Loop Header: Depth=1
	v_ashrrev_i32_e32 v1, 31, v0
	v_lshlrev_b64 v[2:3], 1, v[0:1]
	v_lshl_add_u64 v[4:5], s[2:3], 0, v[2:3]
	global_load_ushort v1, v[4:5], off
	v_add_u32_e32 v0, s6, v0
	v_cmp_le_i32_e32 vcc, s22, v0
	v_lshl_add_u64 v[2:3], s[0:1], 0, v[2:3]
	s_or_b64 s[4:5], vcc, s[4:5]
	s_waitcnt vmcnt(0)
	global_store_short v[2:3], v1, off
	s_andn2_b64 exec, exec, s[4:5]
	s_cbranch_execnz .LBB48_12
.LBB48_13:
	s_endpgm
.LBB48_14:
                                        ; implicit-def: $sgpr10_sgpr11
	s_branch .LBB48_6
	.section	.rodata,"a",@progbits
	.p2align	6, 0x0
	.amdhsa_kernel _ZN4vllm38concat_and_cache_mla_rope_fused_kernelIN3c108BFloat16EfLb1E14__hip_bfloat16S3_LNS_18Fp8KVCacheDataTypeE0EEEvPKlPT_S8_PKS7_PKT0_illlliPT3_S6_iiiiPKf
		.amdhsa_group_segment_fixed_size 0
		.amdhsa_private_segment_fixed_size 0
		.amdhsa_kernarg_size 384
		.amdhsa_user_sgpr_count 2
		.amdhsa_user_sgpr_dispatch_ptr 0
		.amdhsa_user_sgpr_queue_ptr 0
		.amdhsa_user_sgpr_kernarg_segment_ptr 1
		.amdhsa_user_sgpr_dispatch_id 0
		.amdhsa_user_sgpr_kernarg_preload_length 0
		.amdhsa_user_sgpr_kernarg_preload_offset 0
		.amdhsa_user_sgpr_private_segment_size 0
		.amdhsa_uses_dynamic_stack 0
		.amdhsa_enable_private_segment 0
		.amdhsa_system_sgpr_workgroup_id_x 1
		.amdhsa_system_sgpr_workgroup_id_y 0
		.amdhsa_system_sgpr_workgroup_id_z 0
		.amdhsa_system_sgpr_workgroup_info 0
		.amdhsa_system_vgpr_workitem_id 0
		.amdhsa_next_free_vgpr 24
		.amdhsa_next_free_sgpr 49
		.amdhsa_accum_offset 24
		.amdhsa_reserve_vcc 1
		.amdhsa_float_round_mode_32 0
		.amdhsa_float_round_mode_16_64 0
		.amdhsa_float_denorm_mode_32 3
		.amdhsa_float_denorm_mode_16_64 3
		.amdhsa_dx10_clamp 1
		.amdhsa_ieee_mode 1
		.amdhsa_fp16_overflow 0
		.amdhsa_tg_split 0
		.amdhsa_exception_fp_ieee_invalid_op 0
		.amdhsa_exception_fp_denorm_src 0
		.amdhsa_exception_fp_ieee_div_zero 0
		.amdhsa_exception_fp_ieee_overflow 0
		.amdhsa_exception_fp_ieee_underflow 0
		.amdhsa_exception_fp_ieee_inexact 0
		.amdhsa_exception_int_div_zero 0
	.end_amdhsa_kernel
	.section	.text._ZN4vllm38concat_and_cache_mla_rope_fused_kernelIN3c108BFloat16EfLb1E14__hip_bfloat16S3_LNS_18Fp8KVCacheDataTypeE0EEEvPKlPT_S8_PKS7_PKT0_illlliPT3_S6_iiiiPKf,"axG",@progbits,_ZN4vllm38concat_and_cache_mla_rope_fused_kernelIN3c108BFloat16EfLb1E14__hip_bfloat16S3_LNS_18Fp8KVCacheDataTypeE0EEEvPKlPT_S8_PKS7_PKT0_illlliPT3_S6_iiiiPKf,comdat
.Lfunc_end48:
	.size	_ZN4vllm38concat_and_cache_mla_rope_fused_kernelIN3c108BFloat16EfLb1E14__hip_bfloat16S3_LNS_18Fp8KVCacheDataTypeE0EEEvPKlPT_S8_PKS7_PKT0_illlliPT3_S6_iiiiPKf, .Lfunc_end48-_ZN4vllm38concat_and_cache_mla_rope_fused_kernelIN3c108BFloat16EfLb1E14__hip_bfloat16S3_LNS_18Fp8KVCacheDataTypeE0EEEvPKlPT_S8_PKS7_PKT0_illlliPT3_S6_iiiiPKf
                                        ; -- End function
	.section	.AMDGPU.csdata,"",@progbits
; Kernel info:
; codeLenInByte = 2620
; NumSgprs: 55
; NumVgprs: 24
; NumAgprs: 0
; TotalNumVgprs: 24
; ScratchSize: 0
; MemoryBound: 0
; FloatMode: 240
; IeeeMode: 1
; LDSByteSize: 0 bytes/workgroup (compile time only)
; SGPRBlocks: 6
; VGPRBlocks: 2
; NumSGPRsForWavesPerEU: 55
; NumVGPRsForWavesPerEU: 24
; AccumOffset: 24
; Occupancy: 8
; WaveLimiterHint : 1
; COMPUTE_PGM_RSRC2:SCRATCH_EN: 0
; COMPUTE_PGM_RSRC2:USER_SGPR: 2
; COMPUTE_PGM_RSRC2:TRAP_HANDLER: 0
; COMPUTE_PGM_RSRC2:TGID_X_EN: 1
; COMPUTE_PGM_RSRC2:TGID_Y_EN: 0
; COMPUTE_PGM_RSRC2:TGID_Z_EN: 0
; COMPUTE_PGM_RSRC2:TIDIG_COMP_CNT: 0
; COMPUTE_PGM_RSRC3_GFX90A:ACCUM_OFFSET: 5
; COMPUTE_PGM_RSRC3_GFX90A:TG_SPLIT: 0
	.section	.text._ZN4vllm38concat_and_cache_mla_rope_fused_kernelIN3c108BFloat16EfLb0E14__hip_bfloat16S3_LNS_18Fp8KVCacheDataTypeE0EEEvPKlPT_S8_PKS7_PKT0_illlliPT3_S6_iiiiPKf,"axG",@progbits,_ZN4vllm38concat_and_cache_mla_rope_fused_kernelIN3c108BFloat16EfLb0E14__hip_bfloat16S3_LNS_18Fp8KVCacheDataTypeE0EEEvPKlPT_S8_PKS7_PKT0_illlliPT3_S6_iiiiPKf,comdat
	.protected	_ZN4vllm38concat_and_cache_mla_rope_fused_kernelIN3c108BFloat16EfLb0E14__hip_bfloat16S3_LNS_18Fp8KVCacheDataTypeE0EEEvPKlPT_S8_PKS7_PKT0_illlliPT3_S6_iiiiPKf ; -- Begin function _ZN4vllm38concat_and_cache_mla_rope_fused_kernelIN3c108BFloat16EfLb0E14__hip_bfloat16S3_LNS_18Fp8KVCacheDataTypeE0EEEvPKlPT_S8_PKS7_PKT0_illlliPT3_S6_iiiiPKf
	.globl	_ZN4vllm38concat_and_cache_mla_rope_fused_kernelIN3c108BFloat16EfLb0E14__hip_bfloat16S3_LNS_18Fp8KVCacheDataTypeE0EEEvPKlPT_S8_PKS7_PKT0_illlliPT3_S6_iiiiPKf
	.p2align	8
	.type	_ZN4vllm38concat_and_cache_mla_rope_fused_kernelIN3c108BFloat16EfLb0E14__hip_bfloat16S3_LNS_18Fp8KVCacheDataTypeE0EEEvPKlPT_S8_PKS7_PKT0_illlliPT3_S6_iiiiPKf,@function
_ZN4vllm38concat_and_cache_mla_rope_fused_kernelIN3c108BFloat16EfLb0E14__hip_bfloat16S3_LNS_18Fp8KVCacheDataTypeE0EEEvPKlPT_S8_PKS7_PKT0_illlliPT3_S6_iiiiPKf: ; @_ZN4vllm38concat_and_cache_mla_rope_fused_kernelIN3c108BFloat16EfLb0E14__hip_bfloat16S3_LNS_18Fp8KVCacheDataTypeE0EEEvPKlPT_S8_PKS7_PKT0_illlliPT3_S6_iiiiPKf
; %bb.0:
	s_load_dwordx2 s[6:7], s[0:1], 0x60
	s_mov_b32 s3, 0
	s_lshl_b64 s[4:5], s[2:3], 3
	s_waitcnt lgkmcnt(0)
	s_add_u32 s6, s6, s4
	s_addc_u32 s7, s7, s5
	s_load_dwordx2 s[26:27], s[6:7], 0x0
	s_waitcnt lgkmcnt(0)
	v_cmp_lt_i64_e64 s[6:7], s[26:27], 0
	s_and_b64 vcc, exec, s[6:7]
	s_cbranch_vccnz .LBB49_13
; %bb.1:
	s_load_dword s3, s[0:1], 0x28
	s_load_dwordx2 s[6:7], s[0:1], 0x0
	s_load_dwordx4 s[12:15], s[0:1], 0x10
	s_waitcnt lgkmcnt(0)
	s_ashr_i32 s22, s3, 31
	s_add_u32 s16, s6, s4
	s_addc_u32 s17, s7, s5
	s_load_dwordx2 s[18:19], s[16:17], 0x0
	s_load_dwordx2 s[24:25], s[0:1], 0x20
	s_load_dwordx8 s[4:11], s[0:1], 0x30
	s_load_dwordx2 s[20:21], s[0:1], 0x58
	s_load_dword s23, s[0:1], 0x50
	s_waitcnt lgkmcnt(0)
	s_mul_i32 s16, s18, s22
	s_mul_hi_u32 s17, s18, s3
	s_mul_i32 s19, s19, s3
	s_add_i32 s16, s17, s16
	s_add_i32 s29, s16, s19
	s_lshr_b32 s16, s3, 31
	s_mul_i32 s28, s18, s3
	s_add_i32 s3, s3, s16
	s_ashr_i32 s22, s3, 1
	s_mul_i32 s3, s22, s23
	v_cmp_gt_i32_e32 vcc, s3, v0
	s_and_saveexec_b64 s[16:17], vcc
	s_cbranch_execz .LBB49_4
; %bb.2:
	s_load_dwordx2 s[30:31], s[0:1], 0x8
	s_load_dword s34, s[0:1], 0x8c
	s_lshl_b64 s[18:19], s[28:29], 2
	s_add_u32 s18, s24, s18
	s_mul_i32 s5, s2, s5
	s_mul_hi_u32 s33, s2, s4
	s_addc_u32 s19, s25, s19
	s_add_i32 s5, s33, s5
	s_mul_i32 s4, s2, s4
	s_ashr_i32 s23, s22, 31
	s_lshl_b64 s[4:5], s[4:5], 1
	s_waitcnt lgkmcnt(0)
	s_add_u32 s30, s30, s4
	s_addc_u32 s31, s31, s5
	s_abs_i32 s33, s22
	v_cvt_f32_u32_e32 v1, s33
	s_sub_i32 s4, 0, s33
	s_and_b32 s36, s34, 0xffff
	s_sub_i32 s37, 0, s22
	v_rcp_iflag_f32_e32 v1, v1
	s_lshl_b32 s39, s36, 1
	s_mov_b64 s[34:35], 0
	s_movk_i32 s40, 0x7fff
	v_mul_f32_e32 v1, 0x4f7ffffe, v1
	v_cvt_u32_f32_e32 v1, v1
	v_mov_b32_e32 v3, 0x7fc00000
	v_mov_b32_e32 v5, 0x7fc0
	s_mov_b32 s41, 0x5040100
	v_mul_lo_u32 v2, s4, v1
	v_mul_hi_u32 v2, v1, v2
	s_lshl_b32 s4, s22, 1
	v_add_u32_e32 v1, v1, v2
	s_sub_i32 s38, 0, s4
	v_lshlrev_b32_e32 v2, 1, v0
	v_mov_b32_e32 v4, v0
.LBB49_3:                               ; =>This Inner Loop Header: Depth=1
	v_sub_u32_e32 v7, 0, v4
	v_max_i32_e32 v7, v4, v7
	v_mul_hi_u32 v8, v7, v1
	v_mul_lo_u32 v9, v8, s33
	v_sub_u32_e32 v7, v7, v9
	v_add_u32_e32 v10, 1, v8
	v_cmp_le_u32_e32 vcc, s33, v7
	v_subrev_u32_e32 v9, s33, v7
	v_ashrrev_i32_e32 v6, 31, v4
	v_cndmask_b32_e32 v8, v8, v10, vcc
	v_cndmask_b32_e32 v7, v7, v9, vcc
	v_add_u32_e32 v9, 1, v8
	v_cmp_le_u32_e32 vcc, s33, v7
	v_xor_b32_e32 v6, s23, v6
	s_nop 0
	v_cndmask_b32_e32 v7, v8, v9, vcc
	v_xor_b32_e32 v7, v7, v6
	v_sub_u32_e32 v10, v7, v6
	v_mad_u64_u32 v[6:7], s[4:5], s37, v10, v[4:5]
	v_ashrrev_i32_e32 v12, 31, v10
	v_ashrrev_i32_e32 v7, 31, v6
	v_mul_lo_u32 v13, v10, s7
	v_mad_u64_u32 v[8:9], s[4:5], v10, s6, 0
	v_mul_lo_u32 v12, v12, s6
	v_lshl_add_u64 v[6:7], v[6:7], 2, s[18:19]
	v_mad_u64_u32 v[10:11], s[4:5], s38, v10, v[2:3]
	v_add3_u32 v9, v9, v13, v12
	v_lshl_add_u64 v[12:13], s[22:23], 2, v[6:7]
	global_load_dword v14, v[6:7], off
	v_ashrrev_i32_e32 v11, 31, v10
	global_load_dword v12, v[12:13], off
	v_lshl_add_u64 v[6:7], v[8:9], 1, s[30:31]
	v_lshl_add_u64 v[6:7], v[10:11], 1, v[6:7]
	global_load_dword v8, v[6:7], off
	v_add_u32_e32 v4, s36, v4
	v_cmp_le_i32_e32 vcc, s3, v4
	s_or_b64 s[34:35], vcc, s[34:35]
	v_add_u32_e32 v2, s39, v2
	s_waitcnt vmcnt(2)
	v_bfe_u32 v9, v14, 16, 1
	v_add3_u32 v9, v14, v9, s40
	s_waitcnt vmcnt(1)
	v_bfe_u32 v10, v12, 16, 1
	v_and_b32_e32 v11, 0xffff0000, v9
	v_add3_u32 v10, v12, v10, s40
	v_cmp_o_f32_e32 vcc, v14, v14
	s_waitcnt vmcnt(0)
	v_and_b32_e32 v9, 0xffff0000, v8
	v_lshlrev_b32_e32 v8, 16, v8
	v_and_b32_e32 v13, 0xffff0000, v10
	v_cndmask_b32_e32 v10, v3, v11, vcc
	v_cmp_o_f32_e32 vcc, v12, v12
	v_pk_mul_f32 v[10:11], v[10:11], v[8:9] op_sel_hi:[0,1]
	v_bfe_u32 v14, v11, 16, 1
	v_cndmask_b32_e32 v12, v3, v13, vcc
	v_bfe_u32 v13, v10, 16, 1
	v_pk_mul_f32 v[8:9], v[12:13], v[8:9] op_sel_hi:[0,1]
	v_add3_u32 v12, v11, v14, s40
	v_add3_u32 v13, v10, v13, s40
	v_bfe_u32 v14, v9, 16, 1
	v_bfe_u32 v15, v8, 16, 1
	v_and_b32_e32 v13, 0xffff0000, v13
	v_and_b32_e32 v12, 0xffff0000, v12
	v_add3_u32 v15, v8, v15, s40
	v_add3_u32 v14, v9, v14, s40
	v_cmp_o_f32_e32 vcc, v10, v10
	v_cmp_o_f32_e64 s[4:5], v11, v11
	v_and_b32_e32 v14, 0xffff0000, v14
	v_and_b32_e32 v15, 0xffff0000, v15
	v_cndmask_b32_e64 v11, v3, v12, s[4:5]
	v_cndmask_b32_e32 v10, v3, v13, vcc
	v_cmp_o_f32_e32 vcc, v9, v9
	v_cmp_o_f32_e64 s[4:5], v8, v8
	s_nop 0
	v_cndmask_b32_e32 v8, v3, v14, vcc
	v_cndmask_b32_e64 v9, v3, v15, s[4:5]
	v_pk_add_f32 v[12:13], v[10:11], v[8:9] neg_lo:[0,1] neg_hi:[0,1]
	v_pk_add_f32 v[8:9], v[10:11], v[8:9]
	v_cmp_o_f32_e64 s[4:5], v12, v12
	v_bfe_u32 v8, v12, 16, 1
	v_bfe_u32 v10, v9, 16, 1
	v_add3_u32 v10, v9, v10, s40
	v_add3_u32 v8, v12, v8, s40
	v_lshrrev_b32_e32 v8, 16, v8
	v_lshrrev_b32_e32 v10, 16, v10
	v_cmp_o_f32_e32 vcc, v9, v9
	v_cndmask_b32_e64 v8, v5, v8, s[4:5]
	s_nop 0
	v_cndmask_b32_e32 v9, v5, v10, vcc
	v_perm_b32 v8, v9, v8, s41
	global_store_dword v[6:7], v8, off
	s_andn2_b64 exec, exec, s[34:35]
	s_cbranch_execnz .LBB49_3
.LBB49_4:
	s_or_b64 exec, exec, s[16:17]
	s_load_dwordx4 s[16:19], s[0:1], 0x68
	s_waitcnt lgkmcnt(0)
	s_ashr_i32 s7, s19, 31
	s_mov_b32 s6, s19
	s_or_b64 s[4:5], s[26:27], s[6:7]
	s_mov_b32 s4, 0
	s_cmp_lg_u64 s[4:5], 0
	s_cbranch_scc0 .LBB49_14
; %bb.5:
	s_add_u32 s4, s6, s7
	s_mov_b32 s30, s7
	s_mov_b32 s31, s7
	s_addc_u32 s5, s7, s7
	s_xor_b64 s[36:37], s[4:5], s[30:31]
	v_cvt_f32_u32_e32 v1, s36
	v_cvt_f32_u32_e32 v2, s37
	s_sub_u32 s3, 0, s36
	s_subb_u32 s4, 0, s37
	v_fmamk_f32 v1, v2, 0x4f800000, v1
	v_rcp_f32_e32 v1, v1
	s_nop 0
	v_mul_f32_e32 v1, 0x5f7ffffc, v1
	v_mul_f32_e32 v2, 0x2f800000, v1
	v_trunc_f32_e32 v2, v2
	v_fmamk_f32 v1, v2, 0xcf800000, v1
	v_cvt_u32_f32_e32 v2, v2
	v_cvt_u32_f32_e32 v1, v1
	v_readfirstlane_b32 s5, v2
	v_readfirstlane_b32 s19, v1
	s_mul_i32 s23, s3, s5
	s_mul_hi_u32 s38, s3, s19
	s_mul_i32 s33, s4, s19
	s_add_i32 s23, s38, s23
	s_add_i32 s23, s23, s33
	s_mul_i32 s39, s3, s19
	s_mul_hi_u32 s33, s19, s23
	s_mul_i32 s38, s19, s23
	s_mul_hi_u32 s19, s19, s39
	s_add_u32 s19, s19, s38
	s_addc_u32 s33, 0, s33
	s_mul_hi_u32 s40, s5, s39
	s_mul_i32 s39, s5, s39
	s_add_u32 s19, s19, s39
	s_mul_hi_u32 s38, s5, s23
	s_addc_u32 s19, s33, s40
	s_addc_u32 s33, s38, 0
	s_mul_i32 s23, s5, s23
	s_add_u32 s19, s19, s23
	s_addc_u32 s23, 0, s33
	v_add_co_u32_e32 v1, vcc, s19, v1
	s_cmp_lg_u64 vcc, 0
	s_addc_u32 s5, s5, s23
	v_readfirstlane_b32 s23, v1
	s_mul_i32 s19, s3, s5
	s_mul_hi_u32 s33, s3, s23
	s_add_i32 s19, s33, s19
	s_mul_i32 s4, s4, s23
	s_add_i32 s19, s19, s4
	s_mul_i32 s3, s3, s23
	s_mul_hi_u32 s33, s5, s3
	s_mul_i32 s38, s5, s3
	s_mul_i32 s40, s23, s19
	s_mul_hi_u32 s3, s23, s3
	s_mul_hi_u32 s39, s23, s19
	s_add_u32 s3, s3, s40
	s_addc_u32 s23, 0, s39
	s_add_u32 s3, s3, s38
	s_mul_hi_u32 s4, s5, s19
	s_addc_u32 s3, s23, s33
	s_addc_u32 s4, s4, 0
	s_mul_i32 s19, s5, s19
	s_add_u32 s3, s3, s19
	s_addc_u32 s4, 0, s4
	v_add_co_u32_e32 v1, vcc, s3, v1
	s_cmp_lg_u64 vcc, 0
	s_addc_u32 s3, s5, s4
	s_ashr_i32 s38, s27, 31
	s_add_u32 s4, s26, s38
	s_mov_b32 s39, s38
	s_addc_u32 s5, s27, s38
	s_xor_b64 s[40:41], s[4:5], s[38:39]
	v_readfirstlane_b32 s19, v1
	s_mul_i32 s5, s40, s3
	s_mul_hi_u32 s23, s40, s19
	s_mul_hi_u32 s4, s40, s3
	s_add_u32 s5, s23, s5
	s_addc_u32 s4, 0, s4
	s_mul_hi_u32 s33, s41, s19
	s_mul_i32 s19, s41, s19
	s_add_u32 s5, s5, s19
	s_mul_hi_u32 s23, s41, s3
	s_addc_u32 s4, s4, s33
	s_addc_u32 s5, s23, 0
	s_mul_i32 s3, s41, s3
	s_add_u32 s3, s4, s3
	s_addc_u32 s19, 0, s5
	s_mul_i32 s4, s36, s19
	s_mul_hi_u32 s5, s36, s3
	s_add_i32 s4, s5, s4
	s_mul_i32 s5, s37, s3
	s_add_i32 s23, s4, s5
	s_mul_i32 s5, s36, s3
	v_mov_b32_e32 v1, s5
	s_sub_i32 s4, s41, s23
	v_sub_co_u32_e32 v1, vcc, s40, v1
	s_cmp_lg_u64 vcc, 0
	s_subb_u32 s33, s4, s37
	v_subrev_co_u32_e64 v2, s[4:5], s36, v1
	s_cmp_lg_u64 s[4:5], 0
	s_subb_u32 s4, s33, 0
	s_cmp_ge_u32 s4, s37
	v_readfirstlane_b32 s33, v2
	s_cselect_b32 s5, -1, 0
	s_cmp_ge_u32 s33, s36
	s_cselect_b32 s33, -1, 0
	s_cmp_eq_u32 s4, s37
	s_cselect_b32 s4, s33, s5
	s_add_u32 s5, s3, 1
	s_addc_u32 s33, s19, 0
	s_add_u32 s40, s3, 2
	s_addc_u32 s42, s19, 0
	s_cmp_lg_u32 s4, 0
	s_cselect_b32 s4, s40, s5
	s_cselect_b32 s5, s42, s33
	s_cmp_lg_u64 vcc, 0
	s_subb_u32 s23, s41, s23
	s_cmp_ge_u32 s23, s37
	v_readfirstlane_b32 s40, v1
	s_cselect_b32 s33, -1, 0
	s_cmp_ge_u32 s40, s36
	s_cselect_b32 s36, -1, 0
	s_cmp_eq_u32 s23, s37
	s_cselect_b32 s23, s36, s33
	s_cmp_lg_u32 s23, 0
	s_cselect_b32 s5, s5, s19
	s_cselect_b32 s4, s4, s3
	s_xor_b64 s[30:31], s[38:39], s[30:31]
	s_xor_b64 s[4:5], s[4:5], s[30:31]
	s_sub_u32 s30, s4, s30
	s_subb_u32 s31, s5, s31
	s_cbranch_execnz .LBB49_7
.LBB49_6:
	v_cvt_f32_u32_e32 v1, s6
	s_sub_i32 s3, 0, s6
	s_mov_b32 s31, 0
	v_rcp_iflag_f32_e32 v1, v1
	s_nop 0
	v_mul_f32_e32 v1, 0x4f7ffffe, v1
	v_cvt_u32_f32_e32 v1, v1
	s_nop 0
	v_readfirstlane_b32 s4, v1
	s_mul_i32 s3, s3, s4
	s_mul_hi_u32 s3, s4, s3
	s_add_i32 s4, s4, s3
	s_mul_hi_u32 s3, s26, s4
	s_mul_i32 s5, s3, s6
	s_sub_i32 s5, s26, s5
	s_add_i32 s4, s3, 1
	s_sub_i32 s19, s5, s6
	s_cmp_ge_u32 s5, s6
	s_cselect_b32 s3, s4, s3
	s_cselect_b32 s5, s19, s5
	s_add_i32 s4, s3, 1
	s_cmp_ge_u32 s5, s6
	s_cselect_b32 s30, s4, s3
.LBB49_7:
	s_mul_i32 s3, s30, s7
	s_mul_hi_u32 s4, s30, s6
	s_add_i32 s3, s4, s3
	s_mul_i32 s4, s31, s6
	s_add_i32 s3, s3, s4
	s_mul_i32 s4, s30, s6
	s_sub_u32 s33, s26, s4
	s_subb_u32 s3, s27, s3
	v_cmp_gt_i32_e32 vcc, s22, v0
	s_mul_hi_u32 s39, s30, s16
	s_mul_i32 s40, s31, s16
	s_mul_i32 s34, s30, s16
	s_mul_hi_u32 s38, s33, s17
	s_mul_i32 s31, s3, s17
	s_mul_i32 s26, s33, s17
	s_and_saveexec_b64 s[36:37], vcc
	s_cbranch_execz .LBB49_10
; %bb.8:
	s_load_dword s3, s[0:1], 0x8c
	s_ashr_i32 s23, s22, 31
	s_ashr_i32 s6, s16, 31
	;; [unrolled: 1-line block ×4, first 2 shown]
	s_waitcnt lgkmcnt(0)
	s_and_b32 s3, s3, 0xffff
	s_lshl_b64 s[4:5], s[28:29], 2
	s_add_u32 s4, s24, s4
	v_lshlrev_b32_e32 v8, 2, v0
	v_mov_b32_e32 v9, 0
	s_addc_u32 s5, s25, s5
	v_lshl_add_u64 v[2:3], s[4:5], 0, v[8:9]
	s_mul_i32 s4, s9, s2
	s_mul_hi_u32 s5, s8, s2
	s_add_i32 s5, s5, s4
	s_mul_i32 s4, s8, s2
	s_lshl_b32 s28, s3, 2
	s_lshl_b64 s[4:5], s[4:5], 1
	s_add_u32 s4, s12, s4
	s_addc_u32 s5, s13, s5
	v_lshl_add_u64 v[6:7], s[4:5], 0, v[8:9]
	s_mul_i32 s4, s30, s6
	s_mul_i32 s6, s33, s7
	s_add_i32 s4, s39, s4
	s_add_i32 s6, s38, s6
	;; [unrolled: 1-line block ×4, first 2 shown]
	s_lshl_b64 s[4:5], s[34:35], 1
	s_lshl_b64 s[6:7], s[26:27], 1
	s_add_u32 s6, s4, s6
	s_addc_u32 s7, s5, s7
	s_lshl_b64 s[4:5], s[18:19], 1
	s_add_u32 s4, s20, s4
	s_addc_u32 s5, s21, s5
	s_add_u32 s4, s4, s6
	s_addc_u32 s5, s5, s7
	v_lshl_add_u64 v[4:5], s[22:23], 2, v[2:3]
	v_lshl_add_u64 v[8:9], s[4:5], 0, v[8:9]
	s_mov_b64 s[12:13], 0
	s_movk_i32 s19, 0x7fff
	v_mov_b32_e32 v1, 0x7fc00000
	v_mov_b32_e32 v10, 0x7fc0
	s_mov_b32 s23, 0x5040100
	s_mov_b64 s[24:25], 0
	v_mov_b32_e32 v11, v0
.LBB49_9:                               ; =>This Inner Loop Header: Depth=1
	v_lshl_add_u64 v[12:13], v[2:3], 0, s[24:25]
	v_lshl_add_u64 v[14:15], v[4:5], 0, s[24:25]
	;; [unrolled: 1-line block ×3, first 2 shown]
	global_load_dword v18, v[12:13], off
	global_load_dword v19, v[14:15], off
	global_load_dword v20, v[16:17], off
	v_lshl_add_u64 v[12:13], v[8:9], 0, s[24:25]
	v_add_u32_e32 v11, s3, v11
	s_add_u32 s24, s24, s28
	s_addc_u32 s25, s25, 0
	v_cmp_le_i32_e32 vcc, s22, v11
	s_or_b64 s[12:13], vcc, s[12:13]
	s_waitcnt vmcnt(2)
	v_bfe_u32 v21, v18, 16, 1
	s_waitcnt vmcnt(1)
	v_bfe_u32 v22, v19, 16, 1
	s_waitcnt vmcnt(0)
	v_and_b32_e32 v15, 0xffff0000, v20
	v_lshlrev_b32_e32 v14, 16, v20
	v_add3_u32 v20, v18, v21, s19
	v_add3_u32 v21, v19, v22, s19
	v_and_b32_e32 v20, 0xffff0000, v20
	v_and_b32_e32 v21, 0xffff0000, v21
	v_cmp_o_f32_e32 vcc, v19, v19
	v_cmp_o_f32_e64 s[4:5], v18, v18
	s_nop 1
	v_cndmask_b32_e64 v18, v1, v20, s[4:5]
	v_cndmask_b32_e32 v20, v1, v21, vcc
	v_pk_mul_f32 v[18:19], v[18:19], v[14:15] op_sel_hi:[0,1]
	v_pk_mul_f32 v[14:15], v[20:21], v[14:15] op_sel_hi:[0,1]
	v_bfe_u32 v20, v18, 16, 1
	v_bfe_u32 v21, v19, 16, 1
	;; [unrolled: 1-line block ×4, first 2 shown]
	v_add3_u32 v21, v19, v21, s19
	v_add3_u32 v20, v18, v20, s19
	;; [unrolled: 1-line block ×4, first 2 shown]
	v_and_b32_e32 v20, 0xffff0000, v20
	v_and_b32_e32 v21, 0xffff0000, v21
	v_and_b32_e32 v22, 0xffff0000, v22
	v_and_b32_e32 v23, 0xffff0000, v23
	v_cmp_o_f32_e32 vcc, v18, v18
	v_cmp_o_f32_e64 s[4:5], v14, v14
	v_cmp_o_f32_e64 s[6:7], v15, v15
	;; [unrolled: 1-line block ×3, first 2 shown]
	v_cndmask_b32_e32 v14, v1, v20, vcc
	v_cndmask_b32_e64 v19, v1, v23, s[4:5]
	v_cndmask_b32_e64 v15, v1, v21, s[8:9]
	v_cndmask_b32_e64 v18, v1, v22, s[6:7]
	v_pk_add_f32 v[20:21], v[14:15], v[18:19] neg_lo:[0,1] neg_hi:[0,1]
	v_pk_add_f32 v[14:15], v[14:15], v[18:19]
	v_cmp_o_f32_e64 s[4:5], v20, v20
	v_bfe_u32 v14, v20, 16, 1
	v_bfe_u32 v18, v15, 16, 1
	v_add3_u32 v18, v15, v18, s19
	v_add3_u32 v14, v20, v14, s19
	v_lshrrev_b32_e32 v14, 16, v14
	v_lshrrev_b32_e32 v18, 16, v18
	v_cmp_o_f32_e32 vcc, v15, v15
	v_cndmask_b32_e64 v14, v10, v14, s[4:5]
	s_nop 0
	v_cndmask_b32_e32 v15, v10, v18, vcc
	v_perm_b32 v14, v15, v14, s23
	global_store_dword v[16:17], v14, off
	global_store_dword v[12:13], v14, off
	s_andn2_b64 exec, exec, s[12:13]
	s_cbranch_execnz .LBB49_9
.LBB49_10:
	s_or_b64 exec, exec, s[36:37]
	v_cmp_gt_i32_e32 vcc, s18, v0
	s_and_saveexec_b64 s[4:5], vcc
	s_cbranch_execz .LBB49_13
; %bb.11:
	s_mul_i32 s3, s2, s11
	s_mul_hi_u32 s4, s2, s10
	s_add_i32 s3, s4, s3
	s_mul_i32 s2, s2, s10
	s_lshl_b64 s[2:3], s[2:3], 1
	s_add_u32 s2, s14, s2
	s_addc_u32 s3, s15, s3
	s_ashr_i32 s4, s16, 31
	s_mul_i32 s4, s30, s4
	s_add_i32 s4, s39, s4
	s_add_i32 s35, s4, s40
	s_lshl_b64 s[4:5], s[34:35], 1
	s_add_u32 s4, s20, s4
	s_addc_u32 s5, s21, s5
	s_ashr_i32 s6, s17, 31
	s_mul_i32 s33, s33, s6
	s_load_dword s7, s[0:1], 0x8c
	s_add_i32 s6, s38, s33
	s_add_i32 s27, s6, s31
	s_lshl_b64 s[0:1], s[26:27], 1
	s_add_u32 s0, s4, s0
	s_addc_u32 s1, s5, s1
	s_waitcnt lgkmcnt(0)
	s_and_b32 s6, s7, 0xffff
	s_mov_b64 s[4:5], 0
.LBB49_12:                              ; =>This Inner Loop Header: Depth=1
	v_ashrrev_i32_e32 v1, 31, v0
	v_lshlrev_b64 v[2:3], 1, v[0:1]
	v_lshl_add_u64 v[4:5], s[2:3], 0, v[2:3]
	global_load_ushort v1, v[4:5], off
	v_add_u32_e32 v0, s6, v0
	v_cmp_le_i32_e32 vcc, s18, v0
	v_lshl_add_u64 v[2:3], s[0:1], 0, v[2:3]
	s_or_b64 s[4:5], vcc, s[4:5]
	s_waitcnt vmcnt(0)
	global_store_short v[2:3], v1, off
	s_andn2_b64 exec, exec, s[4:5]
	s_cbranch_execnz .LBB49_12
.LBB49_13:
	s_endpgm
.LBB49_14:
                                        ; implicit-def: $sgpr30_sgpr31
	s_branch .LBB49_6
	.section	.rodata,"a",@progbits
	.p2align	6, 0x0
	.amdhsa_kernel _ZN4vllm38concat_and_cache_mla_rope_fused_kernelIN3c108BFloat16EfLb0E14__hip_bfloat16S3_LNS_18Fp8KVCacheDataTypeE0EEEvPKlPT_S8_PKS7_PKT0_illlliPT3_S6_iiiiPKf
		.amdhsa_group_segment_fixed_size 0
		.amdhsa_private_segment_fixed_size 0
		.amdhsa_kernarg_size 384
		.amdhsa_user_sgpr_count 2
		.amdhsa_user_sgpr_dispatch_ptr 0
		.amdhsa_user_sgpr_queue_ptr 0
		.amdhsa_user_sgpr_kernarg_segment_ptr 1
		.amdhsa_user_sgpr_dispatch_id 0
		.amdhsa_user_sgpr_kernarg_preload_length 0
		.amdhsa_user_sgpr_kernarg_preload_offset 0
		.amdhsa_user_sgpr_private_segment_size 0
		.amdhsa_uses_dynamic_stack 0
		.amdhsa_enable_private_segment 0
		.amdhsa_system_sgpr_workgroup_id_x 1
		.amdhsa_system_sgpr_workgroup_id_y 0
		.amdhsa_system_sgpr_workgroup_id_z 0
		.amdhsa_system_sgpr_workgroup_info 0
		.amdhsa_system_vgpr_workitem_id 0
		.amdhsa_next_free_vgpr 24
		.amdhsa_next_free_sgpr 43
		.amdhsa_accum_offset 24
		.amdhsa_reserve_vcc 1
		.amdhsa_float_round_mode_32 0
		.amdhsa_float_round_mode_16_64 0
		.amdhsa_float_denorm_mode_32 3
		.amdhsa_float_denorm_mode_16_64 3
		.amdhsa_dx10_clamp 1
		.amdhsa_ieee_mode 1
		.amdhsa_fp16_overflow 0
		.amdhsa_tg_split 0
		.amdhsa_exception_fp_ieee_invalid_op 0
		.amdhsa_exception_fp_denorm_src 0
		.amdhsa_exception_fp_ieee_div_zero 0
		.amdhsa_exception_fp_ieee_overflow 0
		.amdhsa_exception_fp_ieee_underflow 0
		.amdhsa_exception_fp_ieee_inexact 0
		.amdhsa_exception_int_div_zero 0
	.end_amdhsa_kernel
	.section	.text._ZN4vllm38concat_and_cache_mla_rope_fused_kernelIN3c108BFloat16EfLb0E14__hip_bfloat16S3_LNS_18Fp8KVCacheDataTypeE0EEEvPKlPT_S8_PKS7_PKT0_illlliPT3_S6_iiiiPKf,"axG",@progbits,_ZN4vllm38concat_and_cache_mla_rope_fused_kernelIN3c108BFloat16EfLb0E14__hip_bfloat16S3_LNS_18Fp8KVCacheDataTypeE0EEEvPKlPT_S8_PKS7_PKT0_illlliPT3_S6_iiiiPKf,comdat
.Lfunc_end49:
	.size	_ZN4vllm38concat_and_cache_mla_rope_fused_kernelIN3c108BFloat16EfLb0E14__hip_bfloat16S3_LNS_18Fp8KVCacheDataTypeE0EEEvPKlPT_S8_PKS7_PKT0_illlliPT3_S6_iiiiPKf, .Lfunc_end49-_ZN4vllm38concat_and_cache_mla_rope_fused_kernelIN3c108BFloat16EfLb0E14__hip_bfloat16S3_LNS_18Fp8KVCacheDataTypeE0EEEvPKlPT_S8_PKS7_PKT0_illlliPT3_S6_iiiiPKf
                                        ; -- End function
	.section	.AMDGPU.csdata,"",@progbits
; Kernel info:
; codeLenInByte = 2572
; NumSgprs: 49
; NumVgprs: 24
; NumAgprs: 0
; TotalNumVgprs: 24
; ScratchSize: 0
; MemoryBound: 0
; FloatMode: 240
; IeeeMode: 1
; LDSByteSize: 0 bytes/workgroup (compile time only)
; SGPRBlocks: 6
; VGPRBlocks: 2
; NumSGPRsForWavesPerEU: 49
; NumVGPRsForWavesPerEU: 24
; AccumOffset: 24
; Occupancy: 8
; WaveLimiterHint : 1
; COMPUTE_PGM_RSRC2:SCRATCH_EN: 0
; COMPUTE_PGM_RSRC2:USER_SGPR: 2
; COMPUTE_PGM_RSRC2:TRAP_HANDLER: 0
; COMPUTE_PGM_RSRC2:TGID_X_EN: 1
; COMPUTE_PGM_RSRC2:TGID_Y_EN: 0
; COMPUTE_PGM_RSRC2:TGID_Z_EN: 0
; COMPUTE_PGM_RSRC2:TIDIG_COMP_CNT: 0
; COMPUTE_PGM_RSRC3_GFX90A:ACCUM_OFFSET: 5
; COMPUTE_PGM_RSRC3_GFX90A:TG_SPLIT: 0
	.section	.text._ZN4vllm38concat_and_cache_mla_rope_fused_kernelIN3c108BFloat16ENS1_4HalfELb1E14__hip_bfloat16S4_LNS_18Fp8KVCacheDataTypeE0EEEvPKlPT_S9_PKS8_PKT0_illlliPT3_S7_iiiiPKf,"axG",@progbits,_ZN4vllm38concat_and_cache_mla_rope_fused_kernelIN3c108BFloat16ENS1_4HalfELb1E14__hip_bfloat16S4_LNS_18Fp8KVCacheDataTypeE0EEEvPKlPT_S9_PKS8_PKT0_illlliPT3_S7_iiiiPKf,comdat
	.protected	_ZN4vllm38concat_and_cache_mla_rope_fused_kernelIN3c108BFloat16ENS1_4HalfELb1E14__hip_bfloat16S4_LNS_18Fp8KVCacheDataTypeE0EEEvPKlPT_S9_PKS8_PKT0_illlliPT3_S7_iiiiPKf ; -- Begin function _ZN4vllm38concat_and_cache_mla_rope_fused_kernelIN3c108BFloat16ENS1_4HalfELb1E14__hip_bfloat16S4_LNS_18Fp8KVCacheDataTypeE0EEEvPKlPT_S9_PKS8_PKT0_illlliPT3_S7_iiiiPKf
	.globl	_ZN4vllm38concat_and_cache_mla_rope_fused_kernelIN3c108BFloat16ENS1_4HalfELb1E14__hip_bfloat16S4_LNS_18Fp8KVCacheDataTypeE0EEEvPKlPT_S9_PKS8_PKT0_illlliPT3_S7_iiiiPKf
	.p2align	8
	.type	_ZN4vllm38concat_and_cache_mla_rope_fused_kernelIN3c108BFloat16ENS1_4HalfELb1E14__hip_bfloat16S4_LNS_18Fp8KVCacheDataTypeE0EEEvPKlPT_S9_PKS8_PKT0_illlliPT3_S7_iiiiPKf,@function
_ZN4vllm38concat_and_cache_mla_rope_fused_kernelIN3c108BFloat16ENS1_4HalfELb1E14__hip_bfloat16S4_LNS_18Fp8KVCacheDataTypeE0EEEvPKlPT_S9_PKS8_PKT0_illlliPT3_S7_iiiiPKf: ; @_ZN4vllm38concat_and_cache_mla_rope_fused_kernelIN3c108BFloat16ENS1_4HalfELb1E14__hip_bfloat16S4_LNS_18Fp8KVCacheDataTypeE0EEEvPKlPT_S9_PKS8_PKT0_illlliPT3_S7_iiiiPKf
; %bb.0:
	s_load_dwordx2 s[6:7], s[0:1], 0x60
	s_mov_b32 s3, 0
	s_lshl_b64 s[4:5], s[2:3], 3
	s_waitcnt lgkmcnt(0)
	s_add_u32 s6, s6, s4
	s_addc_u32 s7, s7, s5
	s_load_dwordx2 s[36:37], s[6:7], 0x0
	s_waitcnt lgkmcnt(0)
	v_cmp_lt_i64_e64 s[6:7], s[36:37], 0
	s_and_b64 vcc, exec, s[6:7]
	s_cbranch_vccnz .LBB50_13
; %bb.1:
	s_load_dword s3, s[0:1], 0x28
	s_load_dwordx2 s[6:7], s[0:1], 0x0
	s_load_dwordx4 s[16:19], s[0:1], 0x10
	s_waitcnt lgkmcnt(0)
	s_ashr_i32 s20, s3, 31
	s_add_u32 s4, s6, s4
	s_addc_u32 s5, s7, s5
	s_load_dwordx2 s[6:7], s[4:5], 0x0
	s_load_dwordx2 s[30:31], s[0:1], 0x20
	s_load_dwordx8 s[8:15], s[0:1], 0x30
	s_load_dwordx2 s[24:25], s[0:1], 0x58
	s_load_dword s21, s[0:1], 0x50
	s_waitcnt lgkmcnt(0)
	s_mul_i32 s4, s6, s20
	s_mul_hi_u32 s5, s6, s3
	s_mul_i32 s7, s7, s3
	s_add_i32 s4, s5, s4
	s_add_i32 s5, s4, s7
	s_mul_i32 s4, s6, s3
	s_lshl_b64 s[34:35], s[4:5], 1
	s_add_u32 s26, s30, s34
	s_addc_u32 s27, s31, s35
	s_lshr_b32 s4, s3, 31
	s_add_i32 s3, s3, s4
	s_ashr_i32 s28, s3, 1
	s_mul_i32 s3, s28, s21
	v_cmp_gt_i32_e32 vcc, s3, v0
	s_and_saveexec_b64 s[20:21], vcc
	s_cbranch_execz .LBB50_4
; %bb.2:
	s_load_dwordx2 s[4:5], s[0:1], 0x8
	s_mul_i32 s6, s2, s9
	s_mul_hi_u32 s7, s2, s8
	s_add_i32 s7, s7, s6
	s_mul_i32 s6, s2, s8
	s_load_dword s8, s[0:1], 0x8c
	s_ashr_i32 s29, s28, 31
	s_lshl_b64 s[6:7], s[6:7], 1
	s_waitcnt lgkmcnt(0)
	s_add_u32 s22, s4, s6
	s_addc_u32 s23, s5, s7
	s_abs_i32 s33, s28
	v_cvt_f32_u32_e32 v1, s33
	s_sub_i32 s4, 0, s33
	s_mov_b64 s[38:39], 0
	s_and_b32 s42, s8, 0xffff
	v_rcp_iflag_f32_e32 v1, v1
	s_sub_i32 s43, 0, s28
	s_lshl_b64 s[40:41], s[28:29], 1
	s_movk_i32 s44, 0x7fff
	v_mul_f32_e32 v1, 0x4f7ffffe, v1
	v_cvt_u32_f32_e32 v1, v1
	v_mov_b32_e32 v3, 0x7fc00000
	v_mov_b32_e32 v4, 0x7fc0
	v_mul_lo_u32 v2, s4, v1
	v_mul_hi_u32 v2, v1, v2
	v_add_u32_e32 v1, v1, v2
	v_mov_b32_e32 v2, v0
.LBB50_3:                               ; =>This Inner Loop Header: Depth=1
	v_sub_u32_e32 v6, 0, v2
	v_max_i32_e32 v6, v2, v6
	v_mul_hi_u32 v7, v6, v1
	v_mul_lo_u32 v8, v7, s33
	v_sub_u32_e32 v6, v6, v8
	v_add_u32_e32 v9, 1, v7
	v_cmp_le_u32_e32 vcc, s33, v6
	v_subrev_u32_e32 v8, s33, v6
	v_ashrrev_i32_e32 v5, 31, v2
	v_cndmask_b32_e32 v7, v7, v9, vcc
	v_cndmask_b32_e32 v6, v6, v8, vcc
	v_add_u32_e32 v8, 1, v7
	v_cmp_le_u32_e32 vcc, s33, v6
	v_xor_b32_e32 v5, s29, v5
	s_nop 0
	v_cndmask_b32_e32 v6, v7, v8, vcc
	v_xor_b32_e32 v6, v6, v5
	v_sub_u32_e32 v5, v6, v5
	v_mad_u64_u32 v[6:7], s[4:5], s43, v5, v[2:3]
	v_ashrrev_i32_e32 v10, 31, v5
	v_ashrrev_i32_e32 v7, 31, v6
	v_mul_lo_u32 v11, v5, s11
	v_mad_u64_u32 v[8:9], s[4:5], v5, s10, 0
	v_mul_lo_u32 v5, v10, s10
	v_lshlrev_b64 v[6:7], 1, v[6:7]
	v_add3_u32 v9, v9, v11, v5
	v_lshl_add_u64 v[10:11], s[26:27], 0, v[6:7]
	v_lshl_add_u64 v[12:13], v[10:11], 0, s[40:41]
	global_load_ushort v5, v[10:11], off
	global_load_ushort v15, v[12:13], off
	v_lshl_add_u64 v[8:9], v[8:9], 1, s[22:23]
	v_lshl_add_u64 v[6:7], v[8:9], 0, v[6:7]
	;; [unrolled: 1-line block ×3, first 2 shown]
	global_load_ushort v10, v[6:7], off
	global_load_ushort v12, v[8:9], off
	v_add_u32_e32 v2, s42, v2
	v_cmp_le_i32_e32 vcc, s3, v2
	s_or_b64 s[38:39], vcc, s[38:39]
	s_waitcnt vmcnt(3)
	v_cvt_f32_f16_e32 v14, v5
	s_waitcnt vmcnt(2)
	v_cvt_f32_f16_e32 v16, v15
	v_cmp_o_f16_e32 vcc, v5, v5
	v_bfe_u32 v17, v14, 16, 1
	v_bfe_u32 v18, v16, 16, 1
	v_add3_u32 v14, v14, v17, s44
	v_add3_u32 v16, v16, v18, s44
	v_and_b32_e32 v14, 0xffff0000, v14
	s_waitcnt vmcnt(1)
	v_lshlrev_b32_e32 v11, 16, v10
	s_waitcnt vmcnt(0)
	v_lshlrev_b32_e32 v10, 16, v12
	v_and_b32_e32 v5, 0xffff0000, v16
	v_cndmask_b32_e32 v14, v3, v14, vcc
	v_cmp_o_f16_e32 vcc, v15, v15
	v_mov_b32_e32 v12, v11
	v_mov_b32_e32 v13, v10
	v_cndmask_b32_e32 v15, v3, v5, vcc
	v_pk_mul_f32 v[12:13], v[14:15], v[12:13]
	v_pk_mul_f32 v[10:11], v[14:15], v[10:11]
	v_bfe_u32 v5, v12, 16, 1
	v_bfe_u32 v14, v13, 16, 1
	;; [unrolled: 1-line block ×4, first 2 shown]
	v_add3_u32 v14, v13, v14, s44
	v_add3_u32 v5, v12, v5, s44
	;; [unrolled: 1-line block ×4, first 2 shown]
	v_and_b32_e32 v5, 0xffff0000, v5
	v_and_b32_e32 v14, 0xffff0000, v14
	v_cmp_o_f32_e32 vcc, v12, v12
	v_cmp_o_f32_e64 s[8:9], v13, v13
	v_and_b32_e32 v12, 0xffff0000, v15
	v_and_b32_e32 v15, 0xffff0000, v16
	v_cmp_o_f32_e64 s[4:5], v11, v11
	v_cmp_o_f32_e64 s[6:7], v10, v10
	v_cndmask_b32_e64 v10, v3, v14, s[8:9]
	v_cndmask_b32_e32 v5, v3, v5, vcc
	v_cndmask_b32_e64 v11, v3, v15, s[4:5]
	v_cndmask_b32_e64 v12, v3, v12, s[6:7]
	v_sub_f32_e32 v5, v5, v10
	v_add_f32_e32 v10, v12, v11
	v_bfe_u32 v11, v5, 16, 1
	v_bfe_u32 v12, v10, 16, 1
	v_add3_u32 v11, v5, v11, s44
	v_add3_u32 v12, v10, v12, s44
	v_lshrrev_b32_e32 v11, 16, v11
	v_cmp_o_f32_e64 s[4:5], v5, v5
	v_lshrrev_b32_e32 v12, 16, v12
	v_cmp_o_f32_e32 vcc, v10, v10
	v_cndmask_b32_e64 v5, v4, v11, s[4:5]
	s_nop 0
	v_cndmask_b32_e32 v10, v4, v12, vcc
	global_store_short v[6:7], v5, off
	global_store_short v[8:9], v10, off
	s_andn2_b64 exec, exec, s[38:39]
	s_cbranch_execnz .LBB50_3
.LBB50_4:
	s_or_b64 exec, exec, s[20:21]
	s_load_dwordx4 s[20:23], s[0:1], 0x68
	s_waitcnt lgkmcnt(0)
	s_ashr_i32 s7, s23, 31
	s_mov_b32 s6, s23
	s_or_b64 s[4:5], s[36:37], s[6:7]
	s_mov_b32 s4, 0
	s_cmp_lg_u64 s[4:5], 0
	s_cbranch_scc0 .LBB50_14
; %bb.5:
	s_add_u32 s4, s6, s7
	s_mov_b32 s10, s7
	s_mov_b32 s11, s7
	s_addc_u32 s5, s7, s7
	s_xor_b64 s[38:39], s[4:5], s[10:11]
	v_cvt_f32_u32_e32 v1, s38
	v_cvt_f32_u32_e32 v2, s39
	s_sub_u32 s3, 0, s38
	s_subb_u32 s4, 0, s39
	v_fmamk_f32 v1, v2, 0x4f800000, v1
	v_rcp_f32_e32 v1, v1
	s_nop 0
	v_mul_f32_e32 v1, 0x5f7ffffc, v1
	v_mul_f32_e32 v2, 0x2f800000, v1
	v_trunc_f32_e32 v2, v2
	v_fmamk_f32 v1, v2, 0xcf800000, v1
	v_cvt_u32_f32_e32 v2, v2
	v_cvt_u32_f32_e32 v1, v1
	v_readfirstlane_b32 s5, v2
	v_readfirstlane_b32 s23, v1
	s_mul_i32 s29, s3, s5
	s_mul_hi_u32 s40, s3, s23
	s_mul_i32 s33, s4, s23
	s_add_i32 s29, s40, s29
	s_add_i32 s29, s29, s33
	s_mul_i32 s41, s3, s23
	s_mul_hi_u32 s33, s23, s29
	s_mul_i32 s40, s23, s29
	s_mul_hi_u32 s23, s23, s41
	s_add_u32 s23, s23, s40
	s_addc_u32 s33, 0, s33
	s_mul_hi_u32 s42, s5, s41
	s_mul_i32 s41, s5, s41
	s_add_u32 s23, s23, s41
	s_mul_hi_u32 s40, s5, s29
	s_addc_u32 s23, s33, s42
	s_addc_u32 s33, s40, 0
	s_mul_i32 s29, s5, s29
	s_add_u32 s23, s23, s29
	s_addc_u32 s29, 0, s33
	v_add_co_u32_e32 v1, vcc, s23, v1
	s_cmp_lg_u64 vcc, 0
	s_addc_u32 s5, s5, s29
	v_readfirstlane_b32 s29, v1
	s_mul_i32 s23, s3, s5
	s_mul_hi_u32 s33, s3, s29
	s_add_i32 s23, s33, s23
	s_mul_i32 s4, s4, s29
	s_add_i32 s23, s23, s4
	s_mul_i32 s3, s3, s29
	s_mul_hi_u32 s33, s5, s3
	s_mul_i32 s40, s5, s3
	s_mul_i32 s42, s29, s23
	s_mul_hi_u32 s3, s29, s3
	s_mul_hi_u32 s41, s29, s23
	s_add_u32 s3, s3, s42
	s_addc_u32 s29, 0, s41
	s_add_u32 s3, s3, s40
	s_mul_hi_u32 s4, s5, s23
	s_addc_u32 s3, s29, s33
	s_addc_u32 s4, s4, 0
	s_mul_i32 s23, s5, s23
	s_add_u32 s3, s3, s23
	s_addc_u32 s4, 0, s4
	v_add_co_u32_e32 v1, vcc, s3, v1
	s_cmp_lg_u64 vcc, 0
	s_addc_u32 s3, s5, s4
	s_ashr_i32 s40, s37, 31
	s_add_u32 s4, s36, s40
	s_mov_b32 s41, s40
	s_addc_u32 s5, s37, s40
	s_xor_b64 s[42:43], s[4:5], s[40:41]
	v_readfirstlane_b32 s23, v1
	s_mul_i32 s5, s42, s3
	s_mul_hi_u32 s29, s42, s23
	s_mul_hi_u32 s4, s42, s3
	s_add_u32 s5, s29, s5
	s_addc_u32 s4, 0, s4
	s_mul_hi_u32 s33, s43, s23
	s_mul_i32 s23, s43, s23
	s_add_u32 s5, s5, s23
	s_mul_hi_u32 s29, s43, s3
	s_addc_u32 s4, s4, s33
	s_addc_u32 s5, s29, 0
	s_mul_i32 s3, s43, s3
	s_add_u32 s3, s4, s3
	s_addc_u32 s23, 0, s5
	s_mul_i32 s4, s38, s23
	s_mul_hi_u32 s5, s38, s3
	s_add_i32 s4, s5, s4
	s_mul_i32 s5, s39, s3
	s_add_i32 s29, s4, s5
	s_mul_i32 s5, s38, s3
	v_mov_b32_e32 v1, s5
	s_sub_i32 s4, s43, s29
	v_sub_co_u32_e32 v1, vcc, s42, v1
	s_cmp_lg_u64 vcc, 0
	s_subb_u32 s33, s4, s39
	v_subrev_co_u32_e64 v2, s[4:5], s38, v1
	s_cmp_lg_u64 s[4:5], 0
	s_subb_u32 s4, s33, 0
	s_cmp_ge_u32 s4, s39
	v_readfirstlane_b32 s33, v2
	s_cselect_b32 s5, -1, 0
	s_cmp_ge_u32 s33, s38
	s_cselect_b32 s33, -1, 0
	s_cmp_eq_u32 s4, s39
	s_cselect_b32 s4, s33, s5
	s_add_u32 s5, s3, 1
	s_addc_u32 s33, s23, 0
	s_add_u32 s42, s3, 2
	s_addc_u32 s44, s23, 0
	s_cmp_lg_u32 s4, 0
	s_cselect_b32 s4, s42, s5
	s_cselect_b32 s5, s44, s33
	s_cmp_lg_u64 vcc, 0
	s_subb_u32 s29, s43, s29
	s_cmp_ge_u32 s29, s39
	v_readfirstlane_b32 s42, v1
	s_cselect_b32 s33, -1, 0
	s_cmp_ge_u32 s42, s38
	s_cselect_b32 s38, -1, 0
	s_cmp_eq_u32 s29, s39
	s_cselect_b32 s29, s38, s33
	s_cmp_lg_u32 s29, 0
	s_cselect_b32 s5, s5, s23
	s_cselect_b32 s4, s4, s3
	s_xor_b64 s[10:11], s[40:41], s[10:11]
	s_xor_b64 s[4:5], s[4:5], s[10:11]
	s_sub_u32 s10, s4, s10
	s_subb_u32 s11, s5, s11
	s_cbranch_execnz .LBB50_7
.LBB50_6:
	v_cvt_f32_u32_e32 v1, s6
	s_sub_i32 s3, 0, s6
	s_mov_b32 s11, 0
	v_rcp_iflag_f32_e32 v1, v1
	s_nop 0
	v_mul_f32_e32 v1, 0x4f7ffffe, v1
	v_cvt_u32_f32_e32 v1, v1
	s_nop 0
	v_readfirstlane_b32 s4, v1
	s_mul_i32 s3, s3, s4
	s_mul_hi_u32 s3, s4, s3
	s_add_i32 s4, s4, s3
	s_mul_hi_u32 s3, s36, s4
	s_mul_i32 s5, s3, s6
	s_sub_i32 s5, s36, s5
	s_add_i32 s4, s3, 1
	s_sub_i32 s8, s5, s6
	s_cmp_ge_u32 s5, s6
	s_cselect_b32 s3, s4, s3
	s_cselect_b32 s5, s8, s5
	s_add_i32 s4, s3, 1
	s_cmp_ge_u32 s5, s6
	s_cselect_b32 s10, s4, s3
.LBB50_7:
	s_mul_i32 s3, s10, s7
	s_mul_hi_u32 s4, s10, s6
	s_add_i32 s3, s4, s3
	s_mul_i32 s4, s11, s6
	s_add_i32 s3, s3, s4
	s_mul_i32 s4, s10, s6
	s_sub_u32 s33, s36, s4
	s_subb_u32 s3, s37, s3
	v_cmp_gt_i32_e32 vcc, s28, v0
	s_mul_hi_u32 s47, s10, s20
	s_mul_i32 s48, s11, s20
	s_mul_i32 s38, s10, s20
	s_mul_hi_u32 s46, s33, s21
	s_mul_i32 s11, s3, s21
	s_mul_i32 s36, s33, s21
	s_and_saveexec_b64 s[40:41], vcc
	s_cbranch_execz .LBB50_10
; %bb.8:
	s_mul_i32 s3, s2, s13
	s_mul_hi_u32 s4, s2, s12
	s_add_i32 s5, s4, s3
	s_mul_i32 s4, s2, s12
	s_ashr_i32 s29, s28, 31
	s_lshl_b64 s[4:5], s[4:5], 1
	s_add_u32 s12, s16, s4
	s_addc_u32 s13, s17, s5
	s_ashr_i32 s3, s20, 31
	s_mul_i32 s3, s10, s3
	s_add_i32 s3, s47, s3
	s_add_i32 s39, s3, s48
	s_ashr_i32 s3, s21, 31
	s_mul_i32 s3, s33, s3
	s_add_i32 s3, s46, s3
	s_add_i32 s37, s3, s11
	s_lshl_b64 s[6:7], s[38:39], 1
	s_lshl_b64 s[8:9], s[36:37], 1
	s_add_u32 s37, s6, s8
	s_addc_u32 s39, s7, s9
	s_load_dword s9, s[0:1], 0x8c
	s_add_u32 s3, s37, s24
	s_addc_u32 s8, s39, s25
	s_ashr_i32 s23, s22, 31
	s_lshl_b64 s[6:7], s[22:23], 1
	s_add_u32 s42, s3, s6
	s_addc_u32 s43, s8, s7
	s_waitcnt lgkmcnt(0)
	s_and_b32 s3, s9, 0xffff
	s_lshl_b32 s23, s3, 1
	s_lshl_b64 s[8:9], s[28:29], 1
	s_add_u32 s29, s34, s8
	s_addc_u32 s34, s35, s9
	s_add_u32 s30, s30, s29
	s_addc_u32 s31, s31, s34
	;; [unrolled: 2-line block ×6, first 2 shown]
	s_add_u32 s34, s24, s4
	v_lshlrev_b32_e32 v2, 1, v0
	v_mov_b32_e32 v3, 0
	s_addc_u32 s35, s25, s5
	s_mov_b64 s[44:45], 0
	s_movk_i32 s29, 0x7fff
	v_mov_b32_e32 v1, 0x7fc00000
	v_mov_b32_e32 v8, 0x7fc0
	;; [unrolled: 1-line block ×3, first 2 shown]
.LBB50_9:                               ; =>This Inner Loop Header: Depth=1
	v_lshl_add_u64 v[12:13], s[30:31], 0, v[2:3]
	v_lshl_add_u64 v[10:11], s[26:27], 0, v[2:3]
	;; [unrolled: 1-line block ×4, first 2 shown]
	global_load_ushort v18, v[12:13], off
	global_load_ushort v19, v[10:11], off
	;; [unrolled: 1-line block ×4, first 2 shown]
	s_add_u32 s26, s26, s23
	s_addc_u32 s27, s27, 0
	s_add_u32 s30, s30, s23
	s_addc_u32 s31, s31, 0
	;; [unrolled: 2-line block ×4, first 2 shown]
	v_lshl_add_u64 v[12:13], s[34:35], 0, v[2:3]
	s_add_u32 s34, s34, s23
	s_addc_u32 s35, s35, 0
	v_lshl_add_u64 v[10:11], s[42:43], 0, v[2:3]
	v_add_u32_e32 v9, s3, v9
	s_add_u32 s42, s42, s23
	v_cmp_le_i32_e32 vcc, s28, v9
	s_addc_u32 s43, s43, 0
	s_or_b64 s[44:45], vcc, s[44:45]
	s_waitcnt vmcnt(3)
	v_cvt_f32_f16_e32 v20, v18
	s_waitcnt vmcnt(2)
	v_cvt_f32_f16_e32 v21, v19
	s_waitcnt vmcnt(1)
	v_lshlrev_b32_e32 v15, 16, v14
	s_waitcnt vmcnt(0)
	v_lshlrev_b32_e32 v14, 16, v16
	v_bfe_u32 v23, v20, 16, 1
	v_bfe_u32 v22, v21, 16, 1
	v_add3_u32 v20, v20, v23, s29
	v_add3_u32 v21, v21, v22, s29
	v_and_b32_e32 v21, 0xffff0000, v21
	v_and_b32_e32 v20, 0xffff0000, v20
	v_cmp_o_f16_e32 vcc, v19, v19
	v_cmp_o_f16_e64 s[4:5], v18, v18
	v_mov_b32_e32 v16, v15
	v_mov_b32_e32 v17, v14
	v_cndmask_b32_e64 v19, v1, v20, s[4:5]
	v_cndmask_b32_e32 v18, v1, v21, vcc
	v_pk_mul_f32 v[16:17], v[18:19], v[16:17]
	v_pk_mul_f32 v[14:15], v[18:19], v[14:15]
	v_bfe_u32 v18, v16, 16, 1
	v_bfe_u32 v19, v17, 16, 1
	;; [unrolled: 1-line block ×4, first 2 shown]
	v_add3_u32 v19, v17, v19, s29
	v_add3_u32 v18, v16, v18, s29
	;; [unrolled: 1-line block ×4, first 2 shown]
	v_and_b32_e32 v18, 0xffff0000, v18
	v_and_b32_e32 v19, 0xffff0000, v19
	v_cmp_o_f32_e32 vcc, v16, v16
	v_cmp_o_f32_e64 s[8:9], v17, v17
	v_and_b32_e32 v16, 0xffff0000, v20
	v_and_b32_e32 v20, 0xffff0000, v21
	v_cmp_o_f32_e64 s[4:5], v15, v15
	v_cmp_o_f32_e64 s[6:7], v14, v14
	v_cndmask_b32_e64 v14, v1, v19, s[8:9]
	v_cndmask_b32_e32 v15, v1, v18, vcc
	v_cndmask_b32_e64 v17, v1, v20, s[4:5]
	v_cndmask_b32_e64 v16, v1, v16, s[6:7]
	v_sub_f32_e32 v14, v15, v14
	v_add_f32_e32 v15, v16, v17
	v_bfe_u32 v16, v14, 16, 1
	v_bfe_u32 v17, v15, 16, 1
	v_add3_u32 v16, v14, v16, s29
	v_add3_u32 v17, v15, v17, s29
	v_lshrrev_b32_e32 v16, 16, v16
	v_cmp_o_f32_e64 s[4:5], v14, v14
	v_lshrrev_b32_e32 v17, 16, v17
	v_cmp_o_f32_e32 vcc, v15, v15
	v_cndmask_b32_e64 v14, v8, v16, s[4:5]
	s_nop 0
	v_cndmask_b32_e32 v15, v8, v17, vcc
	global_store_short v[4:5], v14, off
	global_store_short v[6:7], v15, off
	global_store_short v[10:11], v14, off
	global_store_short v[12:13], v15, off
	s_andn2_b64 exec, exec, s[44:45]
	s_cbranch_execnz .LBB50_9
.LBB50_10:
	s_or_b64 exec, exec, s[40:41]
	v_cmp_gt_i32_e32 vcc, s22, v0
	s_and_saveexec_b64 s[4:5], vcc
	s_cbranch_execz .LBB50_13
; %bb.11:
	s_mul_i32 s3, s2, s15
	s_mul_hi_u32 s4, s2, s14
	s_add_i32 s3, s4, s3
	s_mul_i32 s2, s2, s14
	s_lshl_b64 s[2:3], s[2:3], 1
	s_add_u32 s2, s18, s2
	s_addc_u32 s3, s19, s3
	s_ashr_i32 s4, s20, 31
	s_mul_i32 s4, s10, s4
	s_add_i32 s4, s47, s4
	s_add_i32 s39, s4, s48
	s_lshl_b64 s[4:5], s[38:39], 1
	s_add_u32 s4, s24, s4
	s_addc_u32 s5, s25, s5
	s_ashr_i32 s6, s21, 31
	s_mul_i32 s33, s33, s6
	s_load_dword s7, s[0:1], 0x8c
	s_add_i32 s6, s46, s33
	s_add_i32 s37, s6, s11
	s_lshl_b64 s[0:1], s[36:37], 1
	s_add_u32 s0, s4, s0
	s_addc_u32 s1, s5, s1
	s_waitcnt lgkmcnt(0)
	s_and_b32 s6, s7, 0xffff
	s_mov_b64 s[4:5], 0
.LBB50_12:                              ; =>This Inner Loop Header: Depth=1
	v_ashrrev_i32_e32 v1, 31, v0
	v_lshlrev_b64 v[2:3], 1, v[0:1]
	v_lshl_add_u64 v[4:5], s[2:3], 0, v[2:3]
	global_load_ushort v1, v[4:5], off
	v_add_u32_e32 v0, s6, v0
	v_cmp_le_i32_e32 vcc, s22, v0
	v_lshl_add_u64 v[2:3], s[0:1], 0, v[2:3]
	s_or_b64 s[4:5], vcc, s[4:5]
	s_waitcnt vmcnt(0)
	global_store_short v[2:3], v1, off
	s_andn2_b64 exec, exec, s[4:5]
	s_cbranch_execnz .LBB50_12
.LBB50_13:
	s_endpgm
.LBB50_14:
                                        ; implicit-def: $sgpr10_sgpr11
	s_branch .LBB50_6
	.section	.rodata,"a",@progbits
	.p2align	6, 0x0
	.amdhsa_kernel _ZN4vllm38concat_and_cache_mla_rope_fused_kernelIN3c108BFloat16ENS1_4HalfELb1E14__hip_bfloat16S4_LNS_18Fp8KVCacheDataTypeE0EEEvPKlPT_S9_PKS8_PKT0_illlliPT3_S7_iiiiPKf
		.amdhsa_group_segment_fixed_size 0
		.amdhsa_private_segment_fixed_size 0
		.amdhsa_kernarg_size 384
		.amdhsa_user_sgpr_count 2
		.amdhsa_user_sgpr_dispatch_ptr 0
		.amdhsa_user_sgpr_queue_ptr 0
		.amdhsa_user_sgpr_kernarg_segment_ptr 1
		.amdhsa_user_sgpr_dispatch_id 0
		.amdhsa_user_sgpr_kernarg_preload_length 0
		.amdhsa_user_sgpr_kernarg_preload_offset 0
		.amdhsa_user_sgpr_private_segment_size 0
		.amdhsa_uses_dynamic_stack 0
		.amdhsa_enable_private_segment 0
		.amdhsa_system_sgpr_workgroup_id_x 1
		.amdhsa_system_sgpr_workgroup_id_y 0
		.amdhsa_system_sgpr_workgroup_id_z 0
		.amdhsa_system_sgpr_workgroup_info 0
		.amdhsa_system_vgpr_workitem_id 0
		.amdhsa_next_free_vgpr 24
		.amdhsa_next_free_sgpr 49
		.amdhsa_accum_offset 24
		.amdhsa_reserve_vcc 1
		.amdhsa_float_round_mode_32 0
		.amdhsa_float_round_mode_16_64 0
		.amdhsa_float_denorm_mode_32 3
		.amdhsa_float_denorm_mode_16_64 3
		.amdhsa_dx10_clamp 1
		.amdhsa_ieee_mode 1
		.amdhsa_fp16_overflow 0
		.amdhsa_tg_split 0
		.amdhsa_exception_fp_ieee_invalid_op 0
		.amdhsa_exception_fp_denorm_src 0
		.amdhsa_exception_fp_ieee_div_zero 0
		.amdhsa_exception_fp_ieee_overflow 0
		.amdhsa_exception_fp_ieee_underflow 0
		.amdhsa_exception_fp_ieee_inexact 0
		.amdhsa_exception_int_div_zero 0
	.end_amdhsa_kernel
	.section	.text._ZN4vllm38concat_and_cache_mla_rope_fused_kernelIN3c108BFloat16ENS1_4HalfELb1E14__hip_bfloat16S4_LNS_18Fp8KVCacheDataTypeE0EEEvPKlPT_S9_PKS8_PKT0_illlliPT3_S7_iiiiPKf,"axG",@progbits,_ZN4vllm38concat_and_cache_mla_rope_fused_kernelIN3c108BFloat16ENS1_4HalfELb1E14__hip_bfloat16S4_LNS_18Fp8KVCacheDataTypeE0EEEvPKlPT_S9_PKS8_PKT0_illlliPT3_S7_iiiiPKf,comdat
.Lfunc_end50:
	.size	_ZN4vllm38concat_and_cache_mla_rope_fused_kernelIN3c108BFloat16ENS1_4HalfELb1E14__hip_bfloat16S4_LNS_18Fp8KVCacheDataTypeE0EEEvPKlPT_S9_PKS8_PKT0_illlliPT3_S7_iiiiPKf, .Lfunc_end50-_ZN4vllm38concat_and_cache_mla_rope_fused_kernelIN3c108BFloat16ENS1_4HalfELb1E14__hip_bfloat16S4_LNS_18Fp8KVCacheDataTypeE0EEEvPKlPT_S9_PKS8_PKT0_illlliPT3_S7_iiiiPKf
                                        ; -- End function
	.section	.AMDGPU.csdata,"",@progbits
; Kernel info:
; codeLenInByte = 2652
; NumSgprs: 55
; NumVgprs: 24
; NumAgprs: 0
; TotalNumVgprs: 24
; ScratchSize: 0
; MemoryBound: 0
; FloatMode: 240
; IeeeMode: 1
; LDSByteSize: 0 bytes/workgroup (compile time only)
; SGPRBlocks: 6
; VGPRBlocks: 2
; NumSGPRsForWavesPerEU: 55
; NumVGPRsForWavesPerEU: 24
; AccumOffset: 24
; Occupancy: 8
; WaveLimiterHint : 1
; COMPUTE_PGM_RSRC2:SCRATCH_EN: 0
; COMPUTE_PGM_RSRC2:USER_SGPR: 2
; COMPUTE_PGM_RSRC2:TRAP_HANDLER: 0
; COMPUTE_PGM_RSRC2:TGID_X_EN: 1
; COMPUTE_PGM_RSRC2:TGID_Y_EN: 0
; COMPUTE_PGM_RSRC2:TGID_Z_EN: 0
; COMPUTE_PGM_RSRC2:TIDIG_COMP_CNT: 0
; COMPUTE_PGM_RSRC3_GFX90A:ACCUM_OFFSET: 5
; COMPUTE_PGM_RSRC3_GFX90A:TG_SPLIT: 0
	.section	.text._ZN4vllm38concat_and_cache_mla_rope_fused_kernelIN3c108BFloat16ENS1_4HalfELb0E14__hip_bfloat16S4_LNS_18Fp8KVCacheDataTypeE0EEEvPKlPT_S9_PKS8_PKT0_illlliPT3_S7_iiiiPKf,"axG",@progbits,_ZN4vllm38concat_and_cache_mla_rope_fused_kernelIN3c108BFloat16ENS1_4HalfELb0E14__hip_bfloat16S4_LNS_18Fp8KVCacheDataTypeE0EEEvPKlPT_S9_PKS8_PKT0_illlliPT3_S7_iiiiPKf,comdat
	.protected	_ZN4vllm38concat_and_cache_mla_rope_fused_kernelIN3c108BFloat16ENS1_4HalfELb0E14__hip_bfloat16S4_LNS_18Fp8KVCacheDataTypeE0EEEvPKlPT_S9_PKS8_PKT0_illlliPT3_S7_iiiiPKf ; -- Begin function _ZN4vllm38concat_and_cache_mla_rope_fused_kernelIN3c108BFloat16ENS1_4HalfELb0E14__hip_bfloat16S4_LNS_18Fp8KVCacheDataTypeE0EEEvPKlPT_S9_PKS8_PKT0_illlliPT3_S7_iiiiPKf
	.globl	_ZN4vllm38concat_and_cache_mla_rope_fused_kernelIN3c108BFloat16ENS1_4HalfELb0E14__hip_bfloat16S4_LNS_18Fp8KVCacheDataTypeE0EEEvPKlPT_S9_PKS8_PKT0_illlliPT3_S7_iiiiPKf
	.p2align	8
	.type	_ZN4vllm38concat_and_cache_mla_rope_fused_kernelIN3c108BFloat16ENS1_4HalfELb0E14__hip_bfloat16S4_LNS_18Fp8KVCacheDataTypeE0EEEvPKlPT_S9_PKS8_PKT0_illlliPT3_S7_iiiiPKf,@function
_ZN4vllm38concat_and_cache_mla_rope_fused_kernelIN3c108BFloat16ENS1_4HalfELb0E14__hip_bfloat16S4_LNS_18Fp8KVCacheDataTypeE0EEEvPKlPT_S9_PKS8_PKT0_illlliPT3_S7_iiiiPKf: ; @_ZN4vllm38concat_and_cache_mla_rope_fused_kernelIN3c108BFloat16ENS1_4HalfELb0E14__hip_bfloat16S4_LNS_18Fp8KVCacheDataTypeE0EEEvPKlPT_S9_PKS8_PKT0_illlliPT3_S7_iiiiPKf
; %bb.0:
	s_load_dwordx2 s[6:7], s[0:1], 0x60
	s_mov_b32 s3, 0
	s_lshl_b64 s[4:5], s[2:3], 3
	s_waitcnt lgkmcnt(0)
	s_add_u32 s6, s6, s4
	s_addc_u32 s7, s7, s5
	s_load_dwordx2 s[26:27], s[6:7], 0x0
	s_waitcnt lgkmcnt(0)
	v_cmp_lt_i64_e64 s[6:7], s[26:27], 0
	s_and_b64 vcc, exec, s[6:7]
	s_cbranch_vccnz .LBB51_13
; %bb.1:
	s_load_dword s3, s[0:1], 0x28
	s_load_dwordx2 s[6:7], s[0:1], 0x0
	s_load_dwordx4 s[12:15], s[0:1], 0x10
	v_lshlrev_b32_e32 v2, 1, v0
	s_waitcnt lgkmcnt(0)
	s_ashr_i32 s22, s3, 31
	s_add_u32 s16, s6, s4
	s_addc_u32 s17, s7, s5
	s_load_dwordx2 s[18:19], s[16:17], 0x0
	s_load_dwordx2 s[24:25], s[0:1], 0x20
	s_load_dwordx8 s[4:11], s[0:1], 0x30
	s_load_dwordx2 s[20:21], s[0:1], 0x58
	s_load_dword s23, s[0:1], 0x50
	s_waitcnt lgkmcnt(0)
	s_mul_i32 s16, s18, s22
	s_mul_hi_u32 s17, s18, s3
	s_mul_i32 s19, s19, s3
	s_add_i32 s16, s17, s16
	s_add_i32 s29, s16, s19
	s_lshr_b32 s16, s3, 31
	s_mul_i32 s28, s18, s3
	s_add_i32 s3, s3, s16
	s_ashr_i32 s22, s3, 1
	s_mul_i32 s3, s22, s23
	v_cmp_gt_i32_e32 vcc, s3, v0
	s_and_saveexec_b64 s[16:17], vcc
	s_cbranch_execz .LBB51_4
; %bb.2:
	s_load_dwordx2 s[30:31], s[0:1], 0x8
	s_load_dword s34, s[0:1], 0x8c
	s_lshl_b64 s[18:19], s[28:29], 1
	s_add_u32 s18, s24, s18
	s_mul_i32 s5, s2, s5
	s_mul_hi_u32 s33, s2, s4
	s_addc_u32 s19, s25, s19
	s_add_i32 s5, s33, s5
	s_mul_i32 s4, s2, s4
	s_ashr_i32 s23, s22, 31
	s_lshl_b64 s[4:5], s[4:5], 1
	s_waitcnt lgkmcnt(0)
	s_add_u32 s30, s30, s4
	s_addc_u32 s31, s31, s5
	s_abs_i32 s33, s22
	v_cvt_f32_u32_e32 v1, s33
	s_sub_i32 s4, 0, s33
	s_and_b32 s36, s34, 0xffff
	s_sub_i32 s37, 0, s22
	v_rcp_iflag_f32_e32 v1, v1
	s_lshl_b32 s39, s36, 1
	s_mov_b64 s[34:35], 0
	s_movk_i32 s40, 0x7fff
	v_mul_f32_e32 v1, 0x4f7ffffe, v1
	v_cvt_u32_f32_e32 v1, v1
	v_mov_b32_e32 v5, 0x7fc0
	s_mov_b32 s41, 0x5040100
	v_mov_b32_e32 v4, v2
	v_mul_lo_u32 v3, s4, v1
	v_mul_hi_u32 v3, v1, v3
	s_lshl_b32 s4, s22, 1
	v_add_u32_e32 v1, v1, v3
	s_sub_i32 s38, 0, s4
	v_mov_b32_e32 v3, 0x7fc00000
	v_mov_b32_e32 v6, v0
.LBB51_3:                               ; =>This Inner Loop Header: Depth=1
	v_sub_u32_e32 v8, 0, v6
	v_max_i32_e32 v8, v6, v8
	v_mul_hi_u32 v9, v8, v1
	v_mul_lo_u32 v10, v9, s33
	v_sub_u32_e32 v8, v8, v10
	v_add_u32_e32 v11, 1, v9
	v_cmp_le_u32_e32 vcc, s33, v8
	v_subrev_u32_e32 v10, s33, v8
	v_ashrrev_i32_e32 v7, 31, v6
	v_cndmask_b32_e32 v9, v9, v11, vcc
	v_cndmask_b32_e32 v8, v8, v10, vcc
	v_add_u32_e32 v10, 1, v9
	v_cmp_le_u32_e32 vcc, s33, v8
	v_xor_b32_e32 v7, s23, v7
	s_nop 0
	v_cndmask_b32_e32 v8, v9, v10, vcc
	v_xor_b32_e32 v8, v8, v7
	v_sub_u32_e32 v7, v8, v7
	v_mad_u64_u32 v[8:9], s[4:5], s37, v7, v[6:7]
	v_ashrrev_i32_e32 v14, 31, v7
	v_ashrrev_i32_e32 v9, 31, v8
	v_mul_lo_u32 v15, v7, s7
	v_mad_u64_u32 v[10:11], s[4:5], v7, s6, 0
	v_mad_u64_u32 v[12:13], s[4:5], s38, v7, v[4:5]
	v_mul_lo_u32 v7, v14, s6
	v_lshl_add_u64 v[8:9], v[8:9], 1, s[18:19]
	v_add3_u32 v11, v11, v15, v7
	v_lshl_add_u64 v[14:15], s[22:23], 1, v[8:9]
	global_load_ushort v7, v[8:9], off
	global_load_ushort v16, v[14:15], off
	v_ashrrev_i32_e32 v13, 31, v12
	v_lshl_add_u64 v[10:11], v[10:11], 1, s[30:31]
	v_lshl_add_u64 v[8:9], v[12:13], 1, v[10:11]
	global_load_dword v10, v[8:9], off
	v_add_u32_e32 v6, s36, v6
	v_cmp_le_i32_e32 vcc, s3, v6
	s_or_b64 s[34:35], vcc, s[34:35]
	v_add_u32_e32 v4, s39, v4
	s_waitcnt vmcnt(2)
	v_cvt_f32_f16_e32 v12, v7
	s_waitcnt vmcnt(1)
	v_cvt_f32_f16_e32 v13, v16
	v_cmp_o_f16_e32 vcc, v7, v7
	v_bfe_u32 v14, v12, 16, 1
	v_add3_u32 v12, v12, v14, s40
	v_bfe_u32 v14, v13, 16, 1
	v_and_b32_e32 v12, 0xffff0000, v12
	s_waitcnt vmcnt(0)
	v_and_b32_e32 v11, 0xffff0000, v10
	v_lshlrev_b32_e32 v10, 16, v10
	v_add3_u32 v13, v13, v14, s40
	v_cndmask_b32_e32 v12, v3, v12, vcc
	v_and_b32_e32 v7, 0xffff0000, v13
	v_cmp_o_f16_e32 vcc, v16, v16
	v_pk_mul_f32 v[12:13], v[12:13], v[10:11] op_sel_hi:[0,1]
	v_bfe_u32 v15, v13, 16, 1
	v_cndmask_b32_e32 v14, v3, v7, vcc
	v_bfe_u32 v7, v12, 16, 1
	v_pk_mul_f32 v[10:11], v[14:15], v[10:11] op_sel_hi:[0,1]
	v_add3_u32 v14, v13, v15, s40
	v_add3_u32 v7, v12, v7, s40
	v_bfe_u32 v15, v11, 16, 1
	v_bfe_u32 v16, v10, 16, 1
	v_and_b32_e32 v7, 0xffff0000, v7
	v_and_b32_e32 v14, 0xffff0000, v14
	v_add3_u32 v16, v10, v16, s40
	v_add3_u32 v15, v11, v15, s40
	v_cmp_o_f32_e32 vcc, v12, v12
	v_cmp_o_f32_e64 s[4:5], v13, v13
	v_and_b32_e32 v15, 0xffff0000, v15
	v_and_b32_e32 v16, 0xffff0000, v16
	v_cndmask_b32_e64 v13, v3, v14, s[4:5]
	v_cndmask_b32_e32 v12, v3, v7, vcc
	v_cmp_o_f32_e32 vcc, v11, v11
	v_cmp_o_f32_e64 s[4:5], v10, v10
	s_nop 0
	v_cndmask_b32_e32 v10, v3, v15, vcc
	v_cndmask_b32_e64 v11, v3, v16, s[4:5]
	v_pk_add_f32 v[14:15], v[12:13], v[10:11] neg_lo:[0,1] neg_hi:[0,1]
	v_pk_add_f32 v[10:11], v[12:13], v[10:11]
	v_bfe_u32 v7, v14, 16, 1
	v_bfe_u32 v10, v11, 16, 1
	v_add3_u32 v10, v11, v10, s40
	v_add3_u32 v7, v14, v7, s40
	v_lshrrev_b32_e32 v7, 16, v7
	v_lshrrev_b32_e32 v10, 16, v10
	v_cmp_o_f32_e32 vcc, v11, v11
	v_cmp_o_f32_e64 s[4:5], v14, v14
	s_nop 0
	v_cndmask_b32_e32 v10, v5, v10, vcc
	v_cndmask_b32_e64 v7, v5, v7, s[4:5]
	v_perm_b32 v7, v10, v7, s41
	global_store_dword v[8:9], v7, off
	s_andn2_b64 exec, exec, s[34:35]
	s_cbranch_execnz .LBB51_3
.LBB51_4:
	s_or_b64 exec, exec, s[16:17]
	s_load_dwordx4 s[16:19], s[0:1], 0x68
	s_waitcnt lgkmcnt(0)
	s_ashr_i32 s31, s19, 31
	s_mov_b32 s30, s19
	s_or_b64 s[4:5], s[26:27], s[30:31]
	s_mov_b32 s4, 0
	s_cmp_lg_u64 s[4:5], 0
	s_cbranch_scc0 .LBB51_14
; %bb.5:
	s_add_u32 s4, s30, s31
	s_mov_b32 s6, s31
	s_mov_b32 s7, s31
	s_addc_u32 s5, s31, s31
	s_xor_b64 s[36:37], s[4:5], s[6:7]
	v_cvt_f32_u32_e32 v1, s36
	v_cvt_f32_u32_e32 v3, s37
	s_sub_u32 s3, 0, s36
	s_subb_u32 s4, 0, s37
	v_fmamk_f32 v1, v3, 0x4f800000, v1
	v_rcp_f32_e32 v1, v1
	s_nop 0
	v_mul_f32_e32 v1, 0x5f7ffffc, v1
	v_mul_f32_e32 v3, 0x2f800000, v1
	v_trunc_f32_e32 v3, v3
	v_fmamk_f32 v1, v3, 0xcf800000, v1
	v_cvt_u32_f32_e32 v3, v3
	v_cvt_u32_f32_e32 v1, v1
	v_readfirstlane_b32 s5, v3
	v_readfirstlane_b32 s19, v1
	s_mul_i32 s23, s3, s5
	s_mul_hi_u32 s38, s3, s19
	s_mul_i32 s33, s4, s19
	s_add_i32 s23, s38, s23
	s_add_i32 s23, s23, s33
	s_mul_i32 s39, s3, s19
	s_mul_hi_u32 s33, s19, s23
	s_mul_i32 s38, s19, s23
	s_mul_hi_u32 s19, s19, s39
	s_add_u32 s19, s19, s38
	s_addc_u32 s33, 0, s33
	s_mul_hi_u32 s40, s5, s39
	s_mul_i32 s39, s5, s39
	s_add_u32 s19, s19, s39
	s_mul_hi_u32 s38, s5, s23
	s_addc_u32 s19, s33, s40
	s_addc_u32 s33, s38, 0
	s_mul_i32 s23, s5, s23
	s_add_u32 s19, s19, s23
	s_addc_u32 s23, 0, s33
	v_add_co_u32_e32 v1, vcc, s19, v1
	s_cmp_lg_u64 vcc, 0
	s_addc_u32 s5, s5, s23
	v_readfirstlane_b32 s23, v1
	s_mul_i32 s19, s3, s5
	s_mul_hi_u32 s33, s3, s23
	s_add_i32 s19, s33, s19
	s_mul_i32 s4, s4, s23
	s_add_i32 s19, s19, s4
	s_mul_i32 s3, s3, s23
	s_mul_hi_u32 s33, s5, s3
	s_mul_i32 s38, s5, s3
	s_mul_i32 s40, s23, s19
	s_mul_hi_u32 s3, s23, s3
	s_mul_hi_u32 s39, s23, s19
	s_add_u32 s3, s3, s40
	s_addc_u32 s23, 0, s39
	s_add_u32 s3, s3, s38
	s_mul_hi_u32 s4, s5, s19
	s_addc_u32 s3, s23, s33
	s_addc_u32 s4, s4, 0
	s_mul_i32 s19, s5, s19
	s_add_u32 s3, s3, s19
	s_addc_u32 s4, 0, s4
	v_add_co_u32_e32 v1, vcc, s3, v1
	s_cmp_lg_u64 vcc, 0
	s_addc_u32 s3, s5, s4
	s_ashr_i32 s38, s27, 31
	s_add_u32 s4, s26, s38
	s_mov_b32 s39, s38
	s_addc_u32 s5, s27, s38
	s_xor_b64 s[40:41], s[4:5], s[38:39]
	v_readfirstlane_b32 s19, v1
	s_mul_i32 s5, s40, s3
	s_mul_hi_u32 s23, s40, s19
	s_mul_hi_u32 s4, s40, s3
	s_add_u32 s5, s23, s5
	s_addc_u32 s4, 0, s4
	s_mul_hi_u32 s33, s41, s19
	s_mul_i32 s19, s41, s19
	s_add_u32 s5, s5, s19
	s_mul_hi_u32 s23, s41, s3
	s_addc_u32 s4, s4, s33
	s_addc_u32 s5, s23, 0
	s_mul_i32 s3, s41, s3
	s_add_u32 s3, s4, s3
	s_addc_u32 s19, 0, s5
	s_mul_i32 s4, s36, s19
	s_mul_hi_u32 s5, s36, s3
	s_add_i32 s4, s5, s4
	s_mul_i32 s5, s37, s3
	s_add_i32 s23, s4, s5
	s_mul_i32 s5, s36, s3
	v_mov_b32_e32 v1, s5
	s_sub_i32 s4, s41, s23
	v_sub_co_u32_e32 v1, vcc, s40, v1
	s_cmp_lg_u64 vcc, 0
	s_subb_u32 s33, s4, s37
	v_subrev_co_u32_e64 v3, s[4:5], s36, v1
	s_cmp_lg_u64 s[4:5], 0
	s_subb_u32 s4, s33, 0
	s_cmp_ge_u32 s4, s37
	v_readfirstlane_b32 s33, v3
	s_cselect_b32 s5, -1, 0
	s_cmp_ge_u32 s33, s36
	s_cselect_b32 s33, -1, 0
	s_cmp_eq_u32 s4, s37
	s_cselect_b32 s4, s33, s5
	s_add_u32 s5, s3, 1
	s_addc_u32 s33, s19, 0
	s_add_u32 s40, s3, 2
	s_addc_u32 s42, s19, 0
	s_cmp_lg_u32 s4, 0
	s_cselect_b32 s4, s40, s5
	s_cselect_b32 s5, s42, s33
	s_cmp_lg_u64 vcc, 0
	s_subb_u32 s23, s41, s23
	s_cmp_ge_u32 s23, s37
	v_readfirstlane_b32 s40, v1
	s_cselect_b32 s33, -1, 0
	s_cmp_ge_u32 s40, s36
	s_cselect_b32 s36, -1, 0
	s_cmp_eq_u32 s23, s37
	s_cselect_b32 s23, s36, s33
	s_cmp_lg_u32 s23, 0
	s_cselect_b32 s5, s5, s19
	s_cselect_b32 s4, s4, s3
	s_xor_b64 s[6:7], s[38:39], s[6:7]
	s_xor_b64 s[4:5], s[4:5], s[6:7]
	s_sub_u32 s6, s4, s6
	s_subb_u32 s7, s5, s7
	s_cbranch_execnz .LBB51_7
.LBB51_6:
	v_cvt_f32_u32_e32 v1, s30
	s_sub_i32 s3, 0, s30
	s_mov_b32 s7, 0
	v_rcp_iflag_f32_e32 v1, v1
	s_nop 0
	v_mul_f32_e32 v1, 0x4f7ffffe, v1
	v_cvt_u32_f32_e32 v1, v1
	s_nop 0
	v_readfirstlane_b32 s4, v1
	s_mul_i32 s3, s3, s4
	s_mul_hi_u32 s3, s4, s3
	s_add_i32 s4, s4, s3
	s_mul_hi_u32 s3, s26, s4
	s_mul_i32 s5, s3, s30
	s_sub_i32 s5, s26, s5
	s_add_i32 s4, s3, 1
	s_sub_i32 s6, s5, s30
	s_cmp_ge_u32 s5, s30
	s_cselect_b32 s3, s4, s3
	s_cselect_b32 s5, s6, s5
	s_add_i32 s4, s3, 1
	s_cmp_ge_u32 s5, s30
	s_cselect_b32 s6, s4, s3
.LBB51_7:
	s_mul_i32 s3, s6, s31
	s_mul_hi_u32 s4, s6, s30
	s_add_i32 s3, s4, s3
	s_mul_i32 s4, s7, s30
	s_add_i32 s3, s3, s4
	s_mul_i32 s4, s6, s30
	s_sub_u32 s33, s26, s4
	s_subb_u32 s3, s27, s3
	v_cmp_gt_i32_e32 vcc, s22, v0
	s_mul_hi_u32 s37, s6, s16
	s_mul_i32 s38, s7, s16
	s_mul_i32 s30, s6, s16
	s_mul_hi_u32 s36, s33, s17
	s_mul_i32 s7, s3, s17
	s_mul_i32 s26, s33, s17
	s_and_saveexec_b64 s[34:35], vcc
	s_cbranch_execz .LBB51_10
; %bb.8:
	s_load_dword s3, s[0:1], 0x8c
	s_ashr_i32 s23, s22, 31
	s_ashr_i32 s27, s16, 31
	;; [unrolled: 1-line block ×4, first 2 shown]
	s_waitcnt lgkmcnt(0)
	s_and_b32 s3, s3, 0xffff
	s_lshl_b64 s[4:5], s[28:29], 1
	s_add_u32 s4, s24, s4
	v_mov_b32_e32 v3, 0
	s_addc_u32 s5, s25, s5
	v_lshl_add_u64 v[4:5], s[4:5], 0, v[2:3]
	s_mul_i32 s4, s9, s2
	s_mul_hi_u32 s5, s8, s2
	s_add_i32 s5, s5, s4
	s_mul_i32 s4, s8, s2
	s_lshl_b32 s28, s3, 1
	s_lshl_b64 s[24:25], s[22:23], 1
	s_lshl_b64 s[4:5], s[4:5], 1
	s_add_u32 s4, s12, s4
	v_lshlrev_b32_e32 v2, 2, v0
	s_addc_u32 s5, s13, s5
	v_lshl_add_u64 v[6:7], s[4:5], 0, v[2:3]
	s_mul_i32 s4, s6, s27
	s_mul_i32 s8, s33, s39
	s_add_i32 s4, s37, s4
	s_add_i32 s8, s36, s8
	;; [unrolled: 1-line block ×4, first 2 shown]
	s_lshl_b32 s23, s3, 2
	s_lshl_b64 s[4:5], s[30:31], 1
	s_lshl_b64 s[8:9], s[26:27], 1
	s_add_u32 s8, s4, s8
	s_addc_u32 s9, s5, s9
	s_lshl_b64 s[4:5], s[18:19], 1
	s_add_u32 s4, s20, s4
	s_addc_u32 s5, s21, s5
	s_add_u32 s4, s4, s8
	s_addc_u32 s5, s5, s9
	s_mov_b32 s29, 0
	v_lshl_add_u64 v[2:3], s[4:5], 0, v[2:3]
	s_mov_b64 s[8:9], 0
	s_movk_i32 s19, 0x7fff
	v_mov_b32_e32 v1, 0x7fc00000
	v_mov_b32_e32 v8, 0x7fc0
	s_mov_b32 s27, 0x5040100
	s_mov_b64 s[12:13], 0
	v_mov_b32_e32 v9, v0
.LBB51_9:                               ; =>This Inner Loop Header: Depth=1
	global_load_ushort v16, v[4:5], off
	v_lshl_add_u64 v[10:11], v[4:5], 0, s[24:25]
	v_lshl_add_u64 v[12:13], v[6:7], 0, s[12:13]
	global_load_ushort v17, v[10:11], off
	global_load_dword v14, v[12:13], off
	v_lshl_add_u64 v[10:11], v[2:3], 0, s[12:13]
	v_add_u32_e32 v9, s3, v9
	s_add_u32 s12, s12, s23
	s_addc_u32 s13, s13, 0
	v_cmp_le_i32_e32 vcc, s22, v9
	s_or_b64 s[8:9], vcc, s[8:9]
	v_lshl_add_u64 v[4:5], v[4:5], 0, s[28:29]
	s_waitcnt vmcnt(2)
	v_cvt_f32_f16_e32 v18, v16
	v_cmp_o_f16_e32 vcc, v16, v16
	s_waitcnt vmcnt(1)
	v_cvt_f32_f16_e32 v19, v17
	s_waitcnt vmcnt(0)
	v_and_b32_e32 v15, 0xffff0000, v14
	v_bfe_u32 v20, v18, 16, 1
	v_add3_u32 v18, v18, v20, s19
	v_bfe_u32 v20, v19, 16, 1
	v_and_b32_e32 v18, 0xffff0000, v18
	v_lshlrev_b32_e32 v14, 16, v14
	v_add3_u32 v19, v19, v20, s19
	v_cndmask_b32_e32 v16, v1, v18, vcc
	v_and_b32_e32 v19, 0xffff0000, v19
	v_cmp_o_f16_e32 vcc, v17, v17
	v_pk_mul_f32 v[16:17], v[16:17], v[14:15] op_sel_hi:[0,1]
	v_bfe_u32 v20, v17, 16, 1
	v_cndmask_b32_e32 v18, v1, v19, vcc
	v_bfe_u32 v19, v16, 16, 1
	v_pk_mul_f32 v[14:15], v[18:19], v[14:15] op_sel_hi:[0,1]
	v_add3_u32 v18, v17, v20, s19
	v_add3_u32 v19, v16, v19, s19
	v_bfe_u32 v20, v15, 16, 1
	v_bfe_u32 v21, v14, 16, 1
	v_and_b32_e32 v19, 0xffff0000, v19
	v_and_b32_e32 v18, 0xffff0000, v18
	v_add3_u32 v21, v14, v21, s19
	v_add3_u32 v20, v15, v20, s19
	v_cmp_o_f32_e32 vcc, v16, v16
	v_cmp_o_f32_e64 s[4:5], v17, v17
	v_and_b32_e32 v20, 0xffff0000, v20
	v_and_b32_e32 v21, 0xffff0000, v21
	v_cndmask_b32_e64 v17, v1, v18, s[4:5]
	v_cndmask_b32_e32 v16, v1, v19, vcc
	v_cmp_o_f32_e32 vcc, v15, v15
	v_cmp_o_f32_e64 s[4:5], v14, v14
	s_nop 0
	v_cndmask_b32_e32 v14, v1, v20, vcc
	v_cndmask_b32_e64 v15, v1, v21, s[4:5]
	v_pk_add_f32 v[18:19], v[16:17], v[14:15] neg_lo:[0,1] neg_hi:[0,1]
	v_pk_add_f32 v[14:15], v[16:17], v[14:15]
	v_cmp_o_f32_e64 s[4:5], v18, v18
	v_bfe_u32 v14, v18, 16, 1
	v_bfe_u32 v16, v15, 16, 1
	v_add3_u32 v16, v15, v16, s19
	v_add3_u32 v14, v18, v14, s19
	v_lshrrev_b32_e32 v14, 16, v14
	v_lshrrev_b32_e32 v16, 16, v16
	v_cmp_o_f32_e32 vcc, v15, v15
	v_cndmask_b32_e64 v14, v8, v14, s[4:5]
	s_nop 0
	v_cndmask_b32_e32 v15, v8, v16, vcc
	v_perm_b32 v14, v15, v14, s27
	global_store_dword v[12:13], v14, off
	global_store_dword v[10:11], v14, off
	s_andn2_b64 exec, exec, s[8:9]
	s_cbranch_execnz .LBB51_9
.LBB51_10:
	s_or_b64 exec, exec, s[34:35]
	v_cmp_gt_i32_e32 vcc, s18, v0
	s_and_saveexec_b64 s[4:5], vcc
	s_cbranch_execz .LBB51_13
; %bb.11:
	s_mul_i32 s3, s2, s11
	s_mul_hi_u32 s4, s2, s10
	s_add_i32 s3, s4, s3
	s_mul_i32 s2, s2, s10
	s_lshl_b64 s[2:3], s[2:3], 1
	s_add_u32 s2, s14, s2
	s_addc_u32 s3, s15, s3
	s_ashr_i32 s4, s16, 31
	s_mul_i32 s4, s6, s4
	s_add_i32 s4, s37, s4
	s_add_i32 s31, s4, s38
	s_lshl_b64 s[4:5], s[30:31], 1
	s_add_u32 s4, s20, s4
	s_addc_u32 s5, s21, s5
	s_ashr_i32 s6, s17, 31
	s_mul_i32 s33, s33, s6
	s_load_dword s8, s[0:1], 0x8c
	s_add_i32 s6, s36, s33
	s_add_i32 s27, s6, s7
	s_lshl_b64 s[0:1], s[26:27], 1
	s_add_u32 s0, s4, s0
	s_addc_u32 s1, s5, s1
	s_waitcnt lgkmcnt(0)
	s_and_b32 s6, s8, 0xffff
	s_mov_b64 s[4:5], 0
.LBB51_12:                              ; =>This Inner Loop Header: Depth=1
	v_ashrrev_i32_e32 v1, 31, v0
	v_lshlrev_b64 v[2:3], 1, v[0:1]
	v_lshl_add_u64 v[4:5], s[2:3], 0, v[2:3]
	global_load_ushort v1, v[4:5], off
	v_add_u32_e32 v0, s6, v0
	v_cmp_le_i32_e32 vcc, s18, v0
	v_lshl_add_u64 v[2:3], s[0:1], 0, v[2:3]
	s_or_b64 s[4:5], vcc, s[4:5]
	s_waitcnt vmcnt(0)
	global_store_short v[2:3], v1, off
	s_andn2_b64 exec, exec, s[4:5]
	s_cbranch_execnz .LBB51_12
.LBB51_13:
	s_endpgm
.LBB51_14:
                                        ; implicit-def: $sgpr6_sgpr7
	s_branch .LBB51_6
	.section	.rodata,"a",@progbits
	.p2align	6, 0x0
	.amdhsa_kernel _ZN4vllm38concat_and_cache_mla_rope_fused_kernelIN3c108BFloat16ENS1_4HalfELb0E14__hip_bfloat16S4_LNS_18Fp8KVCacheDataTypeE0EEEvPKlPT_S9_PKS8_PKT0_illlliPT3_S7_iiiiPKf
		.amdhsa_group_segment_fixed_size 0
		.amdhsa_private_segment_fixed_size 0
		.amdhsa_kernarg_size 384
		.amdhsa_user_sgpr_count 2
		.amdhsa_user_sgpr_dispatch_ptr 0
		.amdhsa_user_sgpr_queue_ptr 0
		.amdhsa_user_sgpr_kernarg_segment_ptr 1
		.amdhsa_user_sgpr_dispatch_id 0
		.amdhsa_user_sgpr_kernarg_preload_length 0
		.amdhsa_user_sgpr_kernarg_preload_offset 0
		.amdhsa_user_sgpr_private_segment_size 0
		.amdhsa_uses_dynamic_stack 0
		.amdhsa_enable_private_segment 0
		.amdhsa_system_sgpr_workgroup_id_x 1
		.amdhsa_system_sgpr_workgroup_id_y 0
		.amdhsa_system_sgpr_workgroup_id_z 0
		.amdhsa_system_sgpr_workgroup_info 0
		.amdhsa_system_vgpr_workitem_id 0
		.amdhsa_next_free_vgpr 22
		.amdhsa_next_free_sgpr 43
		.amdhsa_accum_offset 24
		.amdhsa_reserve_vcc 1
		.amdhsa_float_round_mode_32 0
		.amdhsa_float_round_mode_16_64 0
		.amdhsa_float_denorm_mode_32 3
		.amdhsa_float_denorm_mode_16_64 3
		.amdhsa_dx10_clamp 1
		.amdhsa_ieee_mode 1
		.amdhsa_fp16_overflow 0
		.amdhsa_tg_split 0
		.amdhsa_exception_fp_ieee_invalid_op 0
		.amdhsa_exception_fp_denorm_src 0
		.amdhsa_exception_fp_ieee_div_zero 0
		.amdhsa_exception_fp_ieee_overflow 0
		.amdhsa_exception_fp_ieee_underflow 0
		.amdhsa_exception_fp_ieee_inexact 0
		.amdhsa_exception_int_div_zero 0
	.end_amdhsa_kernel
	.section	.text._ZN4vllm38concat_and_cache_mla_rope_fused_kernelIN3c108BFloat16ENS1_4HalfELb0E14__hip_bfloat16S4_LNS_18Fp8KVCacheDataTypeE0EEEvPKlPT_S9_PKS8_PKT0_illlliPT3_S7_iiiiPKf,"axG",@progbits,_ZN4vllm38concat_and_cache_mla_rope_fused_kernelIN3c108BFloat16ENS1_4HalfELb0E14__hip_bfloat16S4_LNS_18Fp8KVCacheDataTypeE0EEEvPKlPT_S9_PKS8_PKT0_illlliPT3_S7_iiiiPKf,comdat
.Lfunc_end51:
	.size	_ZN4vllm38concat_and_cache_mla_rope_fused_kernelIN3c108BFloat16ENS1_4HalfELb0E14__hip_bfloat16S4_LNS_18Fp8KVCacheDataTypeE0EEEvPKlPT_S9_PKS8_PKT0_illlliPT3_S7_iiiiPKf, .Lfunc_end51-_ZN4vllm38concat_and_cache_mla_rope_fused_kernelIN3c108BFloat16ENS1_4HalfELb0E14__hip_bfloat16S4_LNS_18Fp8KVCacheDataTypeE0EEEvPKlPT_S9_PKS8_PKT0_illlliPT3_S7_iiiiPKf
                                        ; -- End function
	.section	.AMDGPU.csdata,"",@progbits
; Kernel info:
; codeLenInByte = 2580
; NumSgprs: 49
; NumVgprs: 22
; NumAgprs: 0
; TotalNumVgprs: 22
; ScratchSize: 0
; MemoryBound: 0
; FloatMode: 240
; IeeeMode: 1
; LDSByteSize: 0 bytes/workgroup (compile time only)
; SGPRBlocks: 6
; VGPRBlocks: 2
; NumSGPRsForWavesPerEU: 49
; NumVGPRsForWavesPerEU: 22
; AccumOffset: 24
; Occupancy: 8
; WaveLimiterHint : 1
; COMPUTE_PGM_RSRC2:SCRATCH_EN: 0
; COMPUTE_PGM_RSRC2:USER_SGPR: 2
; COMPUTE_PGM_RSRC2:TRAP_HANDLER: 0
; COMPUTE_PGM_RSRC2:TGID_X_EN: 1
; COMPUTE_PGM_RSRC2:TGID_Y_EN: 0
; COMPUTE_PGM_RSRC2:TGID_Z_EN: 0
; COMPUTE_PGM_RSRC2:TIDIG_COMP_CNT: 0
; COMPUTE_PGM_RSRC3_GFX90A:ACCUM_OFFSET: 5
; COMPUTE_PGM_RSRC3_GFX90A:TG_SPLIT: 0
	.section	.text._ZN4vllm38concat_and_cache_mla_rope_fused_kernelIN3c108BFloat16ES2_Lb1E14__hip_bfloat16S3_LNS_18Fp8KVCacheDataTypeE0EEEvPKlPT_S8_PKS7_PKT0_illlliPT3_S6_iiiiPKf,"axG",@progbits,_ZN4vllm38concat_and_cache_mla_rope_fused_kernelIN3c108BFloat16ES2_Lb1E14__hip_bfloat16S3_LNS_18Fp8KVCacheDataTypeE0EEEvPKlPT_S8_PKS7_PKT0_illlliPT3_S6_iiiiPKf,comdat
	.protected	_ZN4vllm38concat_and_cache_mla_rope_fused_kernelIN3c108BFloat16ES2_Lb1E14__hip_bfloat16S3_LNS_18Fp8KVCacheDataTypeE0EEEvPKlPT_S8_PKS7_PKT0_illlliPT3_S6_iiiiPKf ; -- Begin function _ZN4vllm38concat_and_cache_mla_rope_fused_kernelIN3c108BFloat16ES2_Lb1E14__hip_bfloat16S3_LNS_18Fp8KVCacheDataTypeE0EEEvPKlPT_S8_PKS7_PKT0_illlliPT3_S6_iiiiPKf
	.globl	_ZN4vllm38concat_and_cache_mla_rope_fused_kernelIN3c108BFloat16ES2_Lb1E14__hip_bfloat16S3_LNS_18Fp8KVCacheDataTypeE0EEEvPKlPT_S8_PKS7_PKT0_illlliPT3_S6_iiiiPKf
	.p2align	8
	.type	_ZN4vllm38concat_and_cache_mla_rope_fused_kernelIN3c108BFloat16ES2_Lb1E14__hip_bfloat16S3_LNS_18Fp8KVCacheDataTypeE0EEEvPKlPT_S8_PKS7_PKT0_illlliPT3_S6_iiiiPKf,@function
_ZN4vllm38concat_and_cache_mla_rope_fused_kernelIN3c108BFloat16ES2_Lb1E14__hip_bfloat16S3_LNS_18Fp8KVCacheDataTypeE0EEEvPKlPT_S8_PKS7_PKT0_illlliPT3_S6_iiiiPKf: ; @_ZN4vllm38concat_and_cache_mla_rope_fused_kernelIN3c108BFloat16ES2_Lb1E14__hip_bfloat16S3_LNS_18Fp8KVCacheDataTypeE0EEEvPKlPT_S8_PKS7_PKT0_illlliPT3_S6_iiiiPKf
; %bb.0:
	s_load_dwordx2 s[6:7], s[0:1], 0x60
	s_mov_b32 s3, 0
	s_lshl_b64 s[4:5], s[2:3], 3
	s_waitcnt lgkmcnt(0)
	s_add_u32 s6, s6, s4
	s_addc_u32 s7, s7, s5
	s_load_dwordx2 s[30:31], s[6:7], 0x0
	s_waitcnt lgkmcnt(0)
	v_cmp_lt_i64_e64 s[6:7], s[30:31], 0
	s_and_b64 vcc, exec, s[6:7]
	s_cbranch_vccnz .LBB52_13
; %bb.1:
	s_load_dword s3, s[0:1], 0x28
	s_load_dwordx2 s[6:7], s[0:1], 0x0
	s_load_dwordx4 s[16:19], s[0:1], 0x10
	s_waitcnt lgkmcnt(0)
	s_ashr_i32 s22, s3, 31
	s_add_u32 s4, s6, s4
	s_addc_u32 s5, s7, s5
	s_load_dwordx2 s[6:7], s[4:5], 0x0
	s_load_dwordx2 s[26:27], s[0:1], 0x20
	s_load_dwordx8 s[8:15], s[0:1], 0x30
	s_load_dwordx2 s[20:21], s[0:1], 0x58
	s_load_dword s25, s[0:1], 0x50
	s_waitcnt lgkmcnt(0)
	s_mul_i32 s4, s6, s22
	s_mul_hi_u32 s5, s6, s3
	s_mul_i32 s7, s7, s3
	s_add_i32 s4, s5, s4
	s_add_i32 s5, s4, s7
	s_mul_i32 s4, s6, s3
	s_lshl_b64 s[28:29], s[4:5], 1
	s_add_u32 s22, s26, s28
	s_addc_u32 s23, s27, s29
	s_lshr_b32 s4, s3, 31
	s_add_i32 s3, s3, s4
	s_ashr_i32 s24, s3, 1
	s_mul_i32 s3, s24, s25
	v_cmp_gt_i32_e32 vcc, s3, v0
	s_and_saveexec_b64 s[34:35], vcc
	s_cbranch_execz .LBB52_4
; %bb.2:
	s_load_dwordx2 s[4:5], s[0:1], 0x8
	s_mul_i32 s6, s2, s9
	s_mul_hi_u32 s7, s2, s8
	s_add_i32 s7, s7, s6
	s_mul_i32 s6, s2, s8
	s_load_dword s8, s[0:1], 0x8c
	s_ashr_i32 s25, s24, 31
	s_lshl_b64 s[6:7], s[6:7], 1
	s_waitcnt lgkmcnt(0)
	s_add_u32 s36, s4, s6
	s_addc_u32 s37, s5, s7
	s_abs_i32 s33, s24
	v_cvt_f32_u32_e32 v1, s33
	s_sub_i32 s4, 0, s33
	s_mov_b64 s[38:39], 0
	s_and_b32 s42, s8, 0xffff
	v_rcp_iflag_f32_e32 v1, v1
	s_sub_i32 s43, 0, s24
	s_lshl_b64 s[40:41], s[24:25], 1
	s_movk_i32 s44, 0x7fff
	v_mul_f32_e32 v1, 0x4f7ffffe, v1
	v_cvt_u32_f32_e32 v1, v1
	v_mov_b32_e32 v3, 0x7fc00000
	v_mov_b32_e32 v4, 0x7fc0
	v_mul_lo_u32 v2, s4, v1
	v_mul_hi_u32 v2, v1, v2
	v_add_u32_e32 v1, v1, v2
	v_mov_b32_e32 v2, v0
.LBB52_3:                               ; =>This Inner Loop Header: Depth=1
	v_sub_u32_e32 v6, 0, v2
	v_max_i32_e32 v6, v2, v6
	v_mul_hi_u32 v7, v6, v1
	v_mul_lo_u32 v8, v7, s33
	v_sub_u32_e32 v6, v6, v8
	v_add_u32_e32 v9, 1, v7
	v_cmp_le_u32_e32 vcc, s33, v6
	v_subrev_u32_e32 v8, s33, v6
	v_ashrrev_i32_e32 v5, 31, v2
	v_cndmask_b32_e32 v7, v7, v9, vcc
	v_cndmask_b32_e32 v6, v6, v8, vcc
	v_add_u32_e32 v8, 1, v7
	v_cmp_le_u32_e32 vcc, s33, v6
	v_xor_b32_e32 v5, s25, v5
	s_nop 0
	v_cndmask_b32_e32 v6, v7, v8, vcc
	v_xor_b32_e32 v6, v6, v5
	v_sub_u32_e32 v5, v6, v5
	v_mad_u64_u32 v[6:7], s[4:5], s43, v5, v[2:3]
	v_ashrrev_i32_e32 v10, 31, v5
	v_ashrrev_i32_e32 v7, 31, v6
	v_mul_lo_u32 v11, v5, s11
	v_mad_u64_u32 v[8:9], s[4:5], v5, s10, 0
	v_mul_lo_u32 v5, v10, s10
	v_lshlrev_b64 v[6:7], 1, v[6:7]
	v_add3_u32 v9, v9, v11, v5
	v_lshl_add_u64 v[10:11], s[22:23], 0, v[6:7]
	v_lshl_add_u64 v[8:9], v[8:9], 1, s[36:37]
	;; [unrolled: 1-line block ×4, first 2 shown]
	global_load_ushort v5, v[12:13], off
	global_load_ushort v14, v[10:11], off
	v_lshl_add_u64 v[8:9], v[6:7], 0, s[40:41]
	global_load_ushort v12, v[6:7], off
	global_load_ushort v13, v[8:9], off
	v_add_u32_e32 v2, s42, v2
	v_cmp_le_i32_e32 vcc, s3, v2
	s_or_b64 s[38:39], vcc, s[38:39]
	s_waitcnt vmcnt(3)
	v_lshlrev_b32_e32 v10, 16, v5
	s_waitcnt vmcnt(2)
	v_lshlrev_b32_e32 v11, 16, v14
	;; [unrolled: 2-line block ×4, first 2 shown]
	v_mov_b32_e32 v14, v11
	v_mov_b32_e32 v15, v10
	v_pk_mul_f32 v[14:15], v[14:15], v[12:13]
	v_pk_mul_f32 v[10:11], v[10:11], v[12:13]
	v_bfe_u32 v5, v14, 16, 1
	v_bfe_u32 v12, v15, 16, 1
	;; [unrolled: 1-line block ×4, first 2 shown]
	v_add3_u32 v12, v15, v12, s44
	v_add3_u32 v5, v14, v5, s44
	;; [unrolled: 1-line block ×4, first 2 shown]
	v_and_b32_e32 v5, 0xffff0000, v5
	v_and_b32_e32 v12, 0xffff0000, v12
	v_cmp_o_f32_e32 vcc, v14, v14
	v_cmp_o_f32_e64 s[8:9], v15, v15
	v_and_b32_e32 v13, 0xffff0000, v13
	v_and_b32_e32 v14, 0xffff0000, v16
	v_cmp_o_f32_e64 s[4:5], v11, v11
	v_cmp_o_f32_e64 s[6:7], v10, v10
	v_cndmask_b32_e64 v10, v3, v12, s[8:9]
	v_cndmask_b32_e32 v5, v3, v5, vcc
	v_cndmask_b32_e64 v11, v3, v14, s[4:5]
	v_cndmask_b32_e64 v12, v3, v13, s[6:7]
	v_sub_f32_e32 v5, v5, v10
	v_add_f32_e32 v10, v12, v11
	v_bfe_u32 v11, v5, 16, 1
	v_bfe_u32 v12, v10, 16, 1
	v_add3_u32 v11, v5, v11, s44
	v_add3_u32 v12, v10, v12, s44
	v_lshrrev_b32_e32 v11, 16, v11
	v_cmp_o_f32_e64 s[4:5], v5, v5
	v_lshrrev_b32_e32 v12, 16, v12
	v_cmp_o_f32_e32 vcc, v10, v10
	v_cndmask_b32_e64 v5, v4, v11, s[4:5]
	s_nop 0
	v_cndmask_b32_e32 v10, v4, v12, vcc
	global_store_short v[6:7], v5, off
	global_store_short v[8:9], v10, off
	s_andn2_b64 exec, exec, s[38:39]
	s_cbranch_execnz .LBB52_3
.LBB52_4:
	s_or_b64 exec, exec, s[34:35]
	s_load_dwordx4 s[8:11], s[0:1], 0x68
	s_waitcnt lgkmcnt(0)
	s_ashr_i32 s7, s11, 31
	s_mov_b32 s6, s11
	s_or_b64 s[4:5], s[30:31], s[6:7]
	s_mov_b32 s4, 0
	s_cmp_lg_u64 s[4:5], 0
	s_cbranch_scc0 .LBB52_14
; %bb.5:
	s_add_u32 s4, s6, s7
	s_mov_b32 s34, s7
	s_mov_b32 s35, s7
	s_addc_u32 s5, s7, s7
	s_xor_b64 s[38:39], s[4:5], s[34:35]
	v_cvt_f32_u32_e32 v1, s38
	v_cvt_f32_u32_e32 v2, s39
	s_sub_u32 s3, 0, s38
	s_subb_u32 s4, 0, s39
	v_fmamk_f32 v1, v2, 0x4f800000, v1
	v_rcp_f32_e32 v1, v1
	s_nop 0
	v_mul_f32_e32 v1, 0x5f7ffffc, v1
	v_mul_f32_e32 v2, 0x2f800000, v1
	v_trunc_f32_e32 v2, v2
	v_fmamk_f32 v1, v2, 0xcf800000, v1
	v_cvt_u32_f32_e32 v2, v2
	v_cvt_u32_f32_e32 v1, v1
	v_readfirstlane_b32 s5, v2
	v_readfirstlane_b32 s11, v1
	s_mul_i32 s25, s3, s5
	s_mul_hi_u32 s40, s3, s11
	s_mul_i32 s33, s4, s11
	s_add_i32 s25, s40, s25
	s_add_i32 s25, s25, s33
	s_mul_i32 s41, s3, s11
	s_mul_hi_u32 s33, s11, s25
	s_mul_i32 s40, s11, s25
	s_mul_hi_u32 s11, s11, s41
	s_add_u32 s11, s11, s40
	s_addc_u32 s33, 0, s33
	s_mul_hi_u32 s42, s5, s41
	s_mul_i32 s41, s5, s41
	s_add_u32 s11, s11, s41
	s_mul_hi_u32 s40, s5, s25
	s_addc_u32 s11, s33, s42
	s_addc_u32 s33, s40, 0
	s_mul_i32 s25, s5, s25
	s_add_u32 s11, s11, s25
	s_addc_u32 s25, 0, s33
	v_add_co_u32_e32 v1, vcc, s11, v1
	s_cmp_lg_u64 vcc, 0
	s_addc_u32 s5, s5, s25
	v_readfirstlane_b32 s25, v1
	s_mul_i32 s11, s3, s5
	s_mul_hi_u32 s33, s3, s25
	s_add_i32 s11, s33, s11
	s_mul_i32 s4, s4, s25
	s_add_i32 s11, s11, s4
	s_mul_i32 s3, s3, s25
	s_mul_hi_u32 s33, s5, s3
	s_mul_i32 s40, s5, s3
	s_mul_i32 s42, s25, s11
	s_mul_hi_u32 s3, s25, s3
	s_mul_hi_u32 s41, s25, s11
	s_add_u32 s3, s3, s42
	s_addc_u32 s25, 0, s41
	s_add_u32 s3, s3, s40
	s_mul_hi_u32 s4, s5, s11
	s_addc_u32 s3, s25, s33
	s_addc_u32 s4, s4, 0
	s_mul_i32 s11, s5, s11
	s_add_u32 s3, s3, s11
	s_addc_u32 s4, 0, s4
	v_add_co_u32_e32 v1, vcc, s3, v1
	s_cmp_lg_u64 vcc, 0
	s_addc_u32 s3, s5, s4
	s_ashr_i32 s40, s31, 31
	s_add_u32 s4, s30, s40
	s_mov_b32 s41, s40
	s_addc_u32 s5, s31, s40
	s_xor_b64 s[42:43], s[4:5], s[40:41]
	v_readfirstlane_b32 s11, v1
	s_mul_i32 s5, s42, s3
	s_mul_hi_u32 s25, s42, s11
	s_mul_hi_u32 s4, s42, s3
	s_add_u32 s5, s25, s5
	s_addc_u32 s4, 0, s4
	s_mul_hi_u32 s33, s43, s11
	s_mul_i32 s11, s43, s11
	s_add_u32 s5, s5, s11
	s_mul_hi_u32 s25, s43, s3
	s_addc_u32 s4, s4, s33
	s_addc_u32 s5, s25, 0
	s_mul_i32 s3, s43, s3
	s_add_u32 s3, s4, s3
	s_addc_u32 s11, 0, s5
	s_mul_i32 s4, s38, s11
	s_mul_hi_u32 s5, s38, s3
	s_add_i32 s4, s5, s4
	s_mul_i32 s5, s39, s3
	s_add_i32 s25, s4, s5
	s_mul_i32 s5, s38, s3
	v_mov_b32_e32 v1, s5
	s_sub_i32 s4, s43, s25
	v_sub_co_u32_e32 v1, vcc, s42, v1
	s_cmp_lg_u64 vcc, 0
	s_subb_u32 s33, s4, s39
	v_subrev_co_u32_e64 v2, s[4:5], s38, v1
	s_cmp_lg_u64 s[4:5], 0
	s_subb_u32 s4, s33, 0
	s_cmp_ge_u32 s4, s39
	v_readfirstlane_b32 s33, v2
	s_cselect_b32 s5, -1, 0
	s_cmp_ge_u32 s33, s38
	s_cselect_b32 s33, -1, 0
	s_cmp_eq_u32 s4, s39
	s_cselect_b32 s4, s33, s5
	s_add_u32 s5, s3, 1
	s_addc_u32 s33, s11, 0
	s_add_u32 s42, s3, 2
	s_addc_u32 s44, s11, 0
	s_cmp_lg_u32 s4, 0
	s_cselect_b32 s4, s42, s5
	s_cselect_b32 s5, s44, s33
	s_cmp_lg_u64 vcc, 0
	s_subb_u32 s25, s43, s25
	s_cmp_ge_u32 s25, s39
	v_readfirstlane_b32 s42, v1
	s_cselect_b32 s33, -1, 0
	s_cmp_ge_u32 s42, s38
	s_cselect_b32 s38, -1, 0
	s_cmp_eq_u32 s25, s39
	s_cselect_b32 s25, s38, s33
	s_cmp_lg_u32 s25, 0
	s_cselect_b32 s5, s5, s11
	s_cselect_b32 s4, s4, s3
	s_xor_b64 s[34:35], s[40:41], s[34:35]
	s_xor_b64 s[4:5], s[4:5], s[34:35]
	s_sub_u32 s34, s4, s34
	s_subb_u32 s35, s5, s35
	s_cbranch_execnz .LBB52_7
.LBB52_6:
	v_cvt_f32_u32_e32 v1, s6
	s_sub_i32 s3, 0, s6
	s_mov_b32 s35, 0
	v_rcp_iflag_f32_e32 v1, v1
	s_nop 0
	v_mul_f32_e32 v1, 0x4f7ffffe, v1
	v_cvt_u32_f32_e32 v1, v1
	s_nop 0
	v_readfirstlane_b32 s4, v1
	s_mul_i32 s3, s3, s4
	s_mul_hi_u32 s3, s4, s3
	s_add_i32 s4, s4, s3
	s_mul_hi_u32 s3, s30, s4
	s_mul_i32 s5, s3, s6
	s_sub_i32 s5, s30, s5
	s_add_i32 s4, s3, 1
	s_sub_i32 s11, s5, s6
	s_cmp_ge_u32 s5, s6
	s_cselect_b32 s3, s4, s3
	s_cselect_b32 s5, s11, s5
	s_add_i32 s4, s3, 1
	s_cmp_ge_u32 s5, s6
	s_cselect_b32 s34, s4, s3
.LBB52_7:
	s_mul_i32 s3, s34, s7
	s_mul_hi_u32 s4, s34, s6
	s_add_i32 s3, s4, s3
	s_mul_i32 s4, s35, s6
	s_add_i32 s3, s3, s4
	s_mul_i32 s4, s34, s6
	s_sub_u32 s44, s30, s4
	s_subb_u32 s33, s31, s3
	v_cmp_gt_i32_e32 vcc, s24, v0
	s_mul_hi_u32 s45, s34, s8
	s_mul_i32 s46, s35, s8
	s_mul_i32 s36, s34, s8
	s_mul_hi_u32 s35, s44, s9
	s_mul_i32 s33, s33, s9
	s_mul_i32 s30, s44, s9
	s_and_saveexec_b64 s[38:39], vcc
	s_cbranch_execz .LBB52_10
; %bb.8:
	s_mul_i32 s3, s2, s13
	s_mul_hi_u32 s4, s2, s12
	s_add_i32 s5, s4, s3
	s_mul_i32 s4, s2, s12
	s_ashr_i32 s25, s24, 31
	s_lshl_b64 s[4:5], s[4:5], 1
	s_add_u32 s12, s16, s4
	s_addc_u32 s13, s17, s5
	s_ashr_i32 s3, s8, 31
	s_mul_i32 s3, s34, s3
	s_add_i32 s3, s45, s3
	s_add_i32 s37, s3, s46
	s_ashr_i32 s3, s9, 31
	s_mul_i32 s3, s44, s3
	s_add_i32 s3, s35, s3
	s_add_i32 s31, s3, s33
	s_lshl_b64 s[6:7], s[36:37], 1
	s_lshl_b64 s[40:41], s[30:31], 1
	s_add_u32 s31, s6, s40
	s_addc_u32 s37, s7, s41
	s_load_dword s42, s[0:1], 0x8c
	s_add_u32 s3, s31, s20
	s_addc_u32 s41, s37, s21
	s_ashr_i32 s11, s10, 31
	s_lshl_b64 s[6:7], s[10:11], 1
	s_add_u32 s40, s3, s6
	s_addc_u32 s41, s41, s7
	s_waitcnt lgkmcnt(0)
	s_and_b32 s3, s42, 0xffff
	s_lshl_b32 s11, s3, 1
	s_lshl_b64 s[42:43], s[24:25], 1
	s_add_u32 s25, s28, s42
	s_addc_u32 s28, s29, s43
	s_add_u32 s26, s26, s25
	s_addc_u32 s27, s27, s28
	;; [unrolled: 2-line block ×6, first 2 shown]
	s_add_u32 s28, s20, s4
	v_lshlrev_b32_e32 v2, 1, v0
	v_mov_b32_e32 v3, 0
	s_addc_u32 s29, s21, s5
	s_mov_b64 s[42:43], 0
	s_movk_i32 s25, 0x7fff
	v_mov_b32_e32 v1, 0x7fc00000
	v_mov_b32_e32 v8, 0x7fc0
	;; [unrolled: 1-line block ×3, first 2 shown]
.LBB52_9:                               ; =>This Inner Loop Header: Depth=1
	v_lshl_add_u64 v[6:7], s[16:17], 0, v[2:3]
	v_lshl_add_u64 v[10:11], s[22:23], 0, v[2:3]
	v_lshl_add_u64 v[12:13], s[26:27], 0, v[2:3]
	v_lshl_add_u64 v[4:5], s[12:13], 0, v[2:3]
	global_load_ushort v14, v[6:7], off
	global_load_ushort v16, v[12:13], off
	;; [unrolled: 1-line block ×4, first 2 shown]
	s_add_u32 s22, s22, s11
	s_addc_u32 s23, s23, 0
	s_add_u32 s26, s26, s11
	s_addc_u32 s27, s27, 0
	;; [unrolled: 2-line block ×4, first 2 shown]
	v_lshl_add_u64 v[12:13], s[28:29], 0, v[2:3]
	s_add_u32 s28, s28, s11
	s_addc_u32 s29, s29, 0
	v_lshl_add_u64 v[10:11], s[40:41], 0, v[2:3]
	v_add_u32_e32 v9, s3, v9
	s_add_u32 s40, s40, s11
	v_cmp_le_i32_e32 vcc, s24, v9
	s_addc_u32 s41, s41, 0
	s_or_b64 s[42:43], vcc, s[42:43]
	s_waitcnt vmcnt(3)
	v_lshlrev_b32_e32 v15, 16, v14
	s_waitcnt vmcnt(2)
	v_lshlrev_b32_e32 v16, 16, v16
	;; [unrolled: 2-line block ×4, first 2 shown]
	v_mov_b32_e32 v18, v17
	v_mov_b32_e32 v19, v16
	v_pk_mul_f32 v[16:17], v[16:17], v[14:15]
	v_pk_mul_f32 v[14:15], v[18:19], v[14:15]
	v_bfe_u32 v18, v16, 16, 1
	v_bfe_u32 v19, v17, 16, 1
	;; [unrolled: 1-line block ×4, first 2 shown]
	v_add3_u32 v19, v17, v19, s25
	v_add3_u32 v18, v16, v18, s25
	;; [unrolled: 1-line block ×4, first 2 shown]
	v_and_b32_e32 v18, 0xffff0000, v18
	v_and_b32_e32 v19, 0xffff0000, v19
	v_cmp_o_f32_e32 vcc, v16, v16
	v_cmp_o_f32_e64 s[4:5], v17, v17
	v_and_b32_e32 v16, 0xffff0000, v20
	v_and_b32_e32 v17, 0xffff0000, v21
	v_cmp_o_f32_e64 s[6:7], v14, v14
	v_cndmask_b32_e64 v14, v1, v19, s[4:5]
	v_cndmask_b32_e32 v18, v1, v18, vcc
	v_cmp_o_f32_e32 vcc, v15, v15
	v_cndmask_b32_e64 v16, v1, v16, s[6:7]
	v_add_f32_e32 v14, v18, v14
	v_cndmask_b32_e32 v15, v1, v17, vcc
	v_sub_f32_e32 v15, v16, v15
	v_bfe_u32 v16, v14, 16, 1
	v_bfe_u32 v17, v15, 16, 1
	v_add3_u32 v16, v14, v16, s25
	v_add3_u32 v17, v15, v17, s25
	v_lshrrev_b32_e32 v16, 16, v16
	v_cmp_o_f32_e32 vcc, v14, v14
	v_lshrrev_b32_e32 v14, 16, v17
	s_nop 0
	v_cndmask_b32_e32 v16, v8, v16, vcc
	v_cmp_o_f32_e32 vcc, v15, v15
	s_nop 1
	v_cndmask_b32_e32 v14, v8, v14, vcc
	global_store_short v[4:5], v14, off
	global_store_short v[6:7], v16, off
	;; [unrolled: 1-line block ×4, first 2 shown]
	s_andn2_b64 exec, exec, s[42:43]
	s_cbranch_execnz .LBB52_9
.LBB52_10:
	s_or_b64 exec, exec, s[38:39]
	v_cmp_gt_i32_e32 vcc, s10, v0
	s_and_saveexec_b64 s[4:5], vcc
	s_cbranch_execz .LBB52_13
; %bb.11:
	s_mul_i32 s3, s2, s15
	s_mul_hi_u32 s4, s2, s14
	s_add_i32 s3, s4, s3
	s_mul_i32 s2, s2, s14
	s_lshl_b64 s[2:3], s[2:3], 1
	s_add_u32 s2, s18, s2
	s_addc_u32 s3, s19, s3
	s_ashr_i32 s4, s8, 31
	s_mul_i32 s4, s34, s4
	s_add_i32 s4, s45, s4
	s_add_i32 s37, s4, s46
	s_lshl_b64 s[4:5], s[36:37], 1
	s_add_u32 s4, s20, s4
	s_addc_u32 s5, s21, s5
	s_ashr_i32 s6, s9, 31
	s_mul_i32 s44, s44, s6
	s_load_dword s7, s[0:1], 0x8c
	s_add_i32 s6, s35, s44
	s_add_i32 s31, s6, s33
	s_lshl_b64 s[0:1], s[30:31], 1
	s_add_u32 s0, s4, s0
	s_addc_u32 s1, s5, s1
	s_waitcnt lgkmcnt(0)
	s_and_b32 s6, s7, 0xffff
	s_mov_b64 s[4:5], 0
.LBB52_12:                              ; =>This Inner Loop Header: Depth=1
	v_ashrrev_i32_e32 v1, 31, v0
	v_lshlrev_b64 v[2:3], 1, v[0:1]
	v_lshl_add_u64 v[4:5], s[2:3], 0, v[2:3]
	global_load_ushort v1, v[4:5], off
	v_add_u32_e32 v0, s6, v0
	v_cmp_le_i32_e32 vcc, s10, v0
	v_lshl_add_u64 v[2:3], s[0:1], 0, v[2:3]
	s_or_b64 s[4:5], vcc, s[4:5]
	s_waitcnt vmcnt(0)
	global_store_short v[2:3], v1, off
	s_andn2_b64 exec, exec, s[4:5]
	s_cbranch_execnz .LBB52_12
.LBB52_13:
	s_endpgm
.LBB52_14:
                                        ; implicit-def: $sgpr34_sgpr35
	s_branch .LBB52_6
	.section	.rodata,"a",@progbits
	.p2align	6, 0x0
	.amdhsa_kernel _ZN4vllm38concat_and_cache_mla_rope_fused_kernelIN3c108BFloat16ES2_Lb1E14__hip_bfloat16S3_LNS_18Fp8KVCacheDataTypeE0EEEvPKlPT_S8_PKS7_PKT0_illlliPT3_S6_iiiiPKf
		.amdhsa_group_segment_fixed_size 0
		.amdhsa_private_segment_fixed_size 0
		.amdhsa_kernarg_size 384
		.amdhsa_user_sgpr_count 2
		.amdhsa_user_sgpr_dispatch_ptr 0
		.amdhsa_user_sgpr_queue_ptr 0
		.amdhsa_user_sgpr_kernarg_segment_ptr 1
		.amdhsa_user_sgpr_dispatch_id 0
		.amdhsa_user_sgpr_kernarg_preload_length 0
		.amdhsa_user_sgpr_kernarg_preload_offset 0
		.amdhsa_user_sgpr_private_segment_size 0
		.amdhsa_uses_dynamic_stack 0
		.amdhsa_enable_private_segment 0
		.amdhsa_system_sgpr_workgroup_id_x 1
		.amdhsa_system_sgpr_workgroup_id_y 0
		.amdhsa_system_sgpr_workgroup_id_z 0
		.amdhsa_system_sgpr_workgroup_info 0
		.amdhsa_system_vgpr_workitem_id 0
		.amdhsa_next_free_vgpr 22
		.amdhsa_next_free_sgpr 47
		.amdhsa_accum_offset 24
		.amdhsa_reserve_vcc 1
		.amdhsa_float_round_mode_32 0
		.amdhsa_float_round_mode_16_64 0
		.amdhsa_float_denorm_mode_32 3
		.amdhsa_float_denorm_mode_16_64 3
		.amdhsa_dx10_clamp 1
		.amdhsa_ieee_mode 1
		.amdhsa_fp16_overflow 0
		.amdhsa_tg_split 0
		.amdhsa_exception_fp_ieee_invalid_op 0
		.amdhsa_exception_fp_denorm_src 0
		.amdhsa_exception_fp_ieee_div_zero 0
		.amdhsa_exception_fp_ieee_overflow 0
		.amdhsa_exception_fp_ieee_underflow 0
		.amdhsa_exception_fp_ieee_inexact 0
		.amdhsa_exception_int_div_zero 0
	.end_amdhsa_kernel
	.section	.text._ZN4vllm38concat_and_cache_mla_rope_fused_kernelIN3c108BFloat16ES2_Lb1E14__hip_bfloat16S3_LNS_18Fp8KVCacheDataTypeE0EEEvPKlPT_S8_PKS7_PKT0_illlliPT3_S6_iiiiPKf,"axG",@progbits,_ZN4vllm38concat_and_cache_mla_rope_fused_kernelIN3c108BFloat16ES2_Lb1E14__hip_bfloat16S3_LNS_18Fp8KVCacheDataTypeE0EEEvPKlPT_S8_PKS7_PKT0_illlliPT3_S6_iiiiPKf,comdat
.Lfunc_end52:
	.size	_ZN4vllm38concat_and_cache_mla_rope_fused_kernelIN3c108BFloat16ES2_Lb1E14__hip_bfloat16S3_LNS_18Fp8KVCacheDataTypeE0EEEvPKlPT_S8_PKS7_PKT0_illlliPT3_S6_iiiiPKf, .Lfunc_end52-_ZN4vllm38concat_and_cache_mla_rope_fused_kernelIN3c108BFloat16ES2_Lb1E14__hip_bfloat16S3_LNS_18Fp8KVCacheDataTypeE0EEEvPKlPT_S8_PKS7_PKT0_illlliPT3_S6_iiiiPKf
                                        ; -- End function
	.section	.AMDGPU.csdata,"",@progbits
; Kernel info:
; codeLenInByte = 2504
; NumSgprs: 53
; NumVgprs: 22
; NumAgprs: 0
; TotalNumVgprs: 22
; ScratchSize: 0
; MemoryBound: 0
; FloatMode: 240
; IeeeMode: 1
; LDSByteSize: 0 bytes/workgroup (compile time only)
; SGPRBlocks: 6
; VGPRBlocks: 2
; NumSGPRsForWavesPerEU: 53
; NumVGPRsForWavesPerEU: 22
; AccumOffset: 24
; Occupancy: 8
; WaveLimiterHint : 1
; COMPUTE_PGM_RSRC2:SCRATCH_EN: 0
; COMPUTE_PGM_RSRC2:USER_SGPR: 2
; COMPUTE_PGM_RSRC2:TRAP_HANDLER: 0
; COMPUTE_PGM_RSRC2:TGID_X_EN: 1
; COMPUTE_PGM_RSRC2:TGID_Y_EN: 0
; COMPUTE_PGM_RSRC2:TGID_Z_EN: 0
; COMPUTE_PGM_RSRC2:TIDIG_COMP_CNT: 0
; COMPUTE_PGM_RSRC3_GFX90A:ACCUM_OFFSET: 5
; COMPUTE_PGM_RSRC3_GFX90A:TG_SPLIT: 0
	.section	.text._ZN4vllm38concat_and_cache_mla_rope_fused_kernelIN3c108BFloat16ES2_Lb0E14__hip_bfloat16S3_LNS_18Fp8KVCacheDataTypeE0EEEvPKlPT_S8_PKS7_PKT0_illlliPT3_S6_iiiiPKf,"axG",@progbits,_ZN4vllm38concat_and_cache_mla_rope_fused_kernelIN3c108BFloat16ES2_Lb0E14__hip_bfloat16S3_LNS_18Fp8KVCacheDataTypeE0EEEvPKlPT_S8_PKS7_PKT0_illlliPT3_S6_iiiiPKf,comdat
	.protected	_ZN4vllm38concat_and_cache_mla_rope_fused_kernelIN3c108BFloat16ES2_Lb0E14__hip_bfloat16S3_LNS_18Fp8KVCacheDataTypeE0EEEvPKlPT_S8_PKS7_PKT0_illlliPT3_S6_iiiiPKf ; -- Begin function _ZN4vllm38concat_and_cache_mla_rope_fused_kernelIN3c108BFloat16ES2_Lb0E14__hip_bfloat16S3_LNS_18Fp8KVCacheDataTypeE0EEEvPKlPT_S8_PKS7_PKT0_illlliPT3_S6_iiiiPKf
	.globl	_ZN4vllm38concat_and_cache_mla_rope_fused_kernelIN3c108BFloat16ES2_Lb0E14__hip_bfloat16S3_LNS_18Fp8KVCacheDataTypeE0EEEvPKlPT_S8_PKS7_PKT0_illlliPT3_S6_iiiiPKf
	.p2align	8
	.type	_ZN4vllm38concat_and_cache_mla_rope_fused_kernelIN3c108BFloat16ES2_Lb0E14__hip_bfloat16S3_LNS_18Fp8KVCacheDataTypeE0EEEvPKlPT_S8_PKS7_PKT0_illlliPT3_S6_iiiiPKf,@function
_ZN4vllm38concat_and_cache_mla_rope_fused_kernelIN3c108BFloat16ES2_Lb0E14__hip_bfloat16S3_LNS_18Fp8KVCacheDataTypeE0EEEvPKlPT_S8_PKS7_PKT0_illlliPT3_S6_iiiiPKf: ; @_ZN4vllm38concat_and_cache_mla_rope_fused_kernelIN3c108BFloat16ES2_Lb0E14__hip_bfloat16S3_LNS_18Fp8KVCacheDataTypeE0EEEvPKlPT_S8_PKS7_PKT0_illlliPT3_S6_iiiiPKf
; %bb.0:
	s_load_dwordx2 s[6:7], s[0:1], 0x60
	s_mov_b32 s3, 0
	s_lshl_b64 s[4:5], s[2:3], 3
	s_waitcnt lgkmcnt(0)
	s_add_u32 s6, s6, s4
	s_addc_u32 s7, s7, s5
	s_load_dwordx2 s[26:27], s[6:7], 0x0
	s_waitcnt lgkmcnt(0)
	v_cmp_lt_i64_e64 s[6:7], s[26:27], 0
	s_and_b64 vcc, exec, s[6:7]
	s_cbranch_vccnz .LBB53_13
; %bb.1:
	s_load_dword s3, s[0:1], 0x28
	s_load_dwordx2 s[6:7], s[0:1], 0x0
	s_load_dwordx4 s[12:15], s[0:1], 0x10
	v_lshlrev_b32_e32 v2, 1, v0
	s_waitcnt lgkmcnt(0)
	s_ashr_i32 s22, s3, 31
	s_add_u32 s16, s6, s4
	s_addc_u32 s17, s7, s5
	s_load_dwordx2 s[18:19], s[16:17], 0x0
	s_load_dwordx2 s[24:25], s[0:1], 0x20
	s_load_dwordx8 s[4:11], s[0:1], 0x30
	s_load_dwordx2 s[20:21], s[0:1], 0x58
	s_load_dword s23, s[0:1], 0x50
	s_waitcnt lgkmcnt(0)
	s_mul_i32 s16, s18, s22
	s_mul_hi_u32 s17, s18, s3
	s_mul_i32 s19, s19, s3
	s_add_i32 s16, s17, s16
	s_add_i32 s29, s16, s19
	s_lshr_b32 s16, s3, 31
	s_mul_i32 s28, s18, s3
	s_add_i32 s3, s3, s16
	s_ashr_i32 s22, s3, 1
	s_mul_i32 s3, s22, s23
	v_cmp_gt_i32_e32 vcc, s3, v0
	s_and_saveexec_b64 s[16:17], vcc
	s_cbranch_execz .LBB53_4
; %bb.2:
	s_load_dwordx2 s[30:31], s[0:1], 0x8
	s_load_dword s34, s[0:1], 0x8c
	s_lshl_b64 s[18:19], s[28:29], 1
	s_add_u32 s18, s24, s18
	s_mul_i32 s5, s2, s5
	s_mul_hi_u32 s33, s2, s4
	s_addc_u32 s19, s25, s19
	s_add_i32 s5, s33, s5
	s_mul_i32 s4, s2, s4
	s_ashr_i32 s23, s22, 31
	s_lshl_b64 s[4:5], s[4:5], 1
	s_waitcnt lgkmcnt(0)
	s_add_u32 s30, s30, s4
	s_addc_u32 s31, s31, s5
	s_abs_i32 s33, s22
	v_cvt_f32_u32_e32 v1, s33
	s_sub_i32 s4, 0, s33
	s_and_b32 s36, s34, 0xffff
	s_sub_i32 s37, 0, s22
	v_rcp_iflag_f32_e32 v1, v1
	s_lshl_b32 s39, s36, 1
	s_mov_b64 s[34:35], 0
	s_movk_i32 s40, 0x7fff
	v_mul_f32_e32 v1, 0x4f7ffffe, v1
	v_cvt_u32_f32_e32 v1, v1
	v_mov_b32_e32 v5, 0x7fc0
	s_mov_b32 s41, 0x5040100
	v_mov_b32_e32 v4, v2
	v_mul_lo_u32 v3, s4, v1
	v_mul_hi_u32 v3, v1, v3
	s_lshl_b32 s4, s22, 1
	v_add_u32_e32 v1, v1, v3
	s_sub_i32 s38, 0, s4
	v_mov_b32_e32 v3, 0x7fc00000
	v_mov_b32_e32 v6, v0
.LBB53_3:                               ; =>This Inner Loop Header: Depth=1
	v_sub_u32_e32 v8, 0, v6
	v_max_i32_e32 v8, v6, v8
	v_mul_hi_u32 v9, v8, v1
	v_mul_lo_u32 v10, v9, s33
	v_sub_u32_e32 v8, v8, v10
	v_add_u32_e32 v11, 1, v9
	v_cmp_le_u32_e32 vcc, s33, v8
	v_subrev_u32_e32 v10, s33, v8
	v_ashrrev_i32_e32 v7, 31, v6
	v_cndmask_b32_e32 v9, v9, v11, vcc
	v_cndmask_b32_e32 v8, v8, v10, vcc
	v_add_u32_e32 v10, 1, v9
	v_cmp_le_u32_e32 vcc, s33, v8
	v_xor_b32_e32 v7, s23, v7
	s_nop 0
	v_cndmask_b32_e32 v8, v9, v10, vcc
	v_xor_b32_e32 v8, v8, v7
	v_sub_u32_e32 v7, v8, v7
	v_ashrrev_i32_e32 v14, 31, v7
	v_mad_u64_u32 v[8:9], s[4:5], s37, v7, v[6:7]
	v_mul_lo_u32 v15, v7, s7
	v_mad_u64_u32 v[10:11], s[4:5], v7, s6, 0
	v_mad_u64_u32 v[12:13], s[4:5], s38, v7, v[4:5]
	v_mul_lo_u32 v7, v14, s6
	v_ashrrev_i32_e32 v9, 31, v8
	v_add3_u32 v11, v11, v15, v7
	v_ashrrev_i32_e32 v13, 31, v12
	v_lshl_add_u64 v[8:9], v[8:9], 1, s[18:19]
	v_lshl_add_u64 v[10:11], v[10:11], 1, s[30:31]
	;; [unrolled: 1-line block ×3, first 2 shown]
	global_load_ushort v7, v[8:9], off
	global_load_ushort v16, v[14:15], off
	v_lshl_add_u64 v[8:9], v[12:13], 1, v[10:11]
	global_load_dword v10, v[8:9], off
	v_add_u32_e32 v6, s36, v6
	v_cmp_le_i32_e32 vcc, s3, v6
	s_or_b64 s[34:35], vcc, s[34:35]
	v_add_u32_e32 v4, s39, v4
	s_waitcnt vmcnt(2)
	v_lshlrev_b32_e32 v11, 16, v7
	s_waitcnt vmcnt(1)
	v_lshlrev_b32_e32 v13, 16, v16
	v_mov_b32_e32 v14, v11
	s_waitcnt vmcnt(0)
	v_and_b32_e32 v16, 0xffff0000, v10
	v_lshlrev_b32_e32 v12, 16, v10
	v_mov_b32_e32 v10, v13
	v_pk_mul_f32 v[10:11], v[10:11], v[16:17] op_sel_hi:[1,0]
	v_mov_b32_e32 v15, v12
	v_bfe_u32 v7, v10, 16, 1
	v_bfe_u32 v16, v11, 16, 1
	v_pk_mul_f32 v[12:13], v[14:15], v[12:13]
	v_add3_u32 v14, v11, v16, s40
	v_add3_u32 v7, v10, v7, s40
	v_bfe_u32 v15, v12, 16, 1
	v_bfe_u32 v16, v13, 16, 1
	v_and_b32_e32 v7, 0xffff0000, v7
	v_and_b32_e32 v14, 0xffff0000, v14
	v_add3_u32 v16, v13, v16, s40
	v_add3_u32 v15, v12, v15, s40
	v_cmp_o_f32_e32 vcc, v10, v10
	v_cmp_o_f32_e64 s[4:5], v11, v11
	v_and_b32_e32 v15, 0xffff0000, v15
	v_and_b32_e32 v16, 0xffff0000, v16
	v_cndmask_b32_e64 v11, v3, v14, s[4:5]
	v_cndmask_b32_e32 v10, v3, v7, vcc
	v_cmp_o_f32_e32 vcc, v12, v12
	v_cmp_o_f32_e64 s[4:5], v13, v13
	s_nop 0
	v_cndmask_b32_e32 v12, v3, v15, vcc
	v_cndmask_b32_e64 v13, v3, v16, s[4:5]
	v_pk_add_f32 v[14:15], v[12:13], v[10:11] neg_lo:[0,1] neg_hi:[0,1]
	v_pk_add_f32 v[10:11], v[12:13], v[10:11]
	v_bfe_u32 v7, v14, 16, 1
	v_bfe_u32 v10, v11, 16, 1
	v_add3_u32 v10, v11, v10, s40
	v_add3_u32 v7, v14, v7, s40
	v_lshrrev_b32_e32 v7, 16, v7
	v_lshrrev_b32_e32 v10, 16, v10
	v_cmp_o_f32_e32 vcc, v11, v11
	v_cmp_o_f32_e64 s[4:5], v14, v14
	s_nop 0
	v_cndmask_b32_e32 v10, v5, v10, vcc
	v_cndmask_b32_e64 v7, v5, v7, s[4:5]
	v_perm_b32 v7, v10, v7, s41
	global_store_dword v[8:9], v7, off
	s_andn2_b64 exec, exec, s[34:35]
	s_cbranch_execnz .LBB53_3
.LBB53_4:
	s_or_b64 exec, exec, s[16:17]
	s_load_dwordx4 s[16:19], s[0:1], 0x68
	s_waitcnt lgkmcnt(0)
	s_ashr_i32 s7, s19, 31
	s_mov_b32 s6, s19
	s_or_b64 s[4:5], s[26:27], s[6:7]
	s_mov_b32 s4, 0
	s_cmp_lg_u64 s[4:5], 0
	s_cbranch_scc0 .LBB53_14
; %bb.5:
	s_add_u32 s4, s6, s7
	s_mov_b32 s30, s7
	s_mov_b32 s31, s7
	s_addc_u32 s5, s7, s7
	s_xor_b64 s[36:37], s[4:5], s[30:31]
	v_cvt_f32_u32_e32 v1, s36
	v_cvt_f32_u32_e32 v3, s37
	s_sub_u32 s3, 0, s36
	s_subb_u32 s4, 0, s37
	v_fmamk_f32 v1, v3, 0x4f800000, v1
	v_rcp_f32_e32 v1, v1
	s_nop 0
	v_mul_f32_e32 v1, 0x5f7ffffc, v1
	v_mul_f32_e32 v3, 0x2f800000, v1
	v_trunc_f32_e32 v3, v3
	v_fmamk_f32 v1, v3, 0xcf800000, v1
	v_cvt_u32_f32_e32 v3, v3
	v_cvt_u32_f32_e32 v1, v1
	v_readfirstlane_b32 s5, v3
	v_readfirstlane_b32 s19, v1
	s_mul_i32 s23, s3, s5
	s_mul_hi_u32 s38, s3, s19
	s_mul_i32 s33, s4, s19
	s_add_i32 s23, s38, s23
	s_add_i32 s23, s23, s33
	s_mul_i32 s39, s3, s19
	s_mul_hi_u32 s33, s19, s23
	s_mul_i32 s38, s19, s23
	s_mul_hi_u32 s19, s19, s39
	s_add_u32 s19, s19, s38
	s_addc_u32 s33, 0, s33
	s_mul_hi_u32 s40, s5, s39
	s_mul_i32 s39, s5, s39
	s_add_u32 s19, s19, s39
	s_mul_hi_u32 s38, s5, s23
	s_addc_u32 s19, s33, s40
	s_addc_u32 s33, s38, 0
	s_mul_i32 s23, s5, s23
	s_add_u32 s19, s19, s23
	s_addc_u32 s23, 0, s33
	v_add_co_u32_e32 v1, vcc, s19, v1
	s_cmp_lg_u64 vcc, 0
	s_addc_u32 s5, s5, s23
	v_readfirstlane_b32 s23, v1
	s_mul_i32 s19, s3, s5
	s_mul_hi_u32 s33, s3, s23
	s_add_i32 s19, s33, s19
	s_mul_i32 s4, s4, s23
	s_add_i32 s19, s19, s4
	s_mul_i32 s3, s3, s23
	s_mul_hi_u32 s33, s5, s3
	s_mul_i32 s38, s5, s3
	s_mul_i32 s40, s23, s19
	s_mul_hi_u32 s3, s23, s3
	s_mul_hi_u32 s39, s23, s19
	s_add_u32 s3, s3, s40
	s_addc_u32 s23, 0, s39
	s_add_u32 s3, s3, s38
	s_mul_hi_u32 s4, s5, s19
	s_addc_u32 s3, s23, s33
	s_addc_u32 s4, s4, 0
	s_mul_i32 s19, s5, s19
	s_add_u32 s3, s3, s19
	s_addc_u32 s4, 0, s4
	v_add_co_u32_e32 v1, vcc, s3, v1
	s_cmp_lg_u64 vcc, 0
	s_addc_u32 s3, s5, s4
	s_ashr_i32 s38, s27, 31
	s_add_u32 s4, s26, s38
	s_mov_b32 s39, s38
	s_addc_u32 s5, s27, s38
	s_xor_b64 s[40:41], s[4:5], s[38:39]
	v_readfirstlane_b32 s19, v1
	s_mul_i32 s5, s40, s3
	s_mul_hi_u32 s23, s40, s19
	s_mul_hi_u32 s4, s40, s3
	s_add_u32 s5, s23, s5
	s_addc_u32 s4, 0, s4
	s_mul_hi_u32 s33, s41, s19
	s_mul_i32 s19, s41, s19
	s_add_u32 s5, s5, s19
	s_mul_hi_u32 s23, s41, s3
	s_addc_u32 s4, s4, s33
	s_addc_u32 s5, s23, 0
	s_mul_i32 s3, s41, s3
	s_add_u32 s3, s4, s3
	s_addc_u32 s19, 0, s5
	s_mul_i32 s4, s36, s19
	s_mul_hi_u32 s5, s36, s3
	s_add_i32 s4, s5, s4
	s_mul_i32 s5, s37, s3
	s_add_i32 s23, s4, s5
	s_mul_i32 s5, s36, s3
	v_mov_b32_e32 v1, s5
	s_sub_i32 s4, s41, s23
	v_sub_co_u32_e32 v1, vcc, s40, v1
	s_cmp_lg_u64 vcc, 0
	s_subb_u32 s33, s4, s37
	v_subrev_co_u32_e64 v3, s[4:5], s36, v1
	s_cmp_lg_u64 s[4:5], 0
	s_subb_u32 s4, s33, 0
	s_cmp_ge_u32 s4, s37
	v_readfirstlane_b32 s33, v3
	s_cselect_b32 s5, -1, 0
	s_cmp_ge_u32 s33, s36
	s_cselect_b32 s33, -1, 0
	s_cmp_eq_u32 s4, s37
	s_cselect_b32 s4, s33, s5
	s_add_u32 s5, s3, 1
	s_addc_u32 s33, s19, 0
	s_add_u32 s40, s3, 2
	s_addc_u32 s42, s19, 0
	s_cmp_lg_u32 s4, 0
	s_cselect_b32 s4, s40, s5
	s_cselect_b32 s5, s42, s33
	s_cmp_lg_u64 vcc, 0
	s_subb_u32 s23, s41, s23
	s_cmp_ge_u32 s23, s37
	v_readfirstlane_b32 s40, v1
	s_cselect_b32 s33, -1, 0
	s_cmp_ge_u32 s40, s36
	s_cselect_b32 s36, -1, 0
	s_cmp_eq_u32 s23, s37
	s_cselect_b32 s23, s36, s33
	s_cmp_lg_u32 s23, 0
	s_cselect_b32 s5, s5, s19
	s_cselect_b32 s4, s4, s3
	s_xor_b64 s[30:31], s[38:39], s[30:31]
	s_xor_b64 s[4:5], s[4:5], s[30:31]
	s_sub_u32 s30, s4, s30
	s_subb_u32 s31, s5, s31
	s_cbranch_execnz .LBB53_7
.LBB53_6:
	v_cvt_f32_u32_e32 v1, s6
	s_sub_i32 s3, 0, s6
	s_mov_b32 s31, 0
	v_rcp_iflag_f32_e32 v1, v1
	s_nop 0
	v_mul_f32_e32 v1, 0x4f7ffffe, v1
	v_cvt_u32_f32_e32 v1, v1
	s_nop 0
	v_readfirstlane_b32 s4, v1
	s_mul_i32 s3, s3, s4
	s_mul_hi_u32 s3, s4, s3
	s_add_i32 s4, s4, s3
	s_mul_hi_u32 s3, s26, s4
	s_mul_i32 s5, s3, s6
	s_sub_i32 s5, s26, s5
	s_add_i32 s4, s3, 1
	s_sub_i32 s19, s5, s6
	s_cmp_ge_u32 s5, s6
	s_cselect_b32 s3, s4, s3
	s_cselect_b32 s5, s19, s5
	s_add_i32 s4, s3, 1
	s_cmp_ge_u32 s5, s6
	s_cselect_b32 s30, s4, s3
.LBB53_7:
	s_mul_i32 s3, s30, s7
	s_mul_hi_u32 s4, s30, s6
	s_add_i32 s3, s4, s3
	s_mul_i32 s4, s31, s6
	s_add_i32 s3, s3, s4
	s_mul_i32 s4, s30, s6
	s_sub_u32 s33, s26, s4
	s_subb_u32 s3, s27, s3
	v_cmp_gt_i32_e32 vcc, s22, v0
	s_mul_hi_u32 s41, s30, s16
	s_mul_i32 s42, s31, s16
	s_mul_i32 s34, s30, s16
	s_mul_hi_u32 s40, s33, s17
	s_mul_i32 s31, s3, s17
	s_mul_i32 s26, s33, s17
	s_and_saveexec_b64 s[36:37], vcc
	s_cbranch_execz .LBB53_10
; %bb.8:
	s_load_dword s3, s[0:1], 0x8c
	s_ashr_i32 s23, s22, 31
	s_ashr_i32 s6, s16, 31
	;; [unrolled: 1-line block ×4, first 2 shown]
	s_waitcnt lgkmcnt(0)
	s_and_b32 s3, s3, 0xffff
	s_lshl_b64 s[4:5], s[28:29], 1
	s_add_u32 s4, s24, s4
	v_mov_b32_e32 v3, 0
	s_addc_u32 s5, s25, s5
	v_lshl_add_u64 v[4:5], s[4:5], 0, v[2:3]
	s_mul_i32 s4, s9, s2
	s_mul_hi_u32 s5, s8, s2
	s_add_i32 s5, s5, s4
	s_mul_i32 s4, s8, s2
	s_lshl_b32 s28, s3, 1
	s_lshl_b64 s[24:25], s[22:23], 1
	s_lshl_b64 s[4:5], s[4:5], 1
	s_add_u32 s4, s12, s4
	v_lshlrev_b32_e32 v2, 2, v0
	s_addc_u32 s5, s13, s5
	v_lshl_add_u64 v[6:7], s[4:5], 0, v[2:3]
	s_mul_i32 s4, s30, s6
	s_mul_i32 s6, s33, s7
	s_add_i32 s4, s41, s4
	s_add_i32 s6, s40, s6
	;; [unrolled: 1-line block ×4, first 2 shown]
	s_lshl_b32 s23, s3, 2
	s_lshl_b64 s[4:5], s[34:35], 1
	s_lshl_b64 s[6:7], s[26:27], 1
	s_add_u32 s6, s4, s6
	s_addc_u32 s7, s5, s7
	s_lshl_b64 s[4:5], s[18:19], 1
	s_add_u32 s4, s20, s4
	s_addc_u32 s5, s21, s5
	s_add_u32 s4, s4, s6
	s_addc_u32 s5, s5, s7
	s_mov_b32 s29, 0
	v_lshl_add_u64 v[2:3], s[4:5], 0, v[2:3]
	s_mov_b64 s[12:13], 0
	s_movk_i32 s19, 0x7fff
	v_mov_b32_e32 v1, 0x7fc00000
	v_mov_b32_e32 v8, 0x7fc0
	s_mov_b32 s27, 0x5040100
	s_mov_b64 s[38:39], 0
	v_mov_b32_e32 v9, v0
.LBB53_9:                               ; =>This Inner Loop Header: Depth=1
	v_lshl_add_u64 v[10:11], v[4:5], 0, s[24:25]
	v_lshl_add_u64 v[12:13], v[6:7], 0, s[38:39]
	global_load_ushort v14, v[4:5], off
	global_load_dword v17, v[12:13], off
	global_load_ushort v18, v[10:11], off
	v_lshl_add_u64 v[10:11], v[2:3], 0, s[38:39]
	v_add_u32_e32 v9, s3, v9
	s_add_u32 s38, s38, s23
	s_addc_u32 s39, s39, 0
	v_cmp_le_i32_e32 vcc, s22, v9
	s_or_b64 s[12:13], vcc, s[12:13]
	v_lshl_add_u64 v[4:5], v[4:5], 0, s[28:29]
	s_waitcnt vmcnt(2)
	v_lshlrev_b32_e32 v15, 16, v14
	s_waitcnt vmcnt(1)
	v_and_b32_e32 v16, 0xffff0000, v17
	s_waitcnt vmcnt(0)
	v_lshlrev_b32_e32 v19, 16, v18
	v_lshlrev_b32_e32 v18, 16, v17
	v_mov_b32_e32 v20, v15
	v_mov_b32_e32 v14, v19
	;; [unrolled: 1-line block ×3, first 2 shown]
	v_pk_mul_f32 v[14:15], v[14:15], v[16:17] op_sel_hi:[1,0]
	v_pk_mul_f32 v[16:17], v[20:21], v[18:19]
	v_bfe_u32 v18, v14, 16, 1
	v_bfe_u32 v19, v15, 16, 1
	v_bfe_u32 v20, v16, 16, 1
	v_bfe_u32 v21, v17, 16, 1
	v_add3_u32 v19, v15, v19, s19
	v_add3_u32 v18, v14, v18, s19
	v_add3_u32 v21, v17, v21, s19
	v_add3_u32 v20, v16, v20, s19
	v_and_b32_e32 v18, 0xffff0000, v18
	v_and_b32_e32 v19, 0xffff0000, v19
	;; [unrolled: 1-line block ×4, first 2 shown]
	v_cmp_o_f32_e32 vcc, v14, v14
	v_cmp_o_f32_e64 s[4:5], v17, v17
	v_cmp_o_f32_e64 s[6:7], v16, v16
	;; [unrolled: 1-line block ×3, first 2 shown]
	v_cndmask_b32_e32 v14, v1, v18, vcc
	v_cndmask_b32_e64 v17, v1, v21, s[4:5]
	v_cndmask_b32_e64 v15, v1, v19, s[8:9]
	;; [unrolled: 1-line block ×3, first 2 shown]
	v_pk_add_f32 v[18:19], v[16:17], v[14:15] neg_lo:[0,1] neg_hi:[0,1]
	v_pk_add_f32 v[14:15], v[16:17], v[14:15]
	v_cmp_o_f32_e64 s[4:5], v18, v18
	v_bfe_u32 v14, v18, 16, 1
	v_bfe_u32 v16, v15, 16, 1
	v_add3_u32 v16, v15, v16, s19
	v_add3_u32 v14, v18, v14, s19
	v_lshrrev_b32_e32 v14, 16, v14
	v_lshrrev_b32_e32 v16, 16, v16
	v_cmp_o_f32_e32 vcc, v15, v15
	v_cndmask_b32_e64 v14, v8, v14, s[4:5]
	s_nop 0
	v_cndmask_b32_e32 v15, v8, v16, vcc
	v_perm_b32 v14, v15, v14, s27
	global_store_dword v[12:13], v14, off
	global_store_dword v[10:11], v14, off
	s_andn2_b64 exec, exec, s[12:13]
	s_cbranch_execnz .LBB53_9
.LBB53_10:
	s_or_b64 exec, exec, s[36:37]
	v_cmp_gt_i32_e32 vcc, s18, v0
	s_and_saveexec_b64 s[4:5], vcc
	s_cbranch_execz .LBB53_13
; %bb.11:
	s_mul_i32 s3, s2, s11
	s_mul_hi_u32 s4, s2, s10
	s_add_i32 s3, s4, s3
	s_mul_i32 s2, s2, s10
	s_lshl_b64 s[2:3], s[2:3], 1
	s_add_u32 s2, s14, s2
	s_addc_u32 s3, s15, s3
	s_ashr_i32 s4, s16, 31
	s_mul_i32 s4, s30, s4
	s_add_i32 s4, s41, s4
	s_add_i32 s35, s4, s42
	s_lshl_b64 s[4:5], s[34:35], 1
	s_add_u32 s4, s20, s4
	s_addc_u32 s5, s21, s5
	s_ashr_i32 s6, s17, 31
	s_mul_i32 s33, s33, s6
	s_load_dword s7, s[0:1], 0x8c
	s_add_i32 s6, s40, s33
	s_add_i32 s27, s6, s31
	s_lshl_b64 s[0:1], s[26:27], 1
	s_add_u32 s0, s4, s0
	s_addc_u32 s1, s5, s1
	s_waitcnt lgkmcnt(0)
	s_and_b32 s6, s7, 0xffff
	s_mov_b64 s[4:5], 0
.LBB53_12:                              ; =>This Inner Loop Header: Depth=1
	v_ashrrev_i32_e32 v1, 31, v0
	v_lshlrev_b64 v[2:3], 1, v[0:1]
	v_lshl_add_u64 v[4:5], s[2:3], 0, v[2:3]
	global_load_ushort v1, v[4:5], off
	v_add_u32_e32 v0, s6, v0
	v_cmp_le_i32_e32 vcc, s18, v0
	v_lshl_add_u64 v[2:3], s[0:1], 0, v[2:3]
	s_or_b64 s[4:5], vcc, s[4:5]
	s_waitcnt vmcnt(0)
	global_store_short v[2:3], v1, off
	s_andn2_b64 exec, exec, s[4:5]
	s_cbranch_execnz .LBB53_12
.LBB53_13:
	s_endpgm
.LBB53_14:
                                        ; implicit-def: $sgpr30_sgpr31
	s_branch .LBB53_6
	.section	.rodata,"a",@progbits
	.p2align	6, 0x0
	.amdhsa_kernel _ZN4vllm38concat_and_cache_mla_rope_fused_kernelIN3c108BFloat16ES2_Lb0E14__hip_bfloat16S3_LNS_18Fp8KVCacheDataTypeE0EEEvPKlPT_S8_PKS7_PKT0_illlliPT3_S6_iiiiPKf
		.amdhsa_group_segment_fixed_size 0
		.amdhsa_private_segment_fixed_size 0
		.amdhsa_kernarg_size 384
		.amdhsa_user_sgpr_count 2
		.amdhsa_user_sgpr_dispatch_ptr 0
		.amdhsa_user_sgpr_queue_ptr 0
		.amdhsa_user_sgpr_kernarg_segment_ptr 1
		.amdhsa_user_sgpr_dispatch_id 0
		.amdhsa_user_sgpr_kernarg_preload_length 0
		.amdhsa_user_sgpr_kernarg_preload_offset 0
		.amdhsa_user_sgpr_private_segment_size 0
		.amdhsa_uses_dynamic_stack 0
		.amdhsa_enable_private_segment 0
		.amdhsa_system_sgpr_workgroup_id_x 1
		.amdhsa_system_sgpr_workgroup_id_y 0
		.amdhsa_system_sgpr_workgroup_id_z 0
		.amdhsa_system_sgpr_workgroup_info 0
		.amdhsa_system_vgpr_workitem_id 0
		.amdhsa_next_free_vgpr 22
		.amdhsa_next_free_sgpr 43
		.amdhsa_accum_offset 24
		.amdhsa_reserve_vcc 1
		.amdhsa_float_round_mode_32 0
		.amdhsa_float_round_mode_16_64 0
		.amdhsa_float_denorm_mode_32 3
		.amdhsa_float_denorm_mode_16_64 3
		.amdhsa_dx10_clamp 1
		.amdhsa_ieee_mode 1
		.amdhsa_fp16_overflow 0
		.amdhsa_tg_split 0
		.amdhsa_exception_fp_ieee_invalid_op 0
		.amdhsa_exception_fp_denorm_src 0
		.amdhsa_exception_fp_ieee_div_zero 0
		.amdhsa_exception_fp_ieee_overflow 0
		.amdhsa_exception_fp_ieee_underflow 0
		.amdhsa_exception_fp_ieee_inexact 0
		.amdhsa_exception_int_div_zero 0
	.end_amdhsa_kernel
	.section	.text._ZN4vllm38concat_and_cache_mla_rope_fused_kernelIN3c108BFloat16ES2_Lb0E14__hip_bfloat16S3_LNS_18Fp8KVCacheDataTypeE0EEEvPKlPT_S8_PKS7_PKT0_illlliPT3_S6_iiiiPKf,"axG",@progbits,_ZN4vllm38concat_and_cache_mla_rope_fused_kernelIN3c108BFloat16ES2_Lb0E14__hip_bfloat16S3_LNS_18Fp8KVCacheDataTypeE0EEEvPKlPT_S8_PKS7_PKT0_illlliPT3_S6_iiiiPKf,comdat
.Lfunc_end53:
	.size	_ZN4vllm38concat_and_cache_mla_rope_fused_kernelIN3c108BFloat16ES2_Lb0E14__hip_bfloat16S3_LNS_18Fp8KVCacheDataTypeE0EEEvPKlPT_S8_PKS7_PKT0_illlliPT3_S6_iiiiPKf, .Lfunc_end53-_ZN4vllm38concat_and_cache_mla_rope_fused_kernelIN3c108BFloat16ES2_Lb0E14__hip_bfloat16S3_LNS_18Fp8KVCacheDataTypeE0EEEvPKlPT_S8_PKS7_PKT0_illlliPT3_S6_iiiiPKf
                                        ; -- End function
	.section	.AMDGPU.csdata,"",@progbits
; Kernel info:
; codeLenInByte = 2480
; NumSgprs: 49
; NumVgprs: 22
; NumAgprs: 0
; TotalNumVgprs: 22
; ScratchSize: 0
; MemoryBound: 0
; FloatMode: 240
; IeeeMode: 1
; LDSByteSize: 0 bytes/workgroup (compile time only)
; SGPRBlocks: 6
; VGPRBlocks: 2
; NumSGPRsForWavesPerEU: 49
; NumVGPRsForWavesPerEU: 22
; AccumOffset: 24
; Occupancy: 8
; WaveLimiterHint : 1
; COMPUTE_PGM_RSRC2:SCRATCH_EN: 0
; COMPUTE_PGM_RSRC2:USER_SGPR: 2
; COMPUTE_PGM_RSRC2:TRAP_HANDLER: 0
; COMPUTE_PGM_RSRC2:TGID_X_EN: 1
; COMPUTE_PGM_RSRC2:TGID_Y_EN: 0
; COMPUTE_PGM_RSRC2:TGID_Z_EN: 0
; COMPUTE_PGM_RSRC2:TIDIG_COMP_CNT: 0
; COMPUTE_PGM_RSRC3_GFX90A:ACCUM_OFFSET: 5
; COMPUTE_PGM_RSRC3_GFX90A:TG_SPLIT: 0
	.section	.text._ZN4vllm38concat_and_cache_mla_rope_fused_kernelIffLb1EfhLNS_18Fp8KVCacheDataTypeE1EEEvPKlPT_S5_PKS4_PKT0_illlliPT3_S3_iiiiPKf,"axG",@progbits,_ZN4vllm38concat_and_cache_mla_rope_fused_kernelIffLb1EfhLNS_18Fp8KVCacheDataTypeE1EEEvPKlPT_S5_PKS4_PKT0_illlliPT3_S3_iiiiPKf,comdat
	.protected	_ZN4vllm38concat_and_cache_mla_rope_fused_kernelIffLb1EfhLNS_18Fp8KVCacheDataTypeE1EEEvPKlPT_S5_PKS4_PKT0_illlliPT3_S3_iiiiPKf ; -- Begin function _ZN4vllm38concat_and_cache_mla_rope_fused_kernelIffLb1EfhLNS_18Fp8KVCacheDataTypeE1EEEvPKlPT_S5_PKS4_PKT0_illlliPT3_S3_iiiiPKf
	.globl	_ZN4vllm38concat_and_cache_mla_rope_fused_kernelIffLb1EfhLNS_18Fp8KVCacheDataTypeE1EEEvPKlPT_S5_PKS4_PKT0_illlliPT3_S3_iiiiPKf
	.p2align	8
	.type	_ZN4vllm38concat_and_cache_mla_rope_fused_kernelIffLb1EfhLNS_18Fp8KVCacheDataTypeE1EEEvPKlPT_S5_PKS4_PKT0_illlliPT3_S3_iiiiPKf,@function
_ZN4vllm38concat_and_cache_mla_rope_fused_kernelIffLb1EfhLNS_18Fp8KVCacheDataTypeE1EEEvPKlPT_S5_PKS4_PKT0_illlliPT3_S3_iiiiPKf: ; @_ZN4vllm38concat_and_cache_mla_rope_fused_kernelIffLb1EfhLNS_18Fp8KVCacheDataTypeE1EEEvPKlPT_S5_PKS4_PKT0_illlliPT3_S3_iiiiPKf
; %bb.0:
	s_load_dwordx2 s[6:7], s[0:1], 0x60
	s_mov_b32 s3, 0
	s_lshl_b64 s[4:5], s[2:3], 3
	s_waitcnt lgkmcnt(0)
	s_add_u32 s6, s6, s4
	s_addc_u32 s7, s7, s5
	s_load_dwordx2 s[30:31], s[6:7], 0x0
	s_waitcnt lgkmcnt(0)
	v_cmp_lt_i64_e64 s[6:7], s[30:31], 0
	s_and_b64 vcc, exec, s[6:7]
	s_cbranch_vccnz .LBB54_13
; %bb.1:
	s_load_dword s3, s[0:1], 0x28
	s_load_dwordx2 s[6:7], s[0:1], 0x0
	s_load_dwordx4 s[12:15], s[0:1], 0x10
	s_waitcnt lgkmcnt(0)
	s_ashr_i32 s22, s3, 31
	s_add_u32 s16, s6, s4
	s_addc_u32 s17, s7, s5
	s_load_dwordx2 s[18:19], s[16:17], 0x0
	s_load_dwordx2 s[26:27], s[0:1], 0x20
	s_load_dwordx8 s[4:11], s[0:1], 0x30
	s_load_dwordx2 s[20:21], s[0:1], 0x58
	s_load_dword s25, s[0:1], 0x50
	s_waitcnt lgkmcnt(0)
	s_mul_i32 s16, s18, s22
	s_mul_hi_u32 s17, s18, s3
	s_mul_i32 s19, s19, s3
	s_add_i32 s16, s17, s16
	s_add_i32 s17, s16, s19
	s_mul_i32 s16, s18, s3
	s_lshl_b64 s[28:29], s[16:17], 2
	s_add_u32 s22, s26, s28
	s_addc_u32 s23, s27, s29
	s_lshr_b32 s16, s3, 31
	s_add_i32 s3, s3, s16
	s_ashr_i32 s24, s3, 1
	s_mul_i32 s3, s24, s25
	v_cmp_gt_i32_e32 vcc, s3, v0
	s_and_saveexec_b64 s[16:17], vcc
	s_cbranch_execz .LBB54_4
; %bb.2:
	s_load_dwordx2 s[18:19], s[0:1], 0x8
	s_load_dword s34, s[0:1], 0x8c
	s_mul_i32 s5, s2, s5
	s_mul_hi_u32 s33, s2, s4
	s_add_i32 s5, s33, s5
	s_mul_i32 s4, s2, s4
	s_ashr_i32 s25, s24, 31
	s_lshl_b64 s[4:5], s[4:5], 2
	s_waitcnt lgkmcnt(0)
	s_add_u32 s4, s18, s4
	s_addc_u32 s5, s19, s5
	s_abs_i32 s33, s24
	v_cvt_f32_u32_e32 v1, s33
	s_sub_i32 s38, 0, s33
	s_mov_b64 s[18:19], 0
	s_and_b32 s36, s34, 0xffff
	v_rcp_iflag_f32_e32 v1, v1
	s_sub_i32 s37, 0, s24
	s_lshl_b64 s[34:35], s[24:25], 2
	v_mul_f32_e32 v1, 0x4f7ffffe, v1
	v_cvt_u32_f32_e32 v1, v1
	v_mul_lo_u32 v2, s38, v1
	v_mul_hi_u32 v2, v1, v2
	v_add_u32_e32 v1, v1, v2
	v_mov_b32_e32 v2, v0
.LBB54_3:                               ; =>This Inner Loop Header: Depth=1
	v_sub_u32_e32 v4, 0, v2
	v_max_i32_e32 v4, v2, v4
	v_mul_hi_u32 v5, v4, v1
	v_mul_lo_u32 v6, v5, s33
	v_sub_u32_e32 v4, v4, v6
	v_add_u32_e32 v7, 1, v5
	v_cmp_le_u32_e32 vcc, s33, v4
	v_subrev_u32_e32 v6, s33, v4
	v_ashrrev_i32_e32 v3, 31, v2
	v_cndmask_b32_e32 v5, v5, v7, vcc
	v_cndmask_b32_e32 v4, v4, v6, vcc
	v_add_u32_e32 v6, 1, v5
	v_cmp_le_u32_e32 vcc, s33, v4
	v_xor_b32_e32 v3, s25, v3
	s_nop 0
	v_cndmask_b32_e32 v4, v5, v6, vcc
	v_xor_b32_e32 v4, v4, v3
	v_sub_u32_e32 v3, v4, v3
	v_ashrrev_i32_e32 v8, 31, v3
	v_mad_u64_u32 v[4:5], s[38:39], s37, v3, v[2:3]
	v_mul_lo_u32 v9, v3, s7
	v_mad_u64_u32 v[6:7], s[38:39], v3, s6, 0
	v_mul_lo_u32 v3, v8, s6
	v_ashrrev_i32_e32 v5, 31, v4
	v_add3_u32 v7, v7, v9, v3
	v_lshlrev_b64 v[4:5], 2, v[4:5]
	v_lshl_add_u64 v[6:7], v[6:7], 2, s[4:5]
	v_lshl_add_u64 v[8:9], s[22:23], 0, v[4:5]
	;; [unrolled: 1-line block ×4, first 2 shown]
	global_load_dword v3, v[8:9], off
	global_load_dword v12, v[10:11], off
	v_lshl_add_u64 v[6:7], v[4:5], 0, s[34:35]
	global_load_dword v8, v[4:5], off
	global_load_dword v9, v[6:7], off
	v_add_u32_e32 v2, s36, v2
	v_cmp_le_i32_e32 vcc, s3, v2
	s_or_b64 s[18:19], vcc, s[18:19]
	s_waitcnt vmcnt(0)
	v_mul_f32_e32 v10, v12, v9
	v_mul_f32_e32 v9, v3, v9
	v_fma_f32 v3, v3, v8, -v10
	v_fmac_f32_e32 v9, v12, v8
	global_store_dword v[4:5], v3, off
	global_store_dword v[6:7], v9, off
	s_andn2_b64 exec, exec, s[18:19]
	s_cbranch_execnz .LBB54_3
.LBB54_4:
	s_or_b64 exec, exec, s[16:17]
	s_load_dwordx4 s[16:19], s[0:1], 0x68
	s_waitcnt lgkmcnt(0)
	s_ashr_i32 s37, s19, 31
	s_mov_b32 s36, s19
	s_or_b64 s[4:5], s[30:31], s[36:37]
	s_mov_b32 s4, 0
	s_cmp_lg_u64 s[4:5], 0
	s_cbranch_scc0 .LBB54_14
; %bb.5:
	s_add_u32 s4, s36, s37
	s_mov_b32 s6, s37
	s_mov_b32 s7, s37
	s_addc_u32 s5, s37, s37
	s_xor_b64 s[38:39], s[4:5], s[6:7]
	v_cvt_f32_u32_e32 v1, s38
	v_cvt_f32_u32_e32 v2, s39
	s_sub_u32 s3, 0, s38
	s_subb_u32 s4, 0, s39
	v_fmamk_f32 v1, v2, 0x4f800000, v1
	v_rcp_f32_e32 v1, v1
	s_nop 0
	v_mul_f32_e32 v1, 0x5f7ffffc, v1
	v_mul_f32_e32 v2, 0x2f800000, v1
	v_trunc_f32_e32 v2, v2
	v_fmamk_f32 v1, v2, 0xcf800000, v1
	v_cvt_u32_f32_e32 v2, v2
	v_cvt_u32_f32_e32 v1, v1
	v_readfirstlane_b32 s5, v2
	v_readfirstlane_b32 s19, v1
	s_mul_i32 s25, s3, s5
	s_mul_hi_u32 s40, s3, s19
	s_mul_i32 s33, s4, s19
	s_add_i32 s25, s40, s25
	s_add_i32 s25, s25, s33
	s_mul_i32 s41, s3, s19
	s_mul_hi_u32 s33, s19, s25
	s_mul_i32 s40, s19, s25
	s_mul_hi_u32 s19, s19, s41
	s_add_u32 s19, s19, s40
	s_addc_u32 s33, 0, s33
	s_mul_hi_u32 s42, s5, s41
	s_mul_i32 s41, s5, s41
	s_add_u32 s19, s19, s41
	s_mul_hi_u32 s40, s5, s25
	s_addc_u32 s19, s33, s42
	s_addc_u32 s33, s40, 0
	s_mul_i32 s25, s5, s25
	s_add_u32 s19, s19, s25
	s_addc_u32 s25, 0, s33
	v_add_co_u32_e32 v1, vcc, s19, v1
	s_cmp_lg_u64 vcc, 0
	s_addc_u32 s5, s5, s25
	v_readfirstlane_b32 s25, v1
	s_mul_i32 s19, s3, s5
	s_mul_hi_u32 s33, s3, s25
	s_add_i32 s19, s33, s19
	s_mul_i32 s4, s4, s25
	s_add_i32 s19, s19, s4
	s_mul_i32 s3, s3, s25
	s_mul_hi_u32 s33, s5, s3
	s_mul_i32 s40, s5, s3
	s_mul_i32 s42, s25, s19
	s_mul_hi_u32 s3, s25, s3
	s_mul_hi_u32 s41, s25, s19
	s_add_u32 s3, s3, s42
	s_addc_u32 s25, 0, s41
	s_add_u32 s3, s3, s40
	s_mul_hi_u32 s4, s5, s19
	s_addc_u32 s3, s25, s33
	s_addc_u32 s4, s4, 0
	s_mul_i32 s19, s5, s19
	s_add_u32 s3, s3, s19
	s_addc_u32 s4, 0, s4
	v_add_co_u32_e32 v1, vcc, s3, v1
	s_cmp_lg_u64 vcc, 0
	s_addc_u32 s3, s5, s4
	s_ashr_i32 s40, s31, 31
	s_add_u32 s4, s30, s40
	s_mov_b32 s41, s40
	s_addc_u32 s5, s31, s40
	s_xor_b64 s[42:43], s[4:5], s[40:41]
	v_readfirstlane_b32 s19, v1
	s_mul_i32 s5, s42, s3
	s_mul_hi_u32 s25, s42, s19
	s_mul_hi_u32 s4, s42, s3
	s_add_u32 s5, s25, s5
	s_addc_u32 s4, 0, s4
	s_mul_hi_u32 s33, s43, s19
	s_mul_i32 s19, s43, s19
	s_add_u32 s5, s5, s19
	s_mul_hi_u32 s25, s43, s3
	s_addc_u32 s4, s4, s33
	s_addc_u32 s5, s25, 0
	s_mul_i32 s3, s43, s3
	s_add_u32 s3, s4, s3
	s_addc_u32 s19, 0, s5
	s_mul_i32 s4, s38, s19
	s_mul_hi_u32 s5, s38, s3
	s_add_i32 s4, s5, s4
	s_mul_i32 s5, s39, s3
	s_add_i32 s25, s4, s5
	s_mul_i32 s5, s38, s3
	v_mov_b32_e32 v1, s5
	s_sub_i32 s4, s43, s25
	v_sub_co_u32_e32 v1, vcc, s42, v1
	s_cmp_lg_u64 vcc, 0
	s_subb_u32 s33, s4, s39
	v_subrev_co_u32_e64 v2, s[4:5], s38, v1
	s_cmp_lg_u64 s[4:5], 0
	s_subb_u32 s4, s33, 0
	s_cmp_ge_u32 s4, s39
	v_readfirstlane_b32 s33, v2
	s_cselect_b32 s5, -1, 0
	s_cmp_ge_u32 s33, s38
	s_cselect_b32 s33, -1, 0
	s_cmp_eq_u32 s4, s39
	s_cselect_b32 s4, s33, s5
	s_add_u32 s5, s3, 1
	s_addc_u32 s33, s19, 0
	s_add_u32 s42, s3, 2
	s_addc_u32 s44, s19, 0
	s_cmp_lg_u32 s4, 0
	s_cselect_b32 s4, s42, s5
	s_cselect_b32 s5, s44, s33
	s_cmp_lg_u64 vcc, 0
	s_subb_u32 s25, s43, s25
	s_cmp_ge_u32 s25, s39
	v_readfirstlane_b32 s42, v1
	s_cselect_b32 s33, -1, 0
	s_cmp_ge_u32 s42, s38
	s_cselect_b32 s38, -1, 0
	s_cmp_eq_u32 s25, s39
	s_cselect_b32 s25, s38, s33
	s_cmp_lg_u32 s25, 0
	s_cselect_b32 s5, s5, s19
	s_cselect_b32 s4, s4, s3
	s_xor_b64 s[6:7], s[40:41], s[6:7]
	s_xor_b64 s[4:5], s[4:5], s[6:7]
	s_sub_u32 s6, s4, s6
	s_subb_u32 s7, s5, s7
	s_cbranch_execnz .LBB54_7
.LBB54_6:
	v_cvt_f32_u32_e32 v1, s36
	s_sub_i32 s3, 0, s36
	s_mov_b32 s7, 0
	v_rcp_iflag_f32_e32 v1, v1
	s_nop 0
	v_mul_f32_e32 v1, 0x4f7ffffe, v1
	v_cvt_u32_f32_e32 v1, v1
	s_nop 0
	v_readfirstlane_b32 s4, v1
	s_mul_i32 s3, s3, s4
	s_mul_hi_u32 s3, s4, s3
	s_add_i32 s4, s4, s3
	s_mul_hi_u32 s3, s30, s4
	s_mul_i32 s5, s3, s36
	s_sub_i32 s5, s30, s5
	s_add_i32 s4, s3, 1
	s_sub_i32 s6, s5, s36
	s_cmp_ge_u32 s5, s36
	s_cselect_b32 s3, s4, s3
	s_cselect_b32 s5, s6, s5
	s_add_i32 s4, s3, 1
	s_cmp_ge_u32 s5, s36
	s_cselect_b32 s6, s4, s3
.LBB54_7:
	s_mul_i32 s3, s6, s37
	s_mul_hi_u32 s4, s6, s36
	s_load_dwordx2 s[34:35], s[0:1], 0x78
	s_add_i32 s3, s4, s3
	s_mul_i32 s4, s7, s36
	s_add_i32 s3, s3, s4
	s_mul_i32 s4, s6, s36
	s_sub_u32 s33, s30, s4
	s_subb_u32 s3, s31, s3
	v_cmp_gt_i32_e32 vcc, s24, v0
	s_mul_hi_u32 s39, s6, s16
	s_mul_i32 s40, s7, s16
	s_mul_i32 s41, s6, s16
	s_mul_hi_u32 s38, s33, s17
	s_mul_i32 s7, s3, s17
	s_mul_i32 s19, s33, s17
	s_and_saveexec_b64 s[30:31], vcc
	s_cbranch_execz .LBB54_10
; %bb.8:
	s_mul_i32 s3, s2, s9
	s_mul_hi_u32 s4, s2, s8
	s_add_i32 s5, s4, s3
	s_mul_i32 s4, s2, s8
	s_ashr_i32 s25, s24, 31
	s_lshl_b64 s[4:5], s[4:5], 2
	s_add_u32 s8, s12, s4
	s_addc_u32 s9, s13, s5
	s_ashr_i32 s3, s16, 31
	s_load_dword s36, s[0:1], 0x8c
	s_mul_i32 s3, s6, s3
	s_add_i32 s3, s39, s3
	s_add_i32 s43, s3, s40
	s_ashr_i32 s3, s17, 31
	s_mul_i32 s3, s33, s3
	s_add_i32 s3, s38, s3
	s_waitcnt lgkmcnt(0)
	s_and_b32 s36, s36, 0xffff
	s_add_i32 s46, s3, s7
	s_ashr_i32 s47, s18, 31
	s_lshl_b32 s42, s36, 2
	s_lshl_b64 s[44:45], s[24:25], 2
	s_add_u32 s28, s28, s44
	s_addc_u32 s29, s29, s45
	s_add_u32 s26, s26, s28
	s_addc_u32 s27, s27, s29
	;; [unrolled: 2-line block ×5, first 2 shown]
	s_load_dword s3, s[34:35], 0x0
	s_add_u32 s4, s4, s18
	s_addc_u32 s5, s5, s47
	s_add_u32 s4, s20, s4
	v_mov_b32_e32 v1, 0
	s_addc_u32 s5, s21, s5
	s_mov_b32 s37, 0
	v_lshlrev_b32_e32 v2, 2, v0
	v_mov_b32_e32 v3, v1
	v_lshl_add_u64 v[4:5], s[4:5], 0, v[0:1]
	s_mov_b64 s[28:29], 0
	s_mov_b32 s43, 0x7f800000
	s_mov_b32 s44, 0x43700000
	v_mov_b32_e32 v1, 0xc3700000
	v_mov_b32_e32 v6, v0
.LBB54_9:                               ; =>This Inner Loop Header: Depth=1
	v_lshl_add_u64 v[10:11], s[26:27], 0, v[2:3]
	v_lshl_add_u64 v[8:9], s[22:23], 0, v[2:3]
	;; [unrolled: 1-line block ×4, first 2 shown]
	global_load_dword v7, v[10:11], off
	global_load_dword v16, v[14:15], off
	;; [unrolled: 1-line block ×4, first 2 shown]
	s_add_u32 s22, s22, s42
	s_addc_u32 s23, s23, 0
	s_add_u32 s26, s26, s42
	s_addc_u32 s27, s27, 0
	;; [unrolled: 2-line block ×3, first 2 shown]
	v_add_u32_e32 v6, s36, v6
	s_add_u32 s8, s8, s42
	v_cmp_le_i32_e32 vcc, s24, v6
	s_addc_u32 s9, s9, 0
	s_or_b64 s[28:29], vcc, s[28:29]
	v_mov_b32_e32 v10, 0
	v_mov_b32_e32 v11, 0
	v_lshl_add_u64 v[8:9], v[4:5], 0, s[24:25]
	s_waitcnt vmcnt(2)
	v_mul_f32_e32 v19, v7, v16
	s_waitcnt vmcnt(1)
	v_mul_f32_e32 v16, v17, v16
	s_waitcnt vmcnt(0)
	v_fma_f32 v17, v17, v18, -v19
	v_fmac_f32_e32 v16, v7, v18
	s_waitcnt lgkmcnt(0)
	v_div_scale_f32 v7, s[4:5], s3, s3, v17
	global_store_dword v[12:13], v17, off
	v_div_scale_f32 v13, s[4:5], s3, s3, v16
	v_rcp_f32_e32 v19, v7
	v_rcp_f32_e32 v20, v13
	v_div_scale_f32 v12, vcc, v17, s3, v17
	v_fma_f32 v21, -v7, v19, 1.0
	v_fma_f32 v22, -v13, v20, 1.0
	v_fmac_f32_e32 v19, v21, v19
	v_div_scale_f32 v18, s[4:5], v16, s3, v16
	v_fmac_f32_e32 v20, v22, v20
	v_mul_f32_e32 v21, v12, v19
	v_mul_f32_e32 v22, v18, v20
	v_fma_f32 v23, -v7, v21, v12
	v_fma_f32 v24, -v13, v22, v18
	v_fmac_f32_e32 v21, v23, v19
	v_fmac_f32_e32 v22, v24, v20
	v_fma_f32 v7, -v7, v21, v12
	v_fma_f32 v12, -v13, v22, v18
	v_div_fmas_f32 v7, v7, v19, v21
	s_mov_b64 vcc, s[4:5]
	v_div_fixup_f32 v7, v7, s3, v17
	v_div_fmas_f32 v12, v12, v20, v22
	v_med3_f32 v13, v7, s44, v1
	v_div_fixup_f32 v12, v12, s3, v16
	v_cmp_nlg_f32_e64 vcc, |v7|, s43
	s_nop 1
	v_cndmask_b32_e32 v7, v13, v7, vcc
	v_med3_f32 v13, v12, s44, v1
	v_cmp_nlg_f32_e64 vcc, |v12|, s43
	v_cvt_pk_fp8_f32 v10, v7, v7
	global_store_dword v[14:15], v16, off
	global_store_byte v[4:5], v10, off
	v_cndmask_b32_e32 v7, v13, v12, vcc
	v_cvt_pk_fp8_f32 v11, v7, v7
	v_lshl_add_u64 v[4:5], v[4:5], 0, s[36:37]
	global_store_byte v[8:9], v11, off
	s_andn2_b64 exec, exec, s[28:29]
	s_cbranch_execnz .LBB54_9
.LBB54_10:
	s_or_b64 exec, exec, s[30:31]
	v_cmp_gt_i32_e32 vcc, s18, v0
	s_and_saveexec_b64 s[4:5], vcc
	s_cbranch_execz .LBB54_13
; %bb.11:
	s_mul_i32 s3, s2, s11
	s_mul_hi_u32 s4, s2, s10
	s_add_i32 s3, s4, s3
	s_mul_i32 s2, s2, s10
	s_lshl_b64 s[2:3], s[2:3], 2
	s_add_u32 s2, s14, s2
	s_addc_u32 s3, s15, s3
	s_ashr_i32 s4, s16, 31
	s_mul_i32 s4, s6, s4
	s_add_i32 s4, s39, s4
	s_add_i32 s4, s4, s40
	s_add_u32 s5, s20, s41
	s_addc_u32 s4, s21, s4
	s_ashr_i32 s6, s17, 31
	s_mul_i32 s33, s33, s6
	s_add_i32 s6, s38, s33
	s_add_i32 s6, s6, s7
	s_load_dword s8, s[0:1], 0x8c
	s_add_u32 s0, s5, s19
	s_addc_u32 s1, s4, s6
	s_waitcnt lgkmcnt(0)
	s_load_dword s6, s[34:35], 0x0
	s_mov_b64 s[4:5], 0
	s_and_b32 s7, s8, 0xffff
	s_mov_b32 s8, 0x7f800000
	s_mov_b32 s9, 0x43700000
	v_mov_b32_e32 v2, 0xc3700000
.LBB54_12:                              ; =>This Inner Loop Header: Depth=1
	v_ashrrev_i32_e32 v1, 31, v0
	v_lshl_add_u64 v[4:5], v[0:1], 2, s[2:3]
	global_load_dword v3, v[4:5], off
	v_mov_b32_e32 v6, 0
	s_waitcnt vmcnt(0) lgkmcnt(0)
	v_div_scale_f32 v4, s[10:11], s6, s6, v3
	v_rcp_f32_e32 v5, v4
	v_div_scale_f32 v7, vcc, v3, s6, v3
	v_fma_f32 v8, -v4, v5, 1.0
	v_fmac_f32_e32 v5, v8, v5
	v_mul_f32_e32 v8, v7, v5
	v_fma_f32 v9, -v4, v8, v7
	v_fmac_f32_e32 v8, v9, v5
	v_fma_f32 v4, -v4, v8, v7
	v_div_fmas_f32 v4, v4, v5, v8
	v_div_fixup_f32 v3, v4, s6, v3
	v_med3_f32 v4, v3, s9, v2
	v_cmp_nlg_f32_e64 vcc, |v3|, s8
	s_nop 1
	v_cndmask_b32_e32 v3, v4, v3, vcc
	v_cvt_pk_fp8_f32 v6, v3, v3
	v_lshl_add_u64 v[4:5], s[0:1], 0, v[0:1]
	v_add_u32_e32 v0, s7, v0
	v_cmp_le_i32_e32 vcc, s18, v0
	s_or_b64 s[4:5], vcc, s[4:5]
	global_store_byte v[4:5], v6, off
	s_andn2_b64 exec, exec, s[4:5]
	s_cbranch_execnz .LBB54_12
.LBB54_13:
	s_endpgm
.LBB54_14:
                                        ; implicit-def: $sgpr6_sgpr7
	s_branch .LBB54_6
	.section	.rodata,"a",@progbits
	.p2align	6, 0x0
	.amdhsa_kernel _ZN4vllm38concat_and_cache_mla_rope_fused_kernelIffLb1EfhLNS_18Fp8KVCacheDataTypeE1EEEvPKlPT_S5_PKS4_PKT0_illlliPT3_S3_iiiiPKf
		.amdhsa_group_segment_fixed_size 0
		.amdhsa_private_segment_fixed_size 0
		.amdhsa_kernarg_size 384
		.amdhsa_user_sgpr_count 2
		.amdhsa_user_sgpr_dispatch_ptr 0
		.amdhsa_user_sgpr_queue_ptr 0
		.amdhsa_user_sgpr_kernarg_segment_ptr 1
		.amdhsa_user_sgpr_dispatch_id 0
		.amdhsa_user_sgpr_kernarg_preload_length 0
		.amdhsa_user_sgpr_kernarg_preload_offset 0
		.amdhsa_user_sgpr_private_segment_size 0
		.amdhsa_uses_dynamic_stack 0
		.amdhsa_enable_private_segment 0
		.amdhsa_system_sgpr_workgroup_id_x 1
		.amdhsa_system_sgpr_workgroup_id_y 0
		.amdhsa_system_sgpr_workgroup_id_z 0
		.amdhsa_system_sgpr_workgroup_info 0
		.amdhsa_system_vgpr_workitem_id 0
		.amdhsa_next_free_vgpr 25
		.amdhsa_next_free_sgpr 48
		.amdhsa_accum_offset 28
		.amdhsa_reserve_vcc 1
		.amdhsa_float_round_mode_32 0
		.amdhsa_float_round_mode_16_64 0
		.amdhsa_float_denorm_mode_32 3
		.amdhsa_float_denorm_mode_16_64 3
		.amdhsa_dx10_clamp 1
		.amdhsa_ieee_mode 1
		.amdhsa_fp16_overflow 0
		.amdhsa_tg_split 0
		.amdhsa_exception_fp_ieee_invalid_op 0
		.amdhsa_exception_fp_denorm_src 0
		.amdhsa_exception_fp_ieee_div_zero 0
		.amdhsa_exception_fp_ieee_overflow 0
		.amdhsa_exception_fp_ieee_underflow 0
		.amdhsa_exception_fp_ieee_inexact 0
		.amdhsa_exception_int_div_zero 0
	.end_amdhsa_kernel
	.section	.text._ZN4vllm38concat_and_cache_mla_rope_fused_kernelIffLb1EfhLNS_18Fp8KVCacheDataTypeE1EEEvPKlPT_S5_PKS4_PKT0_illlliPT3_S3_iiiiPKf,"axG",@progbits,_ZN4vllm38concat_and_cache_mla_rope_fused_kernelIffLb1EfhLNS_18Fp8KVCacheDataTypeE1EEEvPKlPT_S5_PKS4_PKT0_illlliPT3_S3_iiiiPKf,comdat
.Lfunc_end54:
	.size	_ZN4vllm38concat_and_cache_mla_rope_fused_kernelIffLb1EfhLNS_18Fp8KVCacheDataTypeE1EEEvPKlPT_S5_PKS4_PKT0_illlliPT3_S3_iiiiPKf, .Lfunc_end54-_ZN4vllm38concat_and_cache_mla_rope_fused_kernelIffLb1EfhLNS_18Fp8KVCacheDataTypeE1EEEvPKlPT_S5_PKS4_PKT0_illlliPT3_S3_iiiiPKf
                                        ; -- End function
	.section	.AMDGPU.csdata,"",@progbits
; Kernel info:
; codeLenInByte = 2312
; NumSgprs: 54
; NumVgprs: 25
; NumAgprs: 0
; TotalNumVgprs: 25
; ScratchSize: 0
; MemoryBound: 0
; FloatMode: 240
; IeeeMode: 1
; LDSByteSize: 0 bytes/workgroup (compile time only)
; SGPRBlocks: 6
; VGPRBlocks: 3
; NumSGPRsForWavesPerEU: 54
; NumVGPRsForWavesPerEU: 25
; AccumOffset: 28
; Occupancy: 8
; WaveLimiterHint : 1
; COMPUTE_PGM_RSRC2:SCRATCH_EN: 0
; COMPUTE_PGM_RSRC2:USER_SGPR: 2
; COMPUTE_PGM_RSRC2:TRAP_HANDLER: 0
; COMPUTE_PGM_RSRC2:TGID_X_EN: 1
; COMPUTE_PGM_RSRC2:TGID_Y_EN: 0
; COMPUTE_PGM_RSRC2:TGID_Z_EN: 0
; COMPUTE_PGM_RSRC2:TIDIG_COMP_CNT: 0
; COMPUTE_PGM_RSRC3_GFX90A:ACCUM_OFFSET: 6
; COMPUTE_PGM_RSRC3_GFX90A:TG_SPLIT: 0
	.section	.text._ZN4vllm38concat_and_cache_mla_rope_fused_kernelIffLb0EfhLNS_18Fp8KVCacheDataTypeE1EEEvPKlPT_S5_PKS4_PKT0_illlliPT3_S3_iiiiPKf,"axG",@progbits,_ZN4vllm38concat_and_cache_mla_rope_fused_kernelIffLb0EfhLNS_18Fp8KVCacheDataTypeE1EEEvPKlPT_S5_PKS4_PKT0_illlliPT3_S3_iiiiPKf,comdat
	.protected	_ZN4vllm38concat_and_cache_mla_rope_fused_kernelIffLb0EfhLNS_18Fp8KVCacheDataTypeE1EEEvPKlPT_S5_PKS4_PKT0_illlliPT3_S3_iiiiPKf ; -- Begin function _ZN4vllm38concat_and_cache_mla_rope_fused_kernelIffLb0EfhLNS_18Fp8KVCacheDataTypeE1EEEvPKlPT_S5_PKS4_PKT0_illlliPT3_S3_iiiiPKf
	.globl	_ZN4vllm38concat_and_cache_mla_rope_fused_kernelIffLb0EfhLNS_18Fp8KVCacheDataTypeE1EEEvPKlPT_S5_PKS4_PKT0_illlliPT3_S3_iiiiPKf
	.p2align	8
	.type	_ZN4vllm38concat_and_cache_mla_rope_fused_kernelIffLb0EfhLNS_18Fp8KVCacheDataTypeE1EEEvPKlPT_S5_PKS4_PKT0_illlliPT3_S3_iiiiPKf,@function
_ZN4vllm38concat_and_cache_mla_rope_fused_kernelIffLb0EfhLNS_18Fp8KVCacheDataTypeE1EEEvPKlPT_S5_PKS4_PKT0_illlliPT3_S3_iiiiPKf: ; @_ZN4vllm38concat_and_cache_mla_rope_fused_kernelIffLb0EfhLNS_18Fp8KVCacheDataTypeE1EEEvPKlPT_S5_PKS4_PKT0_illlliPT3_S3_iiiiPKf
; %bb.0:
	s_load_dwordx2 s[6:7], s[0:1], 0x60
	s_mov_b32 s3, 0
	s_lshl_b64 s[4:5], s[2:3], 3
	s_waitcnt lgkmcnt(0)
	s_add_u32 s6, s6, s4
	s_addc_u32 s7, s7, s5
	s_load_dwordx2 s[26:27], s[6:7], 0x0
	s_waitcnt lgkmcnt(0)
	v_cmp_lt_i64_e64 s[6:7], s[26:27], 0
	s_and_b64 vcc, exec, s[6:7]
	s_cbranch_vccnz .LBB55_13
; %bb.1:
	s_load_dword s3, s[0:1], 0x28
	s_load_dwordx2 s[6:7], s[0:1], 0x0
	s_load_dwordx4 s[12:15], s[0:1], 0x10
	v_lshlrev_b32_e32 v2, 1, v0
	s_waitcnt lgkmcnt(0)
	s_ashr_i32 s22, s3, 31
	s_add_u32 s16, s6, s4
	s_addc_u32 s17, s7, s5
	s_load_dwordx2 s[18:19], s[16:17], 0x0
	s_load_dwordx2 s[24:25], s[0:1], 0x20
	s_load_dwordx8 s[4:11], s[0:1], 0x30
	s_load_dwordx2 s[20:21], s[0:1], 0x58
	s_load_dword s23, s[0:1], 0x50
	s_waitcnt lgkmcnt(0)
	s_mul_i32 s16, s18, s22
	s_mul_hi_u32 s17, s18, s3
	s_mul_i32 s19, s19, s3
	s_add_i32 s16, s17, s16
	s_add_i32 s29, s16, s19
	s_lshr_b32 s16, s3, 31
	s_mul_i32 s28, s18, s3
	s_add_i32 s3, s3, s16
	s_ashr_i32 s22, s3, 1
	s_mul_i32 s3, s22, s23
	v_cmp_gt_i32_e32 vcc, s3, v0
	s_and_saveexec_b64 s[16:17], vcc
	s_cbranch_execz .LBB55_4
; %bb.2:
	s_load_dwordx2 s[30:31], s[0:1], 0x8
	s_load_dword s34, s[0:1], 0x8c
	s_lshl_b64 s[18:19], s[28:29], 2
	s_add_u32 s18, s24, s18
	s_mul_i32 s5, s2, s5
	s_mul_hi_u32 s33, s2, s4
	s_addc_u32 s19, s25, s19
	s_add_i32 s5, s33, s5
	s_mul_i32 s4, s2, s4
	s_ashr_i32 s23, s22, 31
	s_lshl_b64 s[4:5], s[4:5], 2
	s_waitcnt lgkmcnt(0)
	s_add_u32 s4, s30, s4
	s_addc_u32 s5, s31, s5
	s_abs_i32 s33, s22
	v_cvt_f32_u32_e32 v1, s33
	s_sub_i32 s30, 0, s33
	s_and_b32 s34, s34, 0xffff
	s_sub_i32 s35, 0, s22
	v_rcp_iflag_f32_e32 v1, v1
	s_lshl_b32 s37, s34, 1
	v_mov_b32_e32 v4, v2
	v_mov_b32_e32 v6, v0
	v_mul_f32_e32 v1, 0x4f7ffffe, v1
	v_cvt_u32_f32_e32 v1, v1
	v_mul_lo_u32 v3, s30, v1
	v_mul_hi_u32 v3, v1, v3
	s_lshl_b32 s30, s22, 1
	v_add_u32_e32 v1, v1, v3
	s_sub_i32 s36, 0, s30
	s_mov_b64 s[30:31], 0
.LBB55_3:                               ; =>This Inner Loop Header: Depth=1
	v_sub_u32_e32 v5, 0, v6
	v_max_i32_e32 v5, v6, v5
	v_mul_hi_u32 v7, v5, v1
	v_mul_lo_u32 v8, v7, s33
	v_sub_u32_e32 v5, v5, v8
	v_add_u32_e32 v9, 1, v7
	v_cmp_le_u32_e32 vcc, s33, v5
	v_subrev_u32_e32 v8, s33, v5
	v_ashrrev_i32_e32 v3, 31, v6
	v_cndmask_b32_e32 v7, v7, v9, vcc
	v_cndmask_b32_e32 v5, v5, v8, vcc
	v_add_u32_e32 v8, 1, v7
	v_cmp_le_u32_e32 vcc, s33, v5
	v_xor_b32_e32 v3, s23, v3
	s_nop 0
	v_cndmask_b32_e32 v5, v7, v8, vcc
	v_xor_b32_e32 v5, v5, v3
	v_sub_u32_e32 v3, v5, v3
	v_ashrrev_i32_e32 v5, 31, v3
	v_mad_u64_u32 v[8:9], s[38:39], s35, v3, v[6:7]
	v_mul_lo_u32 v7, v3, s7
	v_mad_u64_u32 v[10:11], s[38:39], v3, s6, 0
	v_mad_u64_u32 v[12:13], s[38:39], s36, v3, v[4:5]
	v_mul_lo_u32 v3, v5, s6
	v_ashrrev_i32_e32 v9, 31, v8
	v_add3_u32 v11, v11, v7, v3
	v_ashrrev_i32_e32 v13, 31, v12
	v_lshl_add_u64 v[8:9], v[8:9], 2, s[18:19]
	v_lshl_add_u64 v[10:11], v[10:11], 2, s[4:5]
	;; [unrolled: 1-line block ×3, first 2 shown]
	global_load_dword v3, v[8:9], off
	global_load_dword v5, v[14:15], off
	v_lshl_add_u64 v[8:9], v[12:13], 2, v[10:11]
	global_load_dwordx2 v[10:11], v[8:9], off
	v_add_u32_e32 v6, s34, v6
	v_cmp_le_i32_e32 vcc, s3, v6
	v_add_u32_e32 v4, s37, v4
	s_or_b64 s[30:31], vcc, s[30:31]
	s_waitcnt vmcnt(0)
	v_mul_f32_e32 v7, v5, v11
	v_mul_f32_e32 v13, v3, v11
	v_fma_f32 v12, v3, v10, -v7
	v_fmac_f32_e32 v13, v5, v10
	global_store_dwordx2 v[8:9], v[12:13], off
	s_andn2_b64 exec, exec, s[30:31]
	s_cbranch_execnz .LBB55_3
.LBB55_4:
	s_or_b64 exec, exec, s[16:17]
	s_load_dwordx4 s[16:19], s[0:1], 0x68
	s_waitcnt lgkmcnt(0)
	s_ashr_i32 s35, s19, 31
	s_mov_b32 s34, s19
	s_or_b64 s[4:5], s[26:27], s[34:35]
	s_mov_b32 s4, 0
	s_cmp_lg_u64 s[4:5], 0
	s_cbranch_scc0 .LBB55_14
; %bb.5:
	s_add_u32 s4, s34, s35
	s_mov_b32 s6, s35
	s_mov_b32 s7, s35
	s_addc_u32 s5, s35, s35
	s_xor_b64 s[36:37], s[4:5], s[6:7]
	v_cvt_f32_u32_e32 v1, s36
	v_cvt_f32_u32_e32 v3, s37
	s_sub_u32 s3, 0, s36
	s_subb_u32 s4, 0, s37
	v_fmamk_f32 v1, v3, 0x4f800000, v1
	v_rcp_f32_e32 v1, v1
	s_nop 0
	v_mul_f32_e32 v1, 0x5f7ffffc, v1
	v_mul_f32_e32 v3, 0x2f800000, v1
	v_trunc_f32_e32 v3, v3
	v_fmamk_f32 v1, v3, 0xcf800000, v1
	v_cvt_u32_f32_e32 v3, v3
	v_cvt_u32_f32_e32 v1, v1
	v_readfirstlane_b32 s5, v3
	v_readfirstlane_b32 s19, v1
	s_mul_i32 s23, s3, s5
	s_mul_hi_u32 s38, s3, s19
	s_mul_i32 s33, s4, s19
	s_add_i32 s23, s38, s23
	s_add_i32 s23, s23, s33
	s_mul_i32 s39, s3, s19
	s_mul_hi_u32 s33, s19, s23
	s_mul_i32 s38, s19, s23
	s_mul_hi_u32 s19, s19, s39
	s_add_u32 s19, s19, s38
	s_addc_u32 s33, 0, s33
	s_mul_hi_u32 s40, s5, s39
	s_mul_i32 s39, s5, s39
	s_add_u32 s19, s19, s39
	s_mul_hi_u32 s38, s5, s23
	s_addc_u32 s19, s33, s40
	s_addc_u32 s33, s38, 0
	s_mul_i32 s23, s5, s23
	s_add_u32 s19, s19, s23
	s_addc_u32 s23, 0, s33
	v_add_co_u32_e32 v1, vcc, s19, v1
	s_cmp_lg_u64 vcc, 0
	s_addc_u32 s5, s5, s23
	v_readfirstlane_b32 s23, v1
	s_mul_i32 s19, s3, s5
	s_mul_hi_u32 s33, s3, s23
	s_add_i32 s19, s33, s19
	s_mul_i32 s4, s4, s23
	s_add_i32 s19, s19, s4
	s_mul_i32 s3, s3, s23
	s_mul_hi_u32 s33, s5, s3
	s_mul_i32 s38, s5, s3
	s_mul_i32 s40, s23, s19
	s_mul_hi_u32 s3, s23, s3
	s_mul_hi_u32 s39, s23, s19
	s_add_u32 s3, s3, s40
	s_addc_u32 s23, 0, s39
	s_add_u32 s3, s3, s38
	s_mul_hi_u32 s4, s5, s19
	s_addc_u32 s3, s23, s33
	s_addc_u32 s4, s4, 0
	s_mul_i32 s19, s5, s19
	s_add_u32 s3, s3, s19
	s_addc_u32 s4, 0, s4
	v_add_co_u32_e32 v1, vcc, s3, v1
	s_cmp_lg_u64 vcc, 0
	s_addc_u32 s3, s5, s4
	s_ashr_i32 s38, s27, 31
	s_add_u32 s4, s26, s38
	s_mov_b32 s39, s38
	s_addc_u32 s5, s27, s38
	s_xor_b64 s[40:41], s[4:5], s[38:39]
	v_readfirstlane_b32 s19, v1
	s_mul_i32 s5, s40, s3
	s_mul_hi_u32 s23, s40, s19
	s_mul_hi_u32 s4, s40, s3
	s_add_u32 s5, s23, s5
	s_addc_u32 s4, 0, s4
	s_mul_hi_u32 s33, s41, s19
	s_mul_i32 s19, s41, s19
	s_add_u32 s5, s5, s19
	s_mul_hi_u32 s23, s41, s3
	s_addc_u32 s4, s4, s33
	s_addc_u32 s5, s23, 0
	s_mul_i32 s3, s41, s3
	s_add_u32 s3, s4, s3
	s_addc_u32 s19, 0, s5
	s_mul_i32 s4, s36, s19
	s_mul_hi_u32 s5, s36, s3
	s_add_i32 s4, s5, s4
	s_mul_i32 s5, s37, s3
	s_add_i32 s23, s4, s5
	s_mul_i32 s5, s36, s3
	v_mov_b32_e32 v1, s5
	s_sub_i32 s4, s41, s23
	v_sub_co_u32_e32 v1, vcc, s40, v1
	s_cmp_lg_u64 vcc, 0
	s_subb_u32 s33, s4, s37
	v_subrev_co_u32_e64 v3, s[4:5], s36, v1
	s_cmp_lg_u64 s[4:5], 0
	s_subb_u32 s4, s33, 0
	s_cmp_ge_u32 s4, s37
	v_readfirstlane_b32 s33, v3
	s_cselect_b32 s5, -1, 0
	s_cmp_ge_u32 s33, s36
	s_cselect_b32 s33, -1, 0
	s_cmp_eq_u32 s4, s37
	s_cselect_b32 s4, s33, s5
	s_add_u32 s5, s3, 1
	s_addc_u32 s33, s19, 0
	s_add_u32 s40, s3, 2
	s_addc_u32 s42, s19, 0
	s_cmp_lg_u32 s4, 0
	s_cselect_b32 s4, s40, s5
	s_cselect_b32 s5, s42, s33
	s_cmp_lg_u64 vcc, 0
	s_subb_u32 s23, s41, s23
	s_cmp_ge_u32 s23, s37
	v_readfirstlane_b32 s40, v1
	s_cselect_b32 s33, -1, 0
	s_cmp_ge_u32 s40, s36
	s_cselect_b32 s36, -1, 0
	s_cmp_eq_u32 s23, s37
	s_cselect_b32 s23, s36, s33
	s_cmp_lg_u32 s23, 0
	s_cselect_b32 s5, s5, s19
	s_cselect_b32 s4, s4, s3
	s_xor_b64 s[6:7], s[38:39], s[6:7]
	s_xor_b64 s[4:5], s[4:5], s[6:7]
	s_sub_u32 s6, s4, s6
	s_subb_u32 s7, s5, s7
	s_cbranch_execnz .LBB55_7
.LBB55_6:
	v_cvt_f32_u32_e32 v1, s34
	s_sub_i32 s3, 0, s34
	s_mov_b32 s7, 0
	v_rcp_iflag_f32_e32 v1, v1
	s_nop 0
	v_mul_f32_e32 v1, 0x4f7ffffe, v1
	v_cvt_u32_f32_e32 v1, v1
	s_nop 0
	v_readfirstlane_b32 s4, v1
	s_mul_i32 s3, s3, s4
	s_mul_hi_u32 s3, s4, s3
	s_add_i32 s4, s4, s3
	s_mul_hi_u32 s3, s26, s4
	s_mul_i32 s5, s3, s34
	s_sub_i32 s5, s26, s5
	s_add_i32 s4, s3, 1
	s_sub_i32 s6, s5, s34
	s_cmp_ge_u32 s5, s34
	s_cselect_b32 s3, s4, s3
	s_cselect_b32 s5, s6, s5
	s_add_i32 s4, s3, 1
	s_cmp_ge_u32 s5, s34
	s_cselect_b32 s6, s4, s3
.LBB55_7:
	s_mul_i32 s3, s6, s35
	s_mul_hi_u32 s4, s6, s34
	s_load_dwordx2 s[30:31], s[0:1], 0x78
	s_add_i32 s3, s4, s3
	s_mul_i32 s4, s7, s34
	s_add_i32 s3, s3, s4
	s_mul_i32 s4, s6, s34
	s_sub_u32 s33, s26, s4
	s_subb_u32 s3, s27, s3
	v_cmp_gt_i32_e32 vcc, s22, v0
	s_mul_hi_u32 s37, s6, s16
	s_mul_i32 s38, s7, s16
	s_mul_i32 s39, s6, s16
	s_mul_hi_u32 s36, s33, s17
	s_mul_i32 s7, s3, s17
	s_mul_i32 s19, s33, s17
	s_and_saveexec_b64 s[26:27], vcc
	s_cbranch_execz .LBB55_10
; %bb.8:
	s_ashr_i32 s3, s16, 31
	s_mul_i32 s3, s6, s3
	s_load_dword s4, s[0:1], 0x8c
	s_add_i32 s3, s37, s3
	s_add_i32 s34, s3, s38
	s_ashr_i32 s3, s17, 31
	s_mul_i32 s3, s33, s3
	s_add_i32 s3, s36, s3
	s_ashr_i32 s23, s22, 31
	s_add_i32 s35, s3, s7
	s_ashr_i32 s41, s18, 31
	s_waitcnt lgkmcnt(0)
	s_and_b32 s40, s4, 0xffff
	s_lshl_b64 s[4:5], s[28:29], 2
	s_add_u32 s4, s24, s4
	v_lshlrev_b32_e32 v6, 2, v0
	v_mov_b32_e32 v7, 0
	s_addc_u32 s5, s25, s5
	s_lshl_b32 s28, s40, 2
	s_lshl_b64 s[24:25], s[22:23], 2
	v_lshl_add_u64 v[4:5], s[4:5], 0, v[6:7]
	s_add_u32 s4, s39, s19
	s_addc_u32 s5, s34, s35
	s_add_u32 s23, s20, s18
	s_addc_u32 s34, s21, s41
	s_add_u32 s4, s23, s4
	v_mov_b32_e32 v3, v7
	s_addc_u32 s5, s34, s5
	v_lshl_add_u64 v[2:3], s[4:5], 0, v[2:3]
	s_mul_i32 s4, s9, s2
	s_mul_hi_u32 s5, s8, s2
	s_add_i32 s5, s5, s4
	s_mul_i32 s4, s8, s2
	s_load_dword s3, s[30:31], 0x0
	s_lshl_b32 s34, s40, 1
	s_lshl_b64 s[4:5], s[4:5], 2
	s_add_u32 s4, s12, s4
	v_lshlrev_b32_e32 v6, 3, v0
	s_addc_u32 s5, s13, s5
	s_mov_b32 s29, 0
	v_lshl_add_u64 v[6:7], s[4:5], 0, v[6:7]
	v_lshl_add_u64 v[2:3], v[2:3], 0, 1
	s_mov_b32 s35, s29
	v_lshl_add_u64 v[6:7], v[6:7], 0, 4
	s_lshl_b32 s8, s40, 3
	s_mov_b32 s9, s29
	s_mov_b64 s[12:13], 0
	s_mov_b32 s23, 0x7f800000
	s_mov_b32 s41, 0x43700000
	v_mov_b32_e32 v1, 0xc3700000
	v_mov_b32_e32 v8, v0
.LBB55_9:                               ; =>This Inner Loop Header: Depth=1
	v_lshl_add_u64 v[10:11], v[4:5], 0, s[24:25]
	global_load_dwordx2 v[12:13], v[6:7], off offset:-4
	global_load_dword v9, v[10:11], off
	global_load_dword v14, v[4:5], off
	v_add_u32_e32 v8, s40, v8
	v_cmp_le_i32_e32 vcc, s22, v8
	s_or_b64 s[12:13], vcc, s[12:13]
	v_mov_b32_e32 v16, 0
	v_mov_b32_e32 v15, 0
	v_lshl_add_u64 v[4:5], v[4:5], 0, s[28:29]
	s_waitcnt vmcnt(1)
	v_mul_f32_e32 v10, v9, v13
	s_waitcnt vmcnt(0)
	v_mul_f32_e32 v11, v14, v13
	v_fmac_f32_e32 v11, v9, v12
	v_fma_f32 v10, v14, v12, -v10
	s_waitcnt lgkmcnt(0)
	v_div_scale_f32 v9, s[4:5], s3, s3, v11
	v_div_scale_f32 v13, s[42:43], s3, s3, v10
	v_rcp_f32_e32 v17, v9
	v_rcp_f32_e32 v18, v13
	v_div_scale_f32 v12, s[4:5], v11, s3, v11
	v_fma_f32 v19, -v9, v17, 1.0
	v_fma_f32 v20, -v13, v18, 1.0
	v_div_scale_f32 v14, vcc, v10, s3, v10
	v_fmac_f32_e32 v17, v19, v17
	v_fmac_f32_e32 v18, v20, v18
	v_mul_f32_e32 v19, v12, v17
	v_mul_f32_e32 v20, v14, v18
	v_fma_f32 v21, -v9, v19, v12
	v_fma_f32 v22, -v13, v20, v14
	v_fmac_f32_e32 v19, v21, v17
	v_fmac_f32_e32 v20, v22, v18
	v_fma_f32 v9, -v9, v19, v12
	v_fma_f32 v12, -v13, v20, v14
	v_div_fmas_f32 v12, v12, v18, v20
	s_mov_b64 vcc, s[4:5]
	global_store_dwordx2 v[6:7], v[10:11], off offset:-4
	v_div_fixup_f32 v10, v12, s3, v10
	v_div_fmas_f32 v9, v9, v17, v19
	v_med3_f32 v12, v10, s41, v1
	v_div_fixup_f32 v9, v9, s3, v11
	v_cmp_nlg_f32_e64 vcc, |v10|, s23
	v_med3_f32 v11, v9, s41, v1
	v_lshl_add_u64 v[6:7], v[6:7], 0, s[8:9]
	v_cndmask_b32_e32 v10, v12, v10, vcc
	v_cmp_nlg_f32_e64 vcc, |v9|, s23
	v_cvt_pk_fp8_f32 v15, v10, v10
	s_nop 0
	v_cndmask_b32_e32 v9, v11, v9, vcc
	v_cvt_pk_fp8_f32 v16, v9, v9
	v_lshlrev_b16_e32 v9, 8, v16
	v_or_b32_sdwa v9, v15, v9 dst_sel:DWORD dst_unused:UNUSED_PAD src0_sel:BYTE_0 src1_sel:DWORD
	global_store_short v[2:3], v9, off offset:-1
	v_lshl_add_u64 v[2:3], v[2:3], 0, s[34:35]
	s_andn2_b64 exec, exec, s[12:13]
	s_cbranch_execnz .LBB55_9
.LBB55_10:
	s_or_b64 exec, exec, s[26:27]
	v_cmp_gt_i32_e32 vcc, s18, v0
	s_and_saveexec_b64 s[4:5], vcc
	s_cbranch_execz .LBB55_13
; %bb.11:
	s_mul_i32 s3, s2, s11
	s_mul_hi_u32 s4, s2, s10
	s_add_i32 s3, s4, s3
	s_mul_i32 s2, s2, s10
	s_lshl_b64 s[2:3], s[2:3], 2
	s_add_u32 s2, s14, s2
	s_addc_u32 s3, s15, s3
	s_ashr_i32 s4, s16, 31
	s_mul_i32 s4, s6, s4
	s_add_i32 s4, s37, s4
	s_add_i32 s4, s4, s38
	s_add_u32 s5, s20, s39
	s_addc_u32 s4, s21, s4
	s_ashr_i32 s6, s17, 31
	s_mul_i32 s33, s33, s6
	s_add_i32 s6, s36, s33
	s_add_i32 s6, s6, s7
	s_load_dword s8, s[0:1], 0x8c
	s_add_u32 s0, s5, s19
	s_addc_u32 s1, s4, s6
	s_waitcnt lgkmcnt(0)
	s_load_dword s6, s[30:31], 0x0
	s_mov_b64 s[4:5], 0
	s_and_b32 s7, s8, 0xffff
	s_mov_b32 s8, 0x7f800000
	s_mov_b32 s9, 0x43700000
	v_mov_b32_e32 v2, 0xc3700000
.LBB55_12:                              ; =>This Inner Loop Header: Depth=1
	v_ashrrev_i32_e32 v1, 31, v0
	v_lshl_add_u64 v[4:5], v[0:1], 2, s[2:3]
	global_load_dword v3, v[4:5], off
	v_mov_b32_e32 v6, 0
	s_waitcnt vmcnt(0) lgkmcnt(0)
	v_div_scale_f32 v4, s[10:11], s6, s6, v3
	v_rcp_f32_e32 v5, v4
	v_div_scale_f32 v7, vcc, v3, s6, v3
	v_fma_f32 v8, -v4, v5, 1.0
	v_fmac_f32_e32 v5, v8, v5
	v_mul_f32_e32 v8, v7, v5
	v_fma_f32 v9, -v4, v8, v7
	v_fmac_f32_e32 v8, v9, v5
	v_fma_f32 v4, -v4, v8, v7
	v_div_fmas_f32 v4, v4, v5, v8
	v_div_fixup_f32 v3, v4, s6, v3
	v_med3_f32 v4, v3, s9, v2
	v_cmp_nlg_f32_e64 vcc, |v3|, s8
	s_nop 1
	v_cndmask_b32_e32 v3, v4, v3, vcc
	v_cvt_pk_fp8_f32 v6, v3, v3
	v_lshl_add_u64 v[4:5], s[0:1], 0, v[0:1]
	v_add_u32_e32 v0, s7, v0
	v_cmp_le_i32_e32 vcc, s18, v0
	s_or_b64 s[4:5], vcc, s[4:5]
	global_store_byte v[4:5], v6, off
	s_andn2_b64 exec, exec, s[4:5]
	s_cbranch_execnz .LBB55_12
.LBB55_13:
	s_endpgm
.LBB55_14:
                                        ; implicit-def: $sgpr6_sgpr7
	s_branch .LBB55_6
	.section	.rodata,"a",@progbits
	.p2align	6, 0x0
	.amdhsa_kernel _ZN4vllm38concat_and_cache_mla_rope_fused_kernelIffLb0EfhLNS_18Fp8KVCacheDataTypeE1EEEvPKlPT_S5_PKS4_PKT0_illlliPT3_S3_iiiiPKf
		.amdhsa_group_segment_fixed_size 0
		.amdhsa_private_segment_fixed_size 0
		.amdhsa_kernarg_size 384
		.amdhsa_user_sgpr_count 2
		.amdhsa_user_sgpr_dispatch_ptr 0
		.amdhsa_user_sgpr_queue_ptr 0
		.amdhsa_user_sgpr_kernarg_segment_ptr 1
		.amdhsa_user_sgpr_dispatch_id 0
		.amdhsa_user_sgpr_kernarg_preload_length 0
		.amdhsa_user_sgpr_kernarg_preload_offset 0
		.amdhsa_user_sgpr_private_segment_size 0
		.amdhsa_uses_dynamic_stack 0
		.amdhsa_enable_private_segment 0
		.amdhsa_system_sgpr_workgroup_id_x 1
		.amdhsa_system_sgpr_workgroup_id_y 0
		.amdhsa_system_sgpr_workgroup_id_z 0
		.amdhsa_system_sgpr_workgroup_info 0
		.amdhsa_system_vgpr_workitem_id 0
		.amdhsa_next_free_vgpr 23
		.amdhsa_next_free_sgpr 44
		.amdhsa_accum_offset 24
		.amdhsa_reserve_vcc 1
		.amdhsa_float_round_mode_32 0
		.amdhsa_float_round_mode_16_64 0
		.amdhsa_float_denorm_mode_32 3
		.amdhsa_float_denorm_mode_16_64 3
		.amdhsa_dx10_clamp 1
		.amdhsa_ieee_mode 1
		.amdhsa_fp16_overflow 0
		.amdhsa_tg_split 0
		.amdhsa_exception_fp_ieee_invalid_op 0
		.amdhsa_exception_fp_denorm_src 0
		.amdhsa_exception_fp_ieee_div_zero 0
		.amdhsa_exception_fp_ieee_overflow 0
		.amdhsa_exception_fp_ieee_underflow 0
		.amdhsa_exception_fp_ieee_inexact 0
		.amdhsa_exception_int_div_zero 0
	.end_amdhsa_kernel
	.section	.text._ZN4vllm38concat_and_cache_mla_rope_fused_kernelIffLb0EfhLNS_18Fp8KVCacheDataTypeE1EEEvPKlPT_S5_PKS4_PKT0_illlliPT3_S3_iiiiPKf,"axG",@progbits,_ZN4vllm38concat_and_cache_mla_rope_fused_kernelIffLb0EfhLNS_18Fp8KVCacheDataTypeE1EEEvPKlPT_S5_PKS4_PKT0_illlliPT3_S3_iiiiPKf,comdat
.Lfunc_end55:
	.size	_ZN4vllm38concat_and_cache_mla_rope_fused_kernelIffLb0EfhLNS_18Fp8KVCacheDataTypeE1EEEvPKlPT_S5_PKS4_PKT0_illlliPT3_S3_iiiiPKf, .Lfunc_end55-_ZN4vllm38concat_and_cache_mla_rope_fused_kernelIffLb0EfhLNS_18Fp8KVCacheDataTypeE1EEEvPKlPT_S5_PKS4_PKT0_illlliPT3_S3_iiiiPKf
                                        ; -- End function
	.section	.AMDGPU.csdata,"",@progbits
; Kernel info:
; codeLenInByte = 2280
; NumSgprs: 50
; NumVgprs: 23
; NumAgprs: 0
; TotalNumVgprs: 23
; ScratchSize: 0
; MemoryBound: 0
; FloatMode: 240
; IeeeMode: 1
; LDSByteSize: 0 bytes/workgroup (compile time only)
; SGPRBlocks: 6
; VGPRBlocks: 2
; NumSGPRsForWavesPerEU: 50
; NumVGPRsForWavesPerEU: 23
; AccumOffset: 24
; Occupancy: 8
; WaveLimiterHint : 1
; COMPUTE_PGM_RSRC2:SCRATCH_EN: 0
; COMPUTE_PGM_RSRC2:USER_SGPR: 2
; COMPUTE_PGM_RSRC2:TRAP_HANDLER: 0
; COMPUTE_PGM_RSRC2:TGID_X_EN: 1
; COMPUTE_PGM_RSRC2:TGID_Y_EN: 0
; COMPUTE_PGM_RSRC2:TGID_Z_EN: 0
; COMPUTE_PGM_RSRC2:TIDIG_COMP_CNT: 0
; COMPUTE_PGM_RSRC3_GFX90A:ACCUM_OFFSET: 5
; COMPUTE_PGM_RSRC3_GFX90A:TG_SPLIT: 0
	.section	.text._ZN4vllm38concat_and_cache_mla_rope_fused_kernelIfN3c104HalfELb1EfhLNS_18Fp8KVCacheDataTypeE1EEEvPKlPT_S7_PKS6_PKT0_illlliPT3_S5_iiiiPKf,"axG",@progbits,_ZN4vllm38concat_and_cache_mla_rope_fused_kernelIfN3c104HalfELb1EfhLNS_18Fp8KVCacheDataTypeE1EEEvPKlPT_S7_PKS6_PKT0_illlliPT3_S5_iiiiPKf,comdat
	.protected	_ZN4vllm38concat_and_cache_mla_rope_fused_kernelIfN3c104HalfELb1EfhLNS_18Fp8KVCacheDataTypeE1EEEvPKlPT_S7_PKS6_PKT0_illlliPT3_S5_iiiiPKf ; -- Begin function _ZN4vllm38concat_and_cache_mla_rope_fused_kernelIfN3c104HalfELb1EfhLNS_18Fp8KVCacheDataTypeE1EEEvPKlPT_S7_PKS6_PKT0_illlliPT3_S5_iiiiPKf
	.globl	_ZN4vllm38concat_and_cache_mla_rope_fused_kernelIfN3c104HalfELb1EfhLNS_18Fp8KVCacheDataTypeE1EEEvPKlPT_S7_PKS6_PKT0_illlliPT3_S5_iiiiPKf
	.p2align	8
	.type	_ZN4vllm38concat_and_cache_mla_rope_fused_kernelIfN3c104HalfELb1EfhLNS_18Fp8KVCacheDataTypeE1EEEvPKlPT_S7_PKS6_PKT0_illlliPT3_S5_iiiiPKf,@function
_ZN4vllm38concat_and_cache_mla_rope_fused_kernelIfN3c104HalfELb1EfhLNS_18Fp8KVCacheDataTypeE1EEEvPKlPT_S7_PKS6_PKT0_illlliPT3_S5_iiiiPKf: ; @_ZN4vllm38concat_and_cache_mla_rope_fused_kernelIfN3c104HalfELb1EfhLNS_18Fp8KVCacheDataTypeE1EEEvPKlPT_S7_PKS6_PKT0_illlliPT3_S5_iiiiPKf
; %bb.0:
	s_load_dwordx2 s[6:7], s[0:1], 0x60
	s_mov_b32 s3, 0
	s_lshl_b64 s[4:5], s[2:3], 3
	s_waitcnt lgkmcnt(0)
	s_add_u32 s6, s6, s4
	s_addc_u32 s7, s7, s5
	s_load_dwordx2 s[28:29], s[6:7], 0x0
	s_waitcnt lgkmcnt(0)
	v_cmp_lt_i64_e64 s[6:7], s[28:29], 0
	s_and_b64 vcc, exec, s[6:7]
	s_cbranch_vccnz .LBB56_13
; %bb.1:
	s_load_dword s3, s[0:1], 0x28
	s_load_dwordx2 s[6:7], s[0:1], 0x0
	s_load_dwordx4 s[12:15], s[0:1], 0x10
	s_waitcnt lgkmcnt(0)
	s_ashr_i32 s22, s3, 31
	s_add_u32 s16, s6, s4
	s_addc_u32 s17, s7, s5
	s_load_dwordx2 s[18:19], s[16:17], 0x0
	s_load_dwordx2 s[24:25], s[0:1], 0x20
	s_load_dwordx8 s[4:11], s[0:1], 0x30
	s_load_dwordx2 s[20:21], s[0:1], 0x58
	s_load_dword s23, s[0:1], 0x50
	s_waitcnt lgkmcnt(0)
	s_mul_i32 s16, s18, s22
	s_mul_hi_u32 s17, s18, s3
	s_mul_i32 s19, s19, s3
	s_add_i32 s16, s17, s16
	s_add_i32 s27, s16, s19
	s_lshr_b32 s16, s3, 31
	s_mul_i32 s26, s18, s3
	s_add_i32 s3, s3, s16
	s_ashr_i32 s22, s3, 1
	s_mul_i32 s3, s22, s23
	v_cmp_gt_i32_e32 vcc, s3, v0
	s_and_saveexec_b64 s[16:17], vcc
	s_cbranch_execz .LBB56_4
; %bb.2:
	s_load_dwordx2 s[30:31], s[0:1], 0x8
	s_load_dword s34, s[0:1], 0x8c
	s_lshl_b64 s[18:19], s[26:27], 1
	s_add_u32 s18, s24, s18
	s_mul_i32 s5, s2, s5
	s_mul_hi_u32 s33, s2, s4
	s_addc_u32 s19, s25, s19
	s_add_i32 s5, s33, s5
	s_mul_i32 s4, s2, s4
	s_ashr_i32 s23, s22, 31
	s_lshl_b64 s[4:5], s[4:5], 2
	s_waitcnt lgkmcnt(0)
	s_add_u32 s4, s30, s4
	s_addc_u32 s5, s31, s5
	s_abs_i32 s33, s22
	v_cvt_f32_u32_e32 v1, s33
	s_sub_i32 s30, 0, s33
	s_and_b32 s34, s34, 0xffff
	s_sub_i32 s35, 0, s22
	v_rcp_iflag_f32_e32 v1, v1
	s_nop 0
	v_mul_f32_e32 v1, 0x4f7ffffe, v1
	v_cvt_u32_f32_e32 v1, v1
	v_mul_lo_u32 v2, s30, v1
	v_mul_hi_u32 v2, v1, v2
	v_add_u32_e32 v1, v1, v2
	s_mov_b64 s[30:31], 0
	v_mov_b32_e32 v2, v0
.LBB56_3:                               ; =>This Inner Loop Header: Depth=1
	v_sub_u32_e32 v4, 0, v2
	v_max_i32_e32 v4, v2, v4
	v_mul_hi_u32 v5, v4, v1
	v_mul_lo_u32 v6, v5, s33
	v_sub_u32_e32 v4, v4, v6
	v_add_u32_e32 v7, 1, v5
	v_cmp_le_u32_e32 vcc, s33, v4
	v_subrev_u32_e32 v6, s33, v4
	v_ashrrev_i32_e32 v3, 31, v2
	v_cndmask_b32_e32 v5, v5, v7, vcc
	v_cndmask_b32_e32 v4, v4, v6, vcc
	v_add_u32_e32 v6, 1, v5
	v_cmp_le_u32_e32 vcc, s33, v4
	v_xor_b32_e32 v3, s23, v3
	s_nop 0
	v_cndmask_b32_e32 v4, v5, v6, vcc
	v_xor_b32_e32 v4, v4, v3
	v_sub_u32_e32 v3, v4, v3
	v_mad_u64_u32 v[4:5], s[36:37], s35, v3, v[2:3]
	v_ashrrev_i32_e32 v8, 31, v3
	v_ashrrev_i32_e32 v5, 31, v4
	v_mul_lo_u32 v10, v3, s7
	v_mad_u64_u32 v[6:7], s[36:37], v3, s6, 0
	v_mul_lo_u32 v3, v8, s6
	v_lshl_add_u64 v[8:9], v[4:5], 1, s[18:19]
	v_add3_u32 v7, v7, v10, v3
	v_lshl_add_u64 v[10:11], s[22:23], 1, v[8:9]
	global_load_ushort v3, v[8:9], off
	global_load_ushort v12, v[10:11], off
	v_lshl_add_u64 v[6:7], v[6:7], 2, s[4:5]
	v_lshl_add_u64 v[4:5], v[4:5], 2, v[6:7]
	;; [unrolled: 1-line block ×3, first 2 shown]
	global_load_dword v8, v[4:5], off
	global_load_dword v9, v[6:7], off
	v_add_u32_e32 v2, s34, v2
	v_cmp_le_i32_e32 vcc, s3, v2
	s_or_b64 s[30:31], vcc, s[30:31]
	s_waitcnt vmcnt(3)
	v_cvt_f32_f16_e32 v10, v3
	s_waitcnt vmcnt(2)
	v_cvt_f32_f16_e32 v11, v12
	s_waitcnt vmcnt(0)
	v_mul_f32_e32 v10, v9, v10
	v_mul_f32_e32 v9, v9, v11
	v_fma_mix_f32 v3, v8, v3, -v9 op_sel_hi:[0,1,0]
	v_fma_mix_f32 v10, v8, v12, v10 op_sel_hi:[0,1,0]
	global_store_dword v[4:5], v3, off
	global_store_dword v[6:7], v10, off
	s_andn2_b64 exec, exec, s[30:31]
	s_cbranch_execnz .LBB56_3
.LBB56_4:
	s_or_b64 exec, exec, s[16:17]
	s_load_dwordx4 s[16:19], s[0:1], 0x68
	s_waitcnt lgkmcnt(0)
	s_ashr_i32 s35, s19, 31
	s_mov_b32 s34, s19
	s_or_b64 s[4:5], s[28:29], s[34:35]
	s_mov_b32 s4, 0
	s_cmp_lg_u64 s[4:5], 0
	s_cbranch_scc0 .LBB56_14
; %bb.5:
	s_add_u32 s4, s34, s35
	s_mov_b32 s6, s35
	s_mov_b32 s7, s35
	s_addc_u32 s5, s35, s35
	s_xor_b64 s[36:37], s[4:5], s[6:7]
	v_cvt_f32_u32_e32 v1, s36
	v_cvt_f32_u32_e32 v2, s37
	s_sub_u32 s3, 0, s36
	s_subb_u32 s4, 0, s37
	v_fmamk_f32 v1, v2, 0x4f800000, v1
	v_rcp_f32_e32 v1, v1
	s_nop 0
	v_mul_f32_e32 v1, 0x5f7ffffc, v1
	v_mul_f32_e32 v2, 0x2f800000, v1
	v_trunc_f32_e32 v2, v2
	v_fmamk_f32 v1, v2, 0xcf800000, v1
	v_cvt_u32_f32_e32 v2, v2
	v_cvt_u32_f32_e32 v1, v1
	v_readfirstlane_b32 s5, v2
	v_readfirstlane_b32 s19, v1
	s_mul_i32 s23, s3, s5
	s_mul_hi_u32 s38, s3, s19
	s_mul_i32 s33, s4, s19
	s_add_i32 s23, s38, s23
	s_add_i32 s23, s23, s33
	s_mul_i32 s39, s3, s19
	s_mul_hi_u32 s33, s19, s23
	s_mul_i32 s38, s19, s23
	s_mul_hi_u32 s19, s19, s39
	s_add_u32 s19, s19, s38
	s_addc_u32 s33, 0, s33
	s_mul_hi_u32 s40, s5, s39
	s_mul_i32 s39, s5, s39
	s_add_u32 s19, s19, s39
	s_mul_hi_u32 s38, s5, s23
	s_addc_u32 s19, s33, s40
	s_addc_u32 s33, s38, 0
	s_mul_i32 s23, s5, s23
	s_add_u32 s19, s19, s23
	s_addc_u32 s23, 0, s33
	v_add_co_u32_e32 v1, vcc, s19, v1
	s_cmp_lg_u64 vcc, 0
	s_addc_u32 s5, s5, s23
	v_readfirstlane_b32 s23, v1
	s_mul_i32 s19, s3, s5
	s_mul_hi_u32 s33, s3, s23
	s_add_i32 s19, s33, s19
	s_mul_i32 s4, s4, s23
	s_add_i32 s19, s19, s4
	s_mul_i32 s3, s3, s23
	s_mul_hi_u32 s33, s5, s3
	s_mul_i32 s38, s5, s3
	s_mul_i32 s40, s23, s19
	s_mul_hi_u32 s3, s23, s3
	s_mul_hi_u32 s39, s23, s19
	s_add_u32 s3, s3, s40
	s_addc_u32 s23, 0, s39
	s_add_u32 s3, s3, s38
	s_mul_hi_u32 s4, s5, s19
	s_addc_u32 s3, s23, s33
	s_addc_u32 s4, s4, 0
	s_mul_i32 s19, s5, s19
	s_add_u32 s3, s3, s19
	s_addc_u32 s4, 0, s4
	v_add_co_u32_e32 v1, vcc, s3, v1
	s_cmp_lg_u64 vcc, 0
	s_addc_u32 s3, s5, s4
	s_ashr_i32 s38, s29, 31
	s_add_u32 s4, s28, s38
	s_mov_b32 s39, s38
	s_addc_u32 s5, s29, s38
	s_xor_b64 s[40:41], s[4:5], s[38:39]
	v_readfirstlane_b32 s19, v1
	s_mul_i32 s5, s40, s3
	s_mul_hi_u32 s23, s40, s19
	s_mul_hi_u32 s4, s40, s3
	s_add_u32 s5, s23, s5
	s_addc_u32 s4, 0, s4
	s_mul_hi_u32 s33, s41, s19
	s_mul_i32 s19, s41, s19
	s_add_u32 s5, s5, s19
	s_mul_hi_u32 s23, s41, s3
	s_addc_u32 s4, s4, s33
	s_addc_u32 s5, s23, 0
	s_mul_i32 s3, s41, s3
	s_add_u32 s3, s4, s3
	s_addc_u32 s19, 0, s5
	s_mul_i32 s4, s36, s19
	s_mul_hi_u32 s5, s36, s3
	s_add_i32 s4, s5, s4
	s_mul_i32 s5, s37, s3
	s_add_i32 s23, s4, s5
	s_mul_i32 s5, s36, s3
	v_mov_b32_e32 v1, s5
	s_sub_i32 s4, s41, s23
	v_sub_co_u32_e32 v1, vcc, s40, v1
	s_cmp_lg_u64 vcc, 0
	s_subb_u32 s33, s4, s37
	v_subrev_co_u32_e64 v2, s[4:5], s36, v1
	s_cmp_lg_u64 s[4:5], 0
	s_subb_u32 s4, s33, 0
	s_cmp_ge_u32 s4, s37
	v_readfirstlane_b32 s33, v2
	s_cselect_b32 s5, -1, 0
	s_cmp_ge_u32 s33, s36
	s_cselect_b32 s33, -1, 0
	s_cmp_eq_u32 s4, s37
	s_cselect_b32 s4, s33, s5
	s_add_u32 s5, s3, 1
	s_addc_u32 s33, s19, 0
	s_add_u32 s40, s3, 2
	s_addc_u32 s42, s19, 0
	s_cmp_lg_u32 s4, 0
	s_cselect_b32 s4, s40, s5
	s_cselect_b32 s5, s42, s33
	s_cmp_lg_u64 vcc, 0
	s_subb_u32 s23, s41, s23
	s_cmp_ge_u32 s23, s37
	v_readfirstlane_b32 s40, v1
	s_cselect_b32 s33, -1, 0
	s_cmp_ge_u32 s40, s36
	s_cselect_b32 s36, -1, 0
	s_cmp_eq_u32 s23, s37
	s_cselect_b32 s23, s36, s33
	s_cmp_lg_u32 s23, 0
	s_cselect_b32 s5, s5, s19
	s_cselect_b32 s4, s4, s3
	s_xor_b64 s[6:7], s[38:39], s[6:7]
	s_xor_b64 s[4:5], s[4:5], s[6:7]
	s_sub_u32 s6, s4, s6
	s_subb_u32 s7, s5, s7
	s_cbranch_execnz .LBB56_7
.LBB56_6:
	v_cvt_f32_u32_e32 v1, s34
	s_sub_i32 s3, 0, s34
	s_mov_b32 s7, 0
	v_rcp_iflag_f32_e32 v1, v1
	s_nop 0
	v_mul_f32_e32 v1, 0x4f7ffffe, v1
	v_cvt_u32_f32_e32 v1, v1
	s_nop 0
	v_readfirstlane_b32 s4, v1
	s_mul_i32 s3, s3, s4
	s_mul_hi_u32 s3, s4, s3
	s_add_i32 s4, s4, s3
	s_mul_hi_u32 s3, s28, s4
	s_mul_i32 s5, s3, s34
	s_sub_i32 s5, s28, s5
	s_add_i32 s4, s3, 1
	s_sub_i32 s6, s5, s34
	s_cmp_ge_u32 s5, s34
	s_cselect_b32 s3, s4, s3
	s_cselect_b32 s5, s6, s5
	s_add_i32 s4, s3, 1
	s_cmp_ge_u32 s5, s34
	s_cselect_b32 s6, s4, s3
.LBB56_7:
	s_mul_i32 s3, s6, s35
	s_mul_hi_u32 s4, s6, s34
	s_load_dwordx2 s[30:31], s[0:1], 0x78
	s_add_i32 s3, s4, s3
	s_mul_i32 s4, s7, s34
	s_add_i32 s3, s3, s4
	s_mul_i32 s4, s6, s34
	s_sub_u32 s33, s28, s4
	s_subb_u32 s3, s29, s3
	v_cmp_gt_i32_e32 vcc, s22, v0
	s_mul_hi_u32 s43, s6, s16
	s_mul_i32 s44, s7, s16
	s_mul_i32 s45, s6, s16
	s_mul_hi_u32 s42, s33, s17
	s_mul_i32 s7, s3, s17
	s_mul_i32 s19, s33, s17
	s_and_saveexec_b64 s[28:29], vcc
	s_cbranch_execz .LBB56_10
; %bb.8:
	s_ashr_i32 s3, s16, 31
	s_ashr_i32 s4, s17, 31
	s_mul_i32 s3, s6, s3
	s_mul_i32 s4, s33, s4
	s_add_i32 s3, s43, s3
	s_add_i32 s4, s42, s4
	s_ashr_i32 s23, s22, 31
	s_add_i32 s3, s3, s44
	s_add_i32 s4, s4, s7
	s_add_u32 s38, s45, s19
	s_load_dword s5, s[0:1], 0x8c
	s_addc_u32 s39, s3, s4
	s_add_u32 s3, s38, s20
	s_addc_u32 s4, s39, s21
	s_ashr_i32 s40, s18, 31
	s_add_u32 s34, s3, s18
	s_addc_u32 s35, s4, s40
	s_waitcnt lgkmcnt(0)
	s_and_b32 s46, s5, 0xffff
	s_lshl_b64 s[4:5], s[26:27], 1
	v_mov_b32_e32 v1, 0
	s_add_u32 s4, s24, s4
	v_lshlrev_b32_e32 v2, 1, v0
	v_mov_b32_e32 v3, v1
	s_addc_u32 s5, s25, s5
	v_lshl_add_u64 v[2:3], s[4:5], 0, v[2:3]
	s_mul_i32 s4, s9, s2
	s_mul_hi_u32 s5, s8, s2
	s_add_i32 s5, s5, s4
	s_mul_i32 s4, s8, s2
	s_lshl_b32 s36, s46, 1
	s_lshl_b64 s[24:25], s[22:23], 1
	s_lshl_b64 s[26:27], s[22:23], 2
	;; [unrolled: 1-line block ×3, first 2 shown]
	s_add_u32 s4, s12, s4
	v_lshlrev_b32_e32 v4, 2, v0
	v_mov_b32_e32 v5, v1
	s_addc_u32 s5, s13, s5
	s_lshl_b32 s8, s46, 2
	v_lshl_add_u64 v[4:5], s[4:5], 0, v[4:5]
	s_add_u32 s4, s38, s22
	s_load_dword s3, s[30:31], 0x0
	s_addc_u32 s5, s39, s23
	s_add_u32 s4, s4, s18
	s_addc_u32 s5, s5, s40
	s_mov_b32 s37, 0
	s_add_u32 s12, s20, s4
	s_mov_b32 s9, s37
	s_addc_u32 s13, s21, s5
	s_mov_b64 s[38:39], 0
	s_mov_b32 s23, 0x7f800000
	s_mov_b32 s47, 0x43700000
	v_mov_b32_e32 v6, 0xc3700000
	s_mov_b64 s[40:41], 0
.LBB56_9:                               ; =>This Inner Loop Header: Depth=1
	global_load_ushort v7, v[2:3], off
	v_lshl_add_u64 v[8:9], v[2:3], 0, s[24:25]
	v_lshl_add_u64 v[10:11], v[4:5], 0, s[26:27]
	global_load_dword v14, v[4:5], off
	global_load_ushort v15, v[8:9], off
	global_load_dword v16, v[10:11], off
	s_add_u32 s40, s40, s46
	v_add_u32_e32 v19, s40, v0
	v_cmp_le_i32_e32 vcc, s22, v19
	s_addc_u32 s41, s41, 0
	v_lshl_add_u64 v[12:13], s[12:13], 0, v[0:1]
	s_add_u32 s12, s12, s46
	s_addc_u32 s13, s13, 0
	v_lshl_add_u64 v[8:9], s[34:35], 0, v[0:1]
	s_add_u32 s34, s34, s46
	s_addc_u32 s35, s35, 0
	s_or_b64 s[38:39], vcc, s[38:39]
	v_mov_b32_e32 v17, 0
	v_mov_b32_e32 v18, 0
	v_lshl_add_u64 v[2:3], v[2:3], 0, s[36:37]
	s_waitcnt vmcnt(3)
	v_cvt_f32_f16_e32 v19, v7
	s_waitcnt vmcnt(1)
	v_cvt_f32_f16_e32 v20, v15
	s_waitcnt vmcnt(0)
	v_mul_f32_e32 v19, v16, v19
	v_fma_mix_f32 v15, v14, v15, v19 op_sel_hi:[0,1,0]
	v_mul_f32_e32 v16, v16, v20
	v_fma_mix_f32 v7, v14, v7, -v16 op_sel_hi:[0,1,0]
	s_waitcnt lgkmcnt(0)
	v_div_scale_f32 v14, s[4:5], s3, s3, v15
	v_div_scale_f32 v19, s[48:49], s3, s3, v7
	v_rcp_f32_e32 v21, v14
	v_rcp_f32_e32 v22, v19
	v_div_scale_f32 v16, s[4:5], v15, s3, v15
	v_fma_f32 v23, -v14, v21, 1.0
	v_fma_f32 v24, -v19, v22, 1.0
	v_div_scale_f32 v20, vcc, v7, s3, v7
	v_fmac_f32_e32 v21, v23, v21
	v_fmac_f32_e32 v22, v24, v22
	v_mul_f32_e32 v23, v16, v21
	v_mul_f32_e32 v24, v20, v22
	v_fma_f32 v25, -v14, v23, v16
	v_fma_f32 v26, -v19, v24, v20
	v_fmac_f32_e32 v23, v25, v21
	v_fmac_f32_e32 v24, v26, v22
	v_fma_f32 v14, -v14, v23, v16
	v_fma_f32 v16, -v19, v24, v20
	v_div_fmas_f32 v16, v16, v22, v24
	s_mov_b64 vcc, s[4:5]
	global_store_dword v[4:5], v7, off
	v_div_fixup_f32 v7, v16, s3, v7
	v_div_fmas_f32 v14, v14, v21, v23
	v_med3_f32 v16, v7, s47, v6
	v_div_fixup_f32 v14, v14, s3, v15
	v_cmp_nlg_f32_e64 vcc, |v7|, s23
	v_lshl_add_u64 v[4:5], v[4:5], 0, s[8:9]
	global_store_dword v[10:11], v15, off
	v_cndmask_b32_e32 v7, v16, v7, vcc
	v_med3_f32 v16, v14, s47, v6
	v_cmp_nlg_f32_e64 vcc, |v14|, s23
	v_cvt_pk_fp8_f32 v17, v7, v7
	s_nop 0
	v_cndmask_b32_e32 v7, v16, v14, vcc
	v_cvt_pk_fp8_f32 v18, v7, v7
	global_store_byte v[8:9], v17, off
	global_store_byte v[12:13], v18, off
	s_andn2_b64 exec, exec, s[38:39]
	s_cbranch_execnz .LBB56_9
.LBB56_10:
	s_or_b64 exec, exec, s[28:29]
	v_cmp_gt_i32_e32 vcc, s18, v0
	s_and_saveexec_b64 s[4:5], vcc
	s_cbranch_execz .LBB56_13
; %bb.11:
	s_mul_i32 s3, s2, s11
	s_mul_hi_u32 s4, s2, s10
	s_add_i32 s3, s4, s3
	s_mul_i32 s2, s2, s10
	s_lshl_b64 s[2:3], s[2:3], 2
	s_add_u32 s2, s14, s2
	s_addc_u32 s3, s15, s3
	s_ashr_i32 s4, s16, 31
	s_mul_i32 s4, s6, s4
	s_add_i32 s4, s43, s4
	s_add_i32 s4, s4, s44
	s_add_u32 s5, s20, s45
	s_addc_u32 s4, s21, s4
	s_ashr_i32 s6, s17, 31
	s_mul_i32 s33, s33, s6
	s_add_i32 s6, s42, s33
	s_add_i32 s6, s6, s7
	s_load_dword s8, s[0:1], 0x8c
	s_add_u32 s0, s5, s19
	s_addc_u32 s1, s4, s6
	s_waitcnt lgkmcnt(0)
	s_load_dword s6, s[30:31], 0x0
	s_mov_b64 s[4:5], 0
	s_and_b32 s7, s8, 0xffff
	s_mov_b32 s8, 0x7f800000
	s_mov_b32 s9, 0x43700000
	v_mov_b32_e32 v2, 0xc3700000
.LBB56_12:                              ; =>This Inner Loop Header: Depth=1
	v_ashrrev_i32_e32 v1, 31, v0
	v_lshl_add_u64 v[4:5], v[0:1], 2, s[2:3]
	global_load_dword v3, v[4:5], off
	v_mov_b32_e32 v6, 0
	s_waitcnt vmcnt(0) lgkmcnt(0)
	v_div_scale_f32 v4, s[10:11], s6, s6, v3
	v_rcp_f32_e32 v5, v4
	v_div_scale_f32 v7, vcc, v3, s6, v3
	v_fma_f32 v8, -v4, v5, 1.0
	v_fmac_f32_e32 v5, v8, v5
	v_mul_f32_e32 v8, v7, v5
	v_fma_f32 v9, -v4, v8, v7
	v_fmac_f32_e32 v8, v9, v5
	v_fma_f32 v4, -v4, v8, v7
	v_div_fmas_f32 v4, v4, v5, v8
	v_div_fixup_f32 v3, v4, s6, v3
	v_med3_f32 v4, v3, s9, v2
	v_cmp_nlg_f32_e64 vcc, |v3|, s8
	s_nop 1
	v_cndmask_b32_e32 v3, v4, v3, vcc
	v_cvt_pk_fp8_f32 v6, v3, v3
	v_lshl_add_u64 v[4:5], s[0:1], 0, v[0:1]
	v_add_u32_e32 v0, s7, v0
	v_cmp_le_i32_e32 vcc, s18, v0
	s_or_b64 s[4:5], vcc, s[4:5]
	global_store_byte v[4:5], v6, off
	s_andn2_b64 exec, exec, s[4:5]
	s_cbranch_execnz .LBB56_12
.LBB56_13:
	s_endpgm
.LBB56_14:
                                        ; implicit-def: $sgpr6_sgpr7
	s_branch .LBB56_6
	.section	.rodata,"a",@progbits
	.p2align	6, 0x0
	.amdhsa_kernel _ZN4vllm38concat_and_cache_mla_rope_fused_kernelIfN3c104HalfELb1EfhLNS_18Fp8KVCacheDataTypeE1EEEvPKlPT_S7_PKS6_PKT0_illlliPT3_S5_iiiiPKf
		.amdhsa_group_segment_fixed_size 0
		.amdhsa_private_segment_fixed_size 0
		.amdhsa_kernarg_size 384
		.amdhsa_user_sgpr_count 2
		.amdhsa_user_sgpr_dispatch_ptr 0
		.amdhsa_user_sgpr_queue_ptr 0
		.amdhsa_user_sgpr_kernarg_segment_ptr 1
		.amdhsa_user_sgpr_dispatch_id 0
		.amdhsa_user_sgpr_kernarg_preload_length 0
		.amdhsa_user_sgpr_kernarg_preload_offset 0
		.amdhsa_user_sgpr_private_segment_size 0
		.amdhsa_uses_dynamic_stack 0
		.amdhsa_enable_private_segment 0
		.amdhsa_system_sgpr_workgroup_id_x 1
		.amdhsa_system_sgpr_workgroup_id_y 0
		.amdhsa_system_sgpr_workgroup_id_z 0
		.amdhsa_system_sgpr_workgroup_info 0
		.amdhsa_system_vgpr_workitem_id 0
		.amdhsa_next_free_vgpr 27
		.amdhsa_next_free_sgpr 50
		.amdhsa_accum_offset 28
		.amdhsa_reserve_vcc 1
		.amdhsa_float_round_mode_32 0
		.amdhsa_float_round_mode_16_64 0
		.amdhsa_float_denorm_mode_32 3
		.amdhsa_float_denorm_mode_16_64 3
		.amdhsa_dx10_clamp 1
		.amdhsa_ieee_mode 1
		.amdhsa_fp16_overflow 0
		.amdhsa_tg_split 0
		.amdhsa_exception_fp_ieee_invalid_op 0
		.amdhsa_exception_fp_denorm_src 0
		.amdhsa_exception_fp_ieee_div_zero 0
		.amdhsa_exception_fp_ieee_overflow 0
		.amdhsa_exception_fp_ieee_underflow 0
		.amdhsa_exception_fp_ieee_inexact 0
		.amdhsa_exception_int_div_zero 0
	.end_amdhsa_kernel
	.section	.text._ZN4vllm38concat_and_cache_mla_rope_fused_kernelIfN3c104HalfELb1EfhLNS_18Fp8KVCacheDataTypeE1EEEvPKlPT_S7_PKS6_PKT0_illlliPT3_S5_iiiiPKf,"axG",@progbits,_ZN4vllm38concat_and_cache_mla_rope_fused_kernelIfN3c104HalfELb1EfhLNS_18Fp8KVCacheDataTypeE1EEEvPKlPT_S7_PKS6_PKT0_illlliPT3_S5_iiiiPKf,comdat
.Lfunc_end56:
	.size	_ZN4vllm38concat_and_cache_mla_rope_fused_kernelIfN3c104HalfELb1EfhLNS_18Fp8KVCacheDataTypeE1EEEvPKlPT_S7_PKS6_PKT0_illlliPT3_S5_iiiiPKf, .Lfunc_end56-_ZN4vllm38concat_and_cache_mla_rope_fused_kernelIfN3c104HalfELb1EfhLNS_18Fp8KVCacheDataTypeE1EEEvPKlPT_S7_PKS6_PKT0_illlliPT3_S5_iiiiPKf
                                        ; -- End function
	.section	.AMDGPU.csdata,"",@progbits
; Kernel info:
; codeLenInByte = 2360
; NumSgprs: 56
; NumVgprs: 27
; NumAgprs: 0
; TotalNumVgprs: 27
; ScratchSize: 0
; MemoryBound: 0
; FloatMode: 240
; IeeeMode: 1
; LDSByteSize: 0 bytes/workgroup (compile time only)
; SGPRBlocks: 6
; VGPRBlocks: 3
; NumSGPRsForWavesPerEU: 56
; NumVGPRsForWavesPerEU: 27
; AccumOffset: 28
; Occupancy: 8
; WaveLimiterHint : 1
; COMPUTE_PGM_RSRC2:SCRATCH_EN: 0
; COMPUTE_PGM_RSRC2:USER_SGPR: 2
; COMPUTE_PGM_RSRC2:TRAP_HANDLER: 0
; COMPUTE_PGM_RSRC2:TGID_X_EN: 1
; COMPUTE_PGM_RSRC2:TGID_Y_EN: 0
; COMPUTE_PGM_RSRC2:TGID_Z_EN: 0
; COMPUTE_PGM_RSRC2:TIDIG_COMP_CNT: 0
; COMPUTE_PGM_RSRC3_GFX90A:ACCUM_OFFSET: 6
; COMPUTE_PGM_RSRC3_GFX90A:TG_SPLIT: 0
	.section	.text._ZN4vllm38concat_and_cache_mla_rope_fused_kernelIfN3c104HalfELb0EfhLNS_18Fp8KVCacheDataTypeE1EEEvPKlPT_S7_PKS6_PKT0_illlliPT3_S5_iiiiPKf,"axG",@progbits,_ZN4vllm38concat_and_cache_mla_rope_fused_kernelIfN3c104HalfELb0EfhLNS_18Fp8KVCacheDataTypeE1EEEvPKlPT_S7_PKS6_PKT0_illlliPT3_S5_iiiiPKf,comdat
	.protected	_ZN4vllm38concat_and_cache_mla_rope_fused_kernelIfN3c104HalfELb0EfhLNS_18Fp8KVCacheDataTypeE1EEEvPKlPT_S7_PKS6_PKT0_illlliPT3_S5_iiiiPKf ; -- Begin function _ZN4vllm38concat_and_cache_mla_rope_fused_kernelIfN3c104HalfELb0EfhLNS_18Fp8KVCacheDataTypeE1EEEvPKlPT_S7_PKS6_PKT0_illlliPT3_S5_iiiiPKf
	.globl	_ZN4vllm38concat_and_cache_mla_rope_fused_kernelIfN3c104HalfELb0EfhLNS_18Fp8KVCacheDataTypeE1EEEvPKlPT_S7_PKS6_PKT0_illlliPT3_S5_iiiiPKf
	.p2align	8
	.type	_ZN4vllm38concat_and_cache_mla_rope_fused_kernelIfN3c104HalfELb0EfhLNS_18Fp8KVCacheDataTypeE1EEEvPKlPT_S7_PKS6_PKT0_illlliPT3_S5_iiiiPKf,@function
_ZN4vllm38concat_and_cache_mla_rope_fused_kernelIfN3c104HalfELb0EfhLNS_18Fp8KVCacheDataTypeE1EEEvPKlPT_S7_PKS6_PKT0_illlliPT3_S5_iiiiPKf: ; @_ZN4vllm38concat_and_cache_mla_rope_fused_kernelIfN3c104HalfELb0EfhLNS_18Fp8KVCacheDataTypeE1EEEvPKlPT_S7_PKS6_PKT0_illlliPT3_S5_iiiiPKf
; %bb.0:
	s_load_dwordx2 s[6:7], s[0:1], 0x60
	s_mov_b32 s3, 0
	s_lshl_b64 s[4:5], s[2:3], 3
	s_waitcnt lgkmcnt(0)
	s_add_u32 s6, s6, s4
	s_addc_u32 s7, s7, s5
	s_load_dwordx2 s[26:27], s[6:7], 0x0
	s_waitcnt lgkmcnt(0)
	v_cmp_lt_i64_e64 s[6:7], s[26:27], 0
	s_and_b64 vcc, exec, s[6:7]
	s_cbranch_vccnz .LBB57_13
; %bb.1:
	s_load_dword s3, s[0:1], 0x28
	s_load_dwordx2 s[6:7], s[0:1], 0x0
	s_load_dwordx4 s[12:15], s[0:1], 0x10
	v_lshlrev_b32_e32 v2, 1, v0
	s_waitcnt lgkmcnt(0)
	s_ashr_i32 s22, s3, 31
	s_add_u32 s16, s6, s4
	s_addc_u32 s17, s7, s5
	s_load_dwordx2 s[18:19], s[16:17], 0x0
	s_load_dwordx2 s[24:25], s[0:1], 0x20
	s_load_dwordx8 s[4:11], s[0:1], 0x30
	s_load_dwordx2 s[20:21], s[0:1], 0x58
	s_load_dword s23, s[0:1], 0x50
	s_waitcnt lgkmcnt(0)
	s_mul_i32 s16, s18, s22
	s_mul_hi_u32 s17, s18, s3
	s_mul_i32 s19, s19, s3
	s_add_i32 s16, s17, s16
	s_add_i32 s29, s16, s19
	s_lshr_b32 s16, s3, 31
	s_mul_i32 s28, s18, s3
	s_add_i32 s3, s3, s16
	s_ashr_i32 s22, s3, 1
	s_mul_i32 s3, s22, s23
	v_cmp_gt_i32_e32 vcc, s3, v0
	s_and_saveexec_b64 s[16:17], vcc
	s_cbranch_execz .LBB57_4
; %bb.2:
	s_load_dwordx2 s[30:31], s[0:1], 0x8
	s_load_dword s34, s[0:1], 0x8c
	s_lshl_b64 s[18:19], s[28:29], 1
	s_add_u32 s18, s24, s18
	s_mul_i32 s5, s2, s5
	s_mul_hi_u32 s33, s2, s4
	s_addc_u32 s19, s25, s19
	s_add_i32 s5, s33, s5
	s_mul_i32 s4, s2, s4
	s_ashr_i32 s23, s22, 31
	s_lshl_b64 s[4:5], s[4:5], 2
	s_waitcnt lgkmcnt(0)
	s_add_u32 s4, s30, s4
	s_addc_u32 s5, s31, s5
	s_abs_i32 s33, s22
	v_cvt_f32_u32_e32 v1, s33
	s_sub_i32 s30, 0, s33
	s_and_b32 s34, s34, 0xffff
	s_sub_i32 s35, 0, s22
	v_rcp_iflag_f32_e32 v1, v1
	s_lshl_b32 s37, s34, 1
	v_mov_b32_e32 v4, v2
	v_mov_b32_e32 v6, v0
	v_mul_f32_e32 v1, 0x4f7ffffe, v1
	v_cvt_u32_f32_e32 v1, v1
	v_mul_lo_u32 v3, s30, v1
	v_mul_hi_u32 v3, v1, v3
	s_lshl_b32 s30, s22, 1
	v_add_u32_e32 v1, v1, v3
	s_sub_i32 s36, 0, s30
	s_mov_b64 s[30:31], 0
.LBB57_3:                               ; =>This Inner Loop Header: Depth=1
	v_sub_u32_e32 v5, 0, v6
	v_max_i32_e32 v5, v6, v5
	v_mul_hi_u32 v7, v5, v1
	v_mul_lo_u32 v8, v7, s33
	v_sub_u32_e32 v5, v5, v8
	v_add_u32_e32 v9, 1, v7
	v_cmp_le_u32_e32 vcc, s33, v5
	v_subrev_u32_e32 v8, s33, v5
	v_ashrrev_i32_e32 v3, 31, v6
	v_cndmask_b32_e32 v7, v7, v9, vcc
	v_cndmask_b32_e32 v5, v5, v8, vcc
	v_add_u32_e32 v8, 1, v7
	v_cmp_le_u32_e32 vcc, s33, v5
	v_xor_b32_e32 v3, s23, v3
	s_nop 0
	v_cndmask_b32_e32 v5, v7, v8, vcc
	v_xor_b32_e32 v5, v5, v3
	v_sub_u32_e32 v3, v5, v3
	v_mad_u64_u32 v[8:9], s[38:39], s35, v3, v[6:7]
	v_ashrrev_i32_e32 v5, 31, v3
	v_ashrrev_i32_e32 v9, 31, v8
	v_mul_lo_u32 v7, v3, s7
	v_mad_u64_u32 v[10:11], s[38:39], v3, s6, 0
	v_mad_u64_u32 v[12:13], s[38:39], s36, v3, v[4:5]
	v_mul_lo_u32 v3, v5, s6
	v_lshl_add_u64 v[8:9], v[8:9], 1, s[18:19]
	v_add3_u32 v11, v11, v7, v3
	v_lshl_add_u64 v[14:15], s[22:23], 1, v[8:9]
	global_load_ushort v3, v[8:9], off
	global_load_ushort v5, v[14:15], off
	v_ashrrev_i32_e32 v13, 31, v12
	v_lshl_add_u64 v[10:11], v[10:11], 2, s[4:5]
	v_lshl_add_u64 v[8:9], v[12:13], 2, v[10:11]
	global_load_dwordx2 v[10:11], v[8:9], off
	v_add_u32_e32 v6, s34, v6
	v_cmp_le_i32_e32 vcc, s3, v6
	v_add_u32_e32 v4, s37, v4
	s_or_b64 s[30:31], vcc, s[30:31]
	s_waitcnt vmcnt(2)
	v_cvt_f32_f16_e32 v7, v3
	s_waitcnt vmcnt(1)
	v_cvt_f32_f16_e32 v12, v5
	s_waitcnt vmcnt(0)
	v_mul_f32_e32 v7, v11, v7
	v_mul_f32_e32 v12, v11, v12
	v_fma_mix_f32 v11, v10, v5, v7 op_sel_hi:[0,1,0]
	v_fma_mix_f32 v10, v10, v3, -v12 op_sel_hi:[0,1,0]
	global_store_dwordx2 v[8:9], v[10:11], off
	s_andn2_b64 exec, exec, s[30:31]
	s_cbranch_execnz .LBB57_3
.LBB57_4:
	s_or_b64 exec, exec, s[16:17]
	s_load_dwordx4 s[16:19], s[0:1], 0x68
	s_waitcnt lgkmcnt(0)
	s_ashr_i32 s35, s19, 31
	s_mov_b32 s34, s19
	s_or_b64 s[4:5], s[26:27], s[34:35]
	s_mov_b32 s4, 0
	s_cmp_lg_u64 s[4:5], 0
	s_cbranch_scc0 .LBB57_14
; %bb.5:
	s_add_u32 s4, s34, s35
	s_mov_b32 s6, s35
	s_mov_b32 s7, s35
	s_addc_u32 s5, s35, s35
	s_xor_b64 s[36:37], s[4:5], s[6:7]
	v_cvt_f32_u32_e32 v1, s36
	v_cvt_f32_u32_e32 v3, s37
	s_sub_u32 s3, 0, s36
	s_subb_u32 s4, 0, s37
	v_fmamk_f32 v1, v3, 0x4f800000, v1
	v_rcp_f32_e32 v1, v1
	s_nop 0
	v_mul_f32_e32 v1, 0x5f7ffffc, v1
	v_mul_f32_e32 v3, 0x2f800000, v1
	v_trunc_f32_e32 v3, v3
	v_fmamk_f32 v1, v3, 0xcf800000, v1
	v_cvt_u32_f32_e32 v3, v3
	v_cvt_u32_f32_e32 v1, v1
	v_readfirstlane_b32 s5, v3
	v_readfirstlane_b32 s19, v1
	s_mul_i32 s23, s3, s5
	s_mul_hi_u32 s38, s3, s19
	s_mul_i32 s33, s4, s19
	s_add_i32 s23, s38, s23
	s_add_i32 s23, s23, s33
	s_mul_i32 s39, s3, s19
	s_mul_hi_u32 s33, s19, s23
	s_mul_i32 s38, s19, s23
	s_mul_hi_u32 s19, s19, s39
	s_add_u32 s19, s19, s38
	s_addc_u32 s33, 0, s33
	s_mul_hi_u32 s40, s5, s39
	s_mul_i32 s39, s5, s39
	s_add_u32 s19, s19, s39
	s_mul_hi_u32 s38, s5, s23
	s_addc_u32 s19, s33, s40
	s_addc_u32 s33, s38, 0
	s_mul_i32 s23, s5, s23
	s_add_u32 s19, s19, s23
	s_addc_u32 s23, 0, s33
	v_add_co_u32_e32 v1, vcc, s19, v1
	s_cmp_lg_u64 vcc, 0
	s_addc_u32 s5, s5, s23
	v_readfirstlane_b32 s23, v1
	s_mul_i32 s19, s3, s5
	s_mul_hi_u32 s33, s3, s23
	s_add_i32 s19, s33, s19
	s_mul_i32 s4, s4, s23
	s_add_i32 s19, s19, s4
	s_mul_i32 s3, s3, s23
	s_mul_hi_u32 s33, s5, s3
	s_mul_i32 s38, s5, s3
	s_mul_i32 s40, s23, s19
	s_mul_hi_u32 s3, s23, s3
	s_mul_hi_u32 s39, s23, s19
	s_add_u32 s3, s3, s40
	s_addc_u32 s23, 0, s39
	s_add_u32 s3, s3, s38
	s_mul_hi_u32 s4, s5, s19
	s_addc_u32 s3, s23, s33
	s_addc_u32 s4, s4, 0
	s_mul_i32 s19, s5, s19
	s_add_u32 s3, s3, s19
	s_addc_u32 s4, 0, s4
	v_add_co_u32_e32 v1, vcc, s3, v1
	s_cmp_lg_u64 vcc, 0
	s_addc_u32 s3, s5, s4
	s_ashr_i32 s38, s27, 31
	s_add_u32 s4, s26, s38
	s_mov_b32 s39, s38
	s_addc_u32 s5, s27, s38
	s_xor_b64 s[40:41], s[4:5], s[38:39]
	v_readfirstlane_b32 s19, v1
	s_mul_i32 s5, s40, s3
	s_mul_hi_u32 s23, s40, s19
	s_mul_hi_u32 s4, s40, s3
	s_add_u32 s5, s23, s5
	s_addc_u32 s4, 0, s4
	s_mul_hi_u32 s33, s41, s19
	s_mul_i32 s19, s41, s19
	s_add_u32 s5, s5, s19
	s_mul_hi_u32 s23, s41, s3
	s_addc_u32 s4, s4, s33
	s_addc_u32 s5, s23, 0
	s_mul_i32 s3, s41, s3
	s_add_u32 s3, s4, s3
	s_addc_u32 s19, 0, s5
	s_mul_i32 s4, s36, s19
	s_mul_hi_u32 s5, s36, s3
	s_add_i32 s4, s5, s4
	s_mul_i32 s5, s37, s3
	s_add_i32 s23, s4, s5
	s_mul_i32 s5, s36, s3
	v_mov_b32_e32 v1, s5
	s_sub_i32 s4, s41, s23
	v_sub_co_u32_e32 v1, vcc, s40, v1
	s_cmp_lg_u64 vcc, 0
	s_subb_u32 s33, s4, s37
	v_subrev_co_u32_e64 v3, s[4:5], s36, v1
	s_cmp_lg_u64 s[4:5], 0
	s_subb_u32 s4, s33, 0
	s_cmp_ge_u32 s4, s37
	v_readfirstlane_b32 s33, v3
	s_cselect_b32 s5, -1, 0
	s_cmp_ge_u32 s33, s36
	s_cselect_b32 s33, -1, 0
	s_cmp_eq_u32 s4, s37
	s_cselect_b32 s4, s33, s5
	s_add_u32 s5, s3, 1
	s_addc_u32 s33, s19, 0
	s_add_u32 s40, s3, 2
	s_addc_u32 s42, s19, 0
	s_cmp_lg_u32 s4, 0
	s_cselect_b32 s4, s40, s5
	s_cselect_b32 s5, s42, s33
	s_cmp_lg_u64 vcc, 0
	s_subb_u32 s23, s41, s23
	s_cmp_ge_u32 s23, s37
	v_readfirstlane_b32 s40, v1
	s_cselect_b32 s33, -1, 0
	s_cmp_ge_u32 s40, s36
	s_cselect_b32 s36, -1, 0
	s_cmp_eq_u32 s23, s37
	s_cselect_b32 s23, s36, s33
	s_cmp_lg_u32 s23, 0
	s_cselect_b32 s5, s5, s19
	s_cselect_b32 s4, s4, s3
	s_xor_b64 s[6:7], s[38:39], s[6:7]
	s_xor_b64 s[4:5], s[4:5], s[6:7]
	s_sub_u32 s6, s4, s6
	s_subb_u32 s7, s5, s7
	s_cbranch_execnz .LBB57_7
.LBB57_6:
	v_cvt_f32_u32_e32 v1, s34
	s_sub_i32 s3, 0, s34
	s_mov_b32 s7, 0
	v_rcp_iflag_f32_e32 v1, v1
	s_nop 0
	v_mul_f32_e32 v1, 0x4f7ffffe, v1
	v_cvt_u32_f32_e32 v1, v1
	s_nop 0
	v_readfirstlane_b32 s4, v1
	s_mul_i32 s3, s3, s4
	s_mul_hi_u32 s3, s4, s3
	s_add_i32 s4, s4, s3
	s_mul_hi_u32 s3, s26, s4
	s_mul_i32 s5, s3, s34
	s_sub_i32 s5, s26, s5
	s_add_i32 s4, s3, 1
	s_sub_i32 s6, s5, s34
	s_cmp_ge_u32 s5, s34
	s_cselect_b32 s3, s4, s3
	s_cselect_b32 s5, s6, s5
	s_add_i32 s4, s3, 1
	s_cmp_ge_u32 s5, s34
	s_cselect_b32 s6, s4, s3
.LBB57_7:
	s_mul_i32 s3, s6, s35
	s_mul_hi_u32 s4, s6, s34
	s_load_dwordx2 s[30:31], s[0:1], 0x78
	s_add_i32 s3, s4, s3
	s_mul_i32 s4, s7, s34
	s_add_i32 s3, s3, s4
	s_mul_i32 s4, s6, s34
	s_sub_u32 s33, s26, s4
	s_subb_u32 s3, s27, s3
	v_cmp_gt_i32_e32 vcc, s22, v0
	s_mul_hi_u32 s35, s6, s16
	s_mul_i32 s36, s7, s16
	s_mul_i32 s37, s6, s16
	s_mul_hi_u32 s34, s33, s17
	s_mul_i32 s7, s3, s17
	s_mul_i32 s19, s33, s17
	s_and_saveexec_b64 s[26:27], vcc
	s_cbranch_execz .LBB57_10
; %bb.8:
	s_ashr_i32 s3, s16, 31
	s_mul_i32 s3, s6, s3
	s_load_dword s4, s[0:1], 0x8c
	s_add_i32 s3, s35, s3
	s_add_i32 s39, s3, s36
	s_ashr_i32 s3, s17, 31
	s_mul_i32 s3, s33, s3
	s_add_i32 s3, s34, s3
	s_ashr_i32 s23, s22, 31
	s_add_i32 s40, s3, s7
	s_ashr_i32 s41, s18, 31
	s_waitcnt lgkmcnt(0)
	s_and_b32 s38, s4, 0xffff
	s_lshl_b64 s[4:5], s[28:29], 1
	s_add_u32 s4, s24, s4
	v_mov_b32_e32 v3, 0
	s_addc_u32 s5, s25, s5
	s_lshl_b32 s24, s38, 1
	v_lshl_add_u64 v[4:5], s[4:5], 0, v[2:3]
	s_add_u32 s4, s37, s19
	s_addc_u32 s5, s39, s40
	v_lshl_add_u64 v[6:7], s[22:23], 1, v[4:5]
	s_add_u32 s23, s20, s18
	s_addc_u32 s25, s21, s41
	s_add_u32 s4, s23, s4
	s_addc_u32 s5, s25, s5
	v_lshl_add_u64 v[8:9], s[4:5], 0, v[2:3]
	s_mul_i32 s4, s9, s2
	s_mul_hi_u32 s5, s8, s2
	s_add_i32 s5, s5, s4
	s_mul_i32 s4, s8, s2
	s_load_dword s3, s[30:31], 0x0
	s_lshl_b64 s[4:5], s[4:5], 2
	s_add_u32 s4, s12, s4
	v_lshlrev_b32_e32 v2, 3, v0
	s_addc_u32 s5, s13, s5
	v_lshl_add_u64 v[2:3], s[4:5], 0, v[2:3]
	s_mov_b32 s29, 0
	v_lshl_add_u64 v[8:9], v[8:9], 0, 1
	v_lshl_add_u64 v[2:3], v[2:3], 0, 4
	s_lshl_b32 s28, s38, 3
	s_mov_b64 s[8:9], 0
	s_mov_b32 s23, 0x7f800000
	s_mov_b32 s25, 0x43700000
	v_mov_b32_e32 v1, 0xc3700000
	s_mov_b64 s[12:13], 0
	v_mov_b32_e32 v10, v0
.LBB57_9:                               ; =>This Inner Loop Header: Depth=1
	v_lshl_add_u64 v[14:15], v[6:7], 0, s[12:13]
	v_lshl_add_u64 v[12:13], v[4:5], 0, s[12:13]
	global_load_ushort v11, v[14:15], off
	global_load_ushort v18, v[12:13], off
	global_load_dwordx2 v[16:17], v[2:3], off offset:-4
	v_lshl_add_u64 v[12:13], v[8:9], 0, s[12:13]
	v_add_u32_e32 v10, s38, v10
	s_add_u32 s12, s12, s24
	s_addc_u32 s13, s13, 0
	v_cmp_le_i32_e32 vcc, s22, v10
	s_or_b64 s[8:9], vcc, s[8:9]
	v_mov_b32_e32 v20, 0
	v_mov_b32_e32 v19, 0
	s_waitcnt vmcnt(2)
	v_cvt_f32_f16_e32 v14, v11
	s_waitcnt vmcnt(1)
	v_cvt_f32_f16_e32 v15, v18
	s_waitcnt vmcnt(0)
	v_mul_f32_e32 v14, v17, v14
	v_mul_f32_e32 v15, v17, v15
	v_fma_mix_f32 v14, v16, v18, -v14 op_sel_hi:[0,1,0]
	v_fma_mix_f32 v15, v16, v11, v15 op_sel_hi:[0,1,0]
	s_waitcnt lgkmcnt(0)
	v_div_scale_f32 v11, s[4:5], s3, s3, v14
	v_div_scale_f32 v17, s[4:5], s3, s3, v15
	v_rcp_f32_e32 v21, v11
	v_rcp_f32_e32 v22, v17
	v_div_scale_f32 v16, vcc, v14, s3, v14
	v_fma_f32 v23, -v11, v21, 1.0
	v_fma_f32 v24, -v17, v22, 1.0
	v_fmac_f32_e32 v21, v23, v21
	v_div_scale_f32 v18, s[4:5], v15, s3, v15
	v_fmac_f32_e32 v22, v24, v22
	v_mul_f32_e32 v23, v16, v21
	v_mul_f32_e32 v24, v18, v22
	v_fma_f32 v25, -v11, v23, v16
	v_fma_f32 v26, -v17, v24, v18
	v_fmac_f32_e32 v23, v25, v21
	v_fmac_f32_e32 v24, v26, v22
	v_fma_f32 v11, -v11, v23, v16
	v_fma_f32 v16, -v17, v24, v18
	v_div_fmas_f32 v11, v11, v21, v23
	s_mov_b64 vcc, s[4:5]
	v_div_fixup_f32 v11, v11, s3, v14
	v_div_fmas_f32 v16, v16, v22, v24
	v_med3_f32 v17, v11, s25, v1
	v_div_fixup_f32 v16, v16, s3, v15
	v_cmp_nlg_f32_e64 vcc, |v11|, s23
	global_store_dwordx2 v[2:3], v[14:15], off offset:-4
	v_lshl_add_u64 v[2:3], v[2:3], 0, s[28:29]
	v_cndmask_b32_e32 v11, v17, v11, vcc
	v_med3_f32 v17, v16, s25, v1
	v_cmp_nlg_f32_e64 vcc, |v16|, s23
	v_cvt_pk_fp8_f32 v19, v11, v11
	s_nop 0
	v_cndmask_b32_e32 v16, v17, v16, vcc
	v_cvt_pk_fp8_f32 v20, v16, v16
	v_lshlrev_b16_e32 v11, 8, v20
	v_or_b32_sdwa v11, v19, v11 dst_sel:DWORD dst_unused:UNUSED_PAD src0_sel:BYTE_0 src1_sel:DWORD
	global_store_short v[12:13], v11, off offset:-1
	s_andn2_b64 exec, exec, s[8:9]
	s_cbranch_execnz .LBB57_9
.LBB57_10:
	s_or_b64 exec, exec, s[26:27]
	v_cmp_gt_i32_e32 vcc, s18, v0
	s_and_saveexec_b64 s[4:5], vcc
	s_cbranch_execz .LBB57_13
; %bb.11:
	s_mul_i32 s3, s2, s11
	s_mul_hi_u32 s4, s2, s10
	s_add_i32 s3, s4, s3
	s_mul_i32 s2, s2, s10
	s_lshl_b64 s[2:3], s[2:3], 2
	s_add_u32 s2, s14, s2
	s_addc_u32 s3, s15, s3
	s_ashr_i32 s4, s16, 31
	s_mul_i32 s4, s6, s4
	s_add_i32 s4, s35, s4
	s_add_i32 s4, s4, s36
	s_add_u32 s5, s20, s37
	s_addc_u32 s4, s21, s4
	s_ashr_i32 s6, s17, 31
	s_mul_i32 s33, s33, s6
	s_add_i32 s6, s34, s33
	s_add_i32 s6, s6, s7
	s_load_dword s8, s[0:1], 0x8c
	s_add_u32 s0, s5, s19
	s_addc_u32 s1, s4, s6
	s_waitcnt lgkmcnt(0)
	s_load_dword s6, s[30:31], 0x0
	s_mov_b64 s[4:5], 0
	s_and_b32 s7, s8, 0xffff
	s_mov_b32 s8, 0x7f800000
	s_mov_b32 s9, 0x43700000
	v_mov_b32_e32 v2, 0xc3700000
.LBB57_12:                              ; =>This Inner Loop Header: Depth=1
	v_ashrrev_i32_e32 v1, 31, v0
	v_lshl_add_u64 v[4:5], v[0:1], 2, s[2:3]
	global_load_dword v3, v[4:5], off
	v_mov_b32_e32 v6, 0
	s_waitcnt vmcnt(0) lgkmcnt(0)
	v_div_scale_f32 v4, s[10:11], s6, s6, v3
	v_rcp_f32_e32 v5, v4
	v_div_scale_f32 v7, vcc, v3, s6, v3
	v_fma_f32 v8, -v4, v5, 1.0
	v_fmac_f32_e32 v5, v8, v5
	v_mul_f32_e32 v8, v7, v5
	v_fma_f32 v9, -v4, v8, v7
	v_fmac_f32_e32 v8, v9, v5
	v_fma_f32 v4, -v4, v8, v7
	v_div_fmas_f32 v4, v4, v5, v8
	v_div_fixup_f32 v3, v4, s6, v3
	v_med3_f32 v4, v3, s9, v2
	v_cmp_nlg_f32_e64 vcc, |v3|, s8
	s_nop 1
	v_cndmask_b32_e32 v3, v4, v3, vcc
	v_cvt_pk_fp8_f32 v6, v3, v3
	v_lshl_add_u64 v[4:5], s[0:1], 0, v[0:1]
	v_add_u32_e32 v0, s7, v0
	v_cmp_le_i32_e32 vcc, s18, v0
	s_or_b64 s[4:5], vcc, s[4:5]
	global_store_byte v[4:5], v6, off
	s_andn2_b64 exec, exec, s[4:5]
	s_cbranch_execnz .LBB57_12
.LBB57_13:
	s_endpgm
.LBB57_14:
                                        ; implicit-def: $sgpr6_sgpr7
	s_branch .LBB57_6
	.section	.rodata,"a",@progbits
	.p2align	6, 0x0
	.amdhsa_kernel _ZN4vllm38concat_and_cache_mla_rope_fused_kernelIfN3c104HalfELb0EfhLNS_18Fp8KVCacheDataTypeE1EEEvPKlPT_S7_PKS6_PKT0_illlliPT3_S5_iiiiPKf
		.amdhsa_group_segment_fixed_size 0
		.amdhsa_private_segment_fixed_size 0
		.amdhsa_kernarg_size 384
		.amdhsa_user_sgpr_count 2
		.amdhsa_user_sgpr_dispatch_ptr 0
		.amdhsa_user_sgpr_queue_ptr 0
		.amdhsa_user_sgpr_kernarg_segment_ptr 1
		.amdhsa_user_sgpr_dispatch_id 0
		.amdhsa_user_sgpr_kernarg_preload_length 0
		.amdhsa_user_sgpr_kernarg_preload_offset 0
		.amdhsa_user_sgpr_private_segment_size 0
		.amdhsa_uses_dynamic_stack 0
		.amdhsa_enable_private_segment 0
		.amdhsa_system_sgpr_workgroup_id_x 1
		.amdhsa_system_sgpr_workgroup_id_y 0
		.amdhsa_system_sgpr_workgroup_id_z 0
		.amdhsa_system_sgpr_workgroup_info 0
		.amdhsa_system_vgpr_workitem_id 0
		.amdhsa_next_free_vgpr 27
		.amdhsa_next_free_sgpr 43
		.amdhsa_accum_offset 28
		.amdhsa_reserve_vcc 1
		.amdhsa_float_round_mode_32 0
		.amdhsa_float_round_mode_16_64 0
		.amdhsa_float_denorm_mode_32 3
		.amdhsa_float_denorm_mode_16_64 3
		.amdhsa_dx10_clamp 1
		.amdhsa_ieee_mode 1
		.amdhsa_fp16_overflow 0
		.amdhsa_tg_split 0
		.amdhsa_exception_fp_ieee_invalid_op 0
		.amdhsa_exception_fp_denorm_src 0
		.amdhsa_exception_fp_ieee_div_zero 0
		.amdhsa_exception_fp_ieee_overflow 0
		.amdhsa_exception_fp_ieee_underflow 0
		.amdhsa_exception_fp_ieee_inexact 0
		.amdhsa_exception_int_div_zero 0
	.end_amdhsa_kernel
	.section	.text._ZN4vllm38concat_and_cache_mla_rope_fused_kernelIfN3c104HalfELb0EfhLNS_18Fp8KVCacheDataTypeE1EEEvPKlPT_S7_PKS6_PKT0_illlliPT3_S5_iiiiPKf,"axG",@progbits,_ZN4vllm38concat_and_cache_mla_rope_fused_kernelIfN3c104HalfELb0EfhLNS_18Fp8KVCacheDataTypeE1EEEvPKlPT_S7_PKS6_PKT0_illlliPT3_S5_iiiiPKf,comdat
.Lfunc_end57:
	.size	_ZN4vllm38concat_and_cache_mla_rope_fused_kernelIfN3c104HalfELb0EfhLNS_18Fp8KVCacheDataTypeE1EEEvPKlPT_S7_PKS6_PKT0_illlliPT3_S5_iiiiPKf, .Lfunc_end57-_ZN4vllm38concat_and_cache_mla_rope_fused_kernelIfN3c104HalfELb0EfhLNS_18Fp8KVCacheDataTypeE1EEEvPKlPT_S7_PKS6_PKT0_illlliPT3_S5_iiiiPKf
                                        ; -- End function
	.section	.AMDGPU.csdata,"",@progbits
; Kernel info:
; codeLenInByte = 2312
; NumSgprs: 49
; NumVgprs: 27
; NumAgprs: 0
; TotalNumVgprs: 27
; ScratchSize: 0
; MemoryBound: 0
; FloatMode: 240
; IeeeMode: 1
; LDSByteSize: 0 bytes/workgroup (compile time only)
; SGPRBlocks: 6
; VGPRBlocks: 3
; NumSGPRsForWavesPerEU: 49
; NumVGPRsForWavesPerEU: 27
; AccumOffset: 28
; Occupancy: 8
; WaveLimiterHint : 1
; COMPUTE_PGM_RSRC2:SCRATCH_EN: 0
; COMPUTE_PGM_RSRC2:USER_SGPR: 2
; COMPUTE_PGM_RSRC2:TRAP_HANDLER: 0
; COMPUTE_PGM_RSRC2:TGID_X_EN: 1
; COMPUTE_PGM_RSRC2:TGID_Y_EN: 0
; COMPUTE_PGM_RSRC2:TGID_Z_EN: 0
; COMPUTE_PGM_RSRC2:TIDIG_COMP_CNT: 0
; COMPUTE_PGM_RSRC3_GFX90A:ACCUM_OFFSET: 6
; COMPUTE_PGM_RSRC3_GFX90A:TG_SPLIT: 0
	.section	.text._ZN4vllm38concat_and_cache_mla_rope_fused_kernelIfN3c108BFloat16ELb1EfhLNS_18Fp8KVCacheDataTypeE1EEEvPKlPT_S7_PKS6_PKT0_illlliPT3_S5_iiiiPKf,"axG",@progbits,_ZN4vllm38concat_and_cache_mla_rope_fused_kernelIfN3c108BFloat16ELb1EfhLNS_18Fp8KVCacheDataTypeE1EEEvPKlPT_S7_PKS6_PKT0_illlliPT3_S5_iiiiPKf,comdat
	.protected	_ZN4vllm38concat_and_cache_mla_rope_fused_kernelIfN3c108BFloat16ELb1EfhLNS_18Fp8KVCacheDataTypeE1EEEvPKlPT_S7_PKS6_PKT0_illlliPT3_S5_iiiiPKf ; -- Begin function _ZN4vllm38concat_and_cache_mla_rope_fused_kernelIfN3c108BFloat16ELb1EfhLNS_18Fp8KVCacheDataTypeE1EEEvPKlPT_S7_PKS6_PKT0_illlliPT3_S5_iiiiPKf
	.globl	_ZN4vllm38concat_and_cache_mla_rope_fused_kernelIfN3c108BFloat16ELb1EfhLNS_18Fp8KVCacheDataTypeE1EEEvPKlPT_S7_PKS6_PKT0_illlliPT3_S5_iiiiPKf
	.p2align	8
	.type	_ZN4vllm38concat_and_cache_mla_rope_fused_kernelIfN3c108BFloat16ELb1EfhLNS_18Fp8KVCacheDataTypeE1EEEvPKlPT_S7_PKS6_PKT0_illlliPT3_S5_iiiiPKf,@function
_ZN4vllm38concat_and_cache_mla_rope_fused_kernelIfN3c108BFloat16ELb1EfhLNS_18Fp8KVCacheDataTypeE1EEEvPKlPT_S7_PKS6_PKT0_illlliPT3_S5_iiiiPKf: ; @_ZN4vllm38concat_and_cache_mla_rope_fused_kernelIfN3c108BFloat16ELb1EfhLNS_18Fp8KVCacheDataTypeE1EEEvPKlPT_S7_PKS6_PKT0_illlliPT3_S5_iiiiPKf
; %bb.0:
	s_load_dwordx2 s[6:7], s[0:1], 0x60
	s_mov_b32 s3, 0
	s_lshl_b64 s[4:5], s[2:3], 3
	s_waitcnt lgkmcnt(0)
	s_add_u32 s6, s6, s4
	s_addc_u32 s7, s7, s5
	s_load_dwordx2 s[28:29], s[6:7], 0x0
	s_waitcnt lgkmcnt(0)
	v_cmp_lt_i64_e64 s[6:7], s[28:29], 0
	s_and_b64 vcc, exec, s[6:7]
	s_cbranch_vccnz .LBB58_13
; %bb.1:
	s_load_dword s3, s[0:1], 0x28
	s_load_dwordx2 s[6:7], s[0:1], 0x0
	s_load_dwordx4 s[12:15], s[0:1], 0x10
	s_waitcnt lgkmcnt(0)
	s_ashr_i32 s22, s3, 31
	s_add_u32 s16, s6, s4
	s_addc_u32 s17, s7, s5
	s_load_dwordx2 s[18:19], s[16:17], 0x0
	s_load_dwordx2 s[24:25], s[0:1], 0x20
	s_load_dwordx8 s[4:11], s[0:1], 0x30
	s_load_dwordx2 s[20:21], s[0:1], 0x58
	s_load_dword s23, s[0:1], 0x50
	s_waitcnt lgkmcnt(0)
	s_mul_i32 s16, s18, s22
	s_mul_hi_u32 s17, s18, s3
	s_mul_i32 s19, s19, s3
	s_add_i32 s16, s17, s16
	s_add_i32 s27, s16, s19
	s_lshr_b32 s16, s3, 31
	s_mul_i32 s26, s18, s3
	s_add_i32 s3, s3, s16
	s_ashr_i32 s22, s3, 1
	s_mul_i32 s3, s22, s23
	v_cmp_gt_i32_e32 vcc, s3, v0
	s_and_saveexec_b64 s[16:17], vcc
	s_cbranch_execz .LBB58_4
; %bb.2:
	s_load_dwordx2 s[30:31], s[0:1], 0x8
	s_load_dword s34, s[0:1], 0x8c
	s_lshl_b64 s[18:19], s[26:27], 1
	s_add_u32 s18, s24, s18
	s_mul_i32 s5, s2, s5
	s_mul_hi_u32 s33, s2, s4
	s_addc_u32 s19, s25, s19
	s_add_i32 s5, s33, s5
	s_mul_i32 s4, s2, s4
	s_ashr_i32 s23, s22, 31
	s_lshl_b64 s[4:5], s[4:5], 2
	s_waitcnt lgkmcnt(0)
	s_add_u32 s4, s30, s4
	s_addc_u32 s5, s31, s5
	s_abs_i32 s33, s22
	v_cvt_f32_u32_e32 v1, s33
	s_sub_i32 s30, 0, s33
	s_and_b32 s34, s34, 0xffff
	s_sub_i32 s35, 0, s22
	v_rcp_iflag_f32_e32 v1, v1
	s_nop 0
	v_mul_f32_e32 v1, 0x4f7ffffe, v1
	v_cvt_u32_f32_e32 v1, v1
	v_mul_lo_u32 v2, s30, v1
	v_mul_hi_u32 v2, v1, v2
	v_add_u32_e32 v1, v1, v2
	s_mov_b64 s[30:31], 0
	v_mov_b32_e32 v2, v0
.LBB58_3:                               ; =>This Inner Loop Header: Depth=1
	v_sub_u32_e32 v4, 0, v2
	v_max_i32_e32 v4, v2, v4
	v_mul_hi_u32 v5, v4, v1
	v_mul_lo_u32 v6, v5, s33
	v_sub_u32_e32 v4, v4, v6
	v_add_u32_e32 v7, 1, v5
	v_cmp_le_u32_e32 vcc, s33, v4
	v_subrev_u32_e32 v6, s33, v4
	v_ashrrev_i32_e32 v3, 31, v2
	v_cndmask_b32_e32 v5, v5, v7, vcc
	v_cndmask_b32_e32 v4, v4, v6, vcc
	v_add_u32_e32 v6, 1, v5
	v_cmp_le_u32_e32 vcc, s33, v4
	v_xor_b32_e32 v3, s23, v3
	s_nop 0
	v_cndmask_b32_e32 v4, v5, v6, vcc
	v_xor_b32_e32 v4, v4, v3
	v_sub_u32_e32 v3, v4, v3
	v_ashrrev_i32_e32 v8, 31, v3
	v_mad_u64_u32 v[4:5], s[36:37], s35, v3, v[2:3]
	v_mul_lo_u32 v10, v3, s7
	v_mad_u64_u32 v[6:7], s[36:37], v3, s6, 0
	v_mul_lo_u32 v3, v8, s6
	v_ashrrev_i32_e32 v5, 31, v4
	v_add3_u32 v7, v7, v10, v3
	v_lshl_add_u64 v[8:9], v[4:5], 1, s[18:19]
	v_lshl_add_u64 v[6:7], v[6:7], 2, s[4:5]
	;; [unrolled: 1-line block ×3, first 2 shown]
	global_load_ushort v3, v[8:9], off
	global_load_ushort v12, v[10:11], off
	v_lshl_add_u64 v[4:5], v[4:5], 2, v[6:7]
	v_lshl_add_u64 v[6:7], s[22:23], 2, v[4:5]
	global_load_dword v8, v[4:5], off
	global_load_dword v9, v[6:7], off
	v_add_u32_e32 v2, s34, v2
	v_cmp_le_i32_e32 vcc, s3, v2
	s_or_b64 s[30:31], vcc, s[30:31]
	s_waitcnt vmcnt(3)
	v_lshlrev_b32_e32 v3, 16, v3
	s_waitcnt vmcnt(2)
	v_lshlrev_b32_e32 v10, 16, v12
	s_waitcnt vmcnt(1)
	v_mul_f32_e32 v11, v8, v10
	s_waitcnt vmcnt(0)
	v_mul_f32_e32 v10, v9, v10
	v_fmac_f32_e32 v11, v9, v3
	v_fma_f32 v3, v8, v3, -v10
	global_store_dword v[4:5], v3, off
	global_store_dword v[6:7], v11, off
	s_andn2_b64 exec, exec, s[30:31]
	s_cbranch_execnz .LBB58_3
.LBB58_4:
	s_or_b64 exec, exec, s[16:17]
	s_load_dwordx4 s[16:19], s[0:1], 0x68
	s_waitcnt lgkmcnt(0)
	s_ashr_i32 s35, s19, 31
	s_mov_b32 s34, s19
	s_or_b64 s[4:5], s[28:29], s[34:35]
	s_mov_b32 s4, 0
	s_cmp_lg_u64 s[4:5], 0
	s_cbranch_scc0 .LBB58_14
; %bb.5:
	s_add_u32 s4, s34, s35
	s_mov_b32 s6, s35
	s_mov_b32 s7, s35
	s_addc_u32 s5, s35, s35
	s_xor_b64 s[36:37], s[4:5], s[6:7]
	v_cvt_f32_u32_e32 v1, s36
	v_cvt_f32_u32_e32 v2, s37
	s_sub_u32 s3, 0, s36
	s_subb_u32 s4, 0, s37
	v_fmamk_f32 v1, v2, 0x4f800000, v1
	v_rcp_f32_e32 v1, v1
	s_nop 0
	v_mul_f32_e32 v1, 0x5f7ffffc, v1
	v_mul_f32_e32 v2, 0x2f800000, v1
	v_trunc_f32_e32 v2, v2
	v_fmamk_f32 v1, v2, 0xcf800000, v1
	v_cvt_u32_f32_e32 v2, v2
	v_cvt_u32_f32_e32 v1, v1
	v_readfirstlane_b32 s5, v2
	v_readfirstlane_b32 s19, v1
	s_mul_i32 s23, s3, s5
	s_mul_hi_u32 s38, s3, s19
	s_mul_i32 s33, s4, s19
	s_add_i32 s23, s38, s23
	s_add_i32 s23, s23, s33
	s_mul_i32 s39, s3, s19
	s_mul_hi_u32 s33, s19, s23
	s_mul_i32 s38, s19, s23
	s_mul_hi_u32 s19, s19, s39
	s_add_u32 s19, s19, s38
	s_addc_u32 s33, 0, s33
	s_mul_hi_u32 s40, s5, s39
	s_mul_i32 s39, s5, s39
	s_add_u32 s19, s19, s39
	s_mul_hi_u32 s38, s5, s23
	s_addc_u32 s19, s33, s40
	s_addc_u32 s33, s38, 0
	s_mul_i32 s23, s5, s23
	s_add_u32 s19, s19, s23
	s_addc_u32 s23, 0, s33
	v_add_co_u32_e32 v1, vcc, s19, v1
	s_cmp_lg_u64 vcc, 0
	s_addc_u32 s5, s5, s23
	v_readfirstlane_b32 s23, v1
	s_mul_i32 s19, s3, s5
	s_mul_hi_u32 s33, s3, s23
	s_add_i32 s19, s33, s19
	s_mul_i32 s4, s4, s23
	s_add_i32 s19, s19, s4
	s_mul_i32 s3, s3, s23
	s_mul_hi_u32 s33, s5, s3
	s_mul_i32 s38, s5, s3
	s_mul_i32 s40, s23, s19
	s_mul_hi_u32 s3, s23, s3
	s_mul_hi_u32 s39, s23, s19
	s_add_u32 s3, s3, s40
	s_addc_u32 s23, 0, s39
	s_add_u32 s3, s3, s38
	s_mul_hi_u32 s4, s5, s19
	s_addc_u32 s3, s23, s33
	s_addc_u32 s4, s4, 0
	s_mul_i32 s19, s5, s19
	s_add_u32 s3, s3, s19
	s_addc_u32 s4, 0, s4
	v_add_co_u32_e32 v1, vcc, s3, v1
	s_cmp_lg_u64 vcc, 0
	s_addc_u32 s3, s5, s4
	s_ashr_i32 s38, s29, 31
	s_add_u32 s4, s28, s38
	s_mov_b32 s39, s38
	s_addc_u32 s5, s29, s38
	s_xor_b64 s[40:41], s[4:5], s[38:39]
	v_readfirstlane_b32 s19, v1
	s_mul_i32 s5, s40, s3
	s_mul_hi_u32 s23, s40, s19
	s_mul_hi_u32 s4, s40, s3
	s_add_u32 s5, s23, s5
	s_addc_u32 s4, 0, s4
	s_mul_hi_u32 s33, s41, s19
	s_mul_i32 s19, s41, s19
	s_add_u32 s5, s5, s19
	s_mul_hi_u32 s23, s41, s3
	s_addc_u32 s4, s4, s33
	s_addc_u32 s5, s23, 0
	s_mul_i32 s3, s41, s3
	s_add_u32 s3, s4, s3
	s_addc_u32 s19, 0, s5
	s_mul_i32 s4, s36, s19
	s_mul_hi_u32 s5, s36, s3
	s_add_i32 s4, s5, s4
	s_mul_i32 s5, s37, s3
	s_add_i32 s23, s4, s5
	s_mul_i32 s5, s36, s3
	v_mov_b32_e32 v1, s5
	s_sub_i32 s4, s41, s23
	v_sub_co_u32_e32 v1, vcc, s40, v1
	s_cmp_lg_u64 vcc, 0
	s_subb_u32 s33, s4, s37
	v_subrev_co_u32_e64 v2, s[4:5], s36, v1
	s_cmp_lg_u64 s[4:5], 0
	s_subb_u32 s4, s33, 0
	s_cmp_ge_u32 s4, s37
	v_readfirstlane_b32 s33, v2
	s_cselect_b32 s5, -1, 0
	s_cmp_ge_u32 s33, s36
	s_cselect_b32 s33, -1, 0
	s_cmp_eq_u32 s4, s37
	s_cselect_b32 s4, s33, s5
	s_add_u32 s5, s3, 1
	s_addc_u32 s33, s19, 0
	s_add_u32 s40, s3, 2
	s_addc_u32 s42, s19, 0
	s_cmp_lg_u32 s4, 0
	s_cselect_b32 s4, s40, s5
	s_cselect_b32 s5, s42, s33
	s_cmp_lg_u64 vcc, 0
	s_subb_u32 s23, s41, s23
	s_cmp_ge_u32 s23, s37
	v_readfirstlane_b32 s40, v1
	s_cselect_b32 s33, -1, 0
	s_cmp_ge_u32 s40, s36
	s_cselect_b32 s36, -1, 0
	s_cmp_eq_u32 s23, s37
	s_cselect_b32 s23, s36, s33
	s_cmp_lg_u32 s23, 0
	s_cselect_b32 s5, s5, s19
	s_cselect_b32 s4, s4, s3
	s_xor_b64 s[6:7], s[38:39], s[6:7]
	s_xor_b64 s[4:5], s[4:5], s[6:7]
	s_sub_u32 s6, s4, s6
	s_subb_u32 s7, s5, s7
	s_cbranch_execnz .LBB58_7
.LBB58_6:
	v_cvt_f32_u32_e32 v1, s34
	s_sub_i32 s3, 0, s34
	s_mov_b32 s7, 0
	v_rcp_iflag_f32_e32 v1, v1
	s_nop 0
	v_mul_f32_e32 v1, 0x4f7ffffe, v1
	v_cvt_u32_f32_e32 v1, v1
	s_nop 0
	v_readfirstlane_b32 s4, v1
	s_mul_i32 s3, s3, s4
	s_mul_hi_u32 s3, s4, s3
	s_add_i32 s4, s4, s3
	s_mul_hi_u32 s3, s28, s4
	s_mul_i32 s5, s3, s34
	s_sub_i32 s5, s28, s5
	s_add_i32 s4, s3, 1
	s_sub_i32 s6, s5, s34
	s_cmp_ge_u32 s5, s34
	s_cselect_b32 s3, s4, s3
	s_cselect_b32 s5, s6, s5
	s_add_i32 s4, s3, 1
	s_cmp_ge_u32 s5, s34
	s_cselect_b32 s6, s4, s3
.LBB58_7:
	s_mul_i32 s3, s6, s35
	s_mul_hi_u32 s4, s6, s34
	s_load_dwordx2 s[30:31], s[0:1], 0x78
	s_add_i32 s3, s4, s3
	s_mul_i32 s4, s7, s34
	s_add_i32 s3, s3, s4
	s_mul_i32 s4, s6, s34
	s_sub_u32 s33, s28, s4
	s_subb_u32 s3, s29, s3
	v_cmp_gt_i32_e32 vcc, s22, v0
	s_mul_hi_u32 s43, s6, s16
	s_mul_i32 s44, s7, s16
	s_mul_i32 s45, s6, s16
	s_mul_hi_u32 s42, s33, s17
	s_mul_i32 s7, s3, s17
	s_mul_i32 s19, s33, s17
	s_and_saveexec_b64 s[28:29], vcc
	s_cbranch_execz .LBB58_10
; %bb.8:
	s_ashr_i32 s3, s16, 31
	s_ashr_i32 s4, s17, 31
	s_mul_i32 s3, s6, s3
	s_mul_i32 s4, s33, s4
	s_add_i32 s3, s43, s3
	s_add_i32 s4, s42, s4
	s_ashr_i32 s23, s22, 31
	s_add_i32 s3, s3, s44
	s_add_i32 s4, s4, s7
	s_add_u32 s38, s45, s19
	s_load_dword s5, s[0:1], 0x8c
	s_addc_u32 s39, s3, s4
	s_add_u32 s3, s38, s20
	s_addc_u32 s4, s39, s21
	s_ashr_i32 s40, s18, 31
	s_add_u32 s34, s3, s18
	s_addc_u32 s35, s4, s40
	s_waitcnt lgkmcnt(0)
	s_and_b32 s46, s5, 0xffff
	s_lshl_b64 s[4:5], s[26:27], 1
	v_mov_b32_e32 v1, 0
	s_add_u32 s4, s24, s4
	v_lshlrev_b32_e32 v2, 1, v0
	v_mov_b32_e32 v3, v1
	s_addc_u32 s5, s25, s5
	v_lshl_add_u64 v[2:3], s[4:5], 0, v[2:3]
	s_mul_i32 s4, s9, s2
	s_mul_hi_u32 s5, s8, s2
	s_add_i32 s5, s5, s4
	s_mul_i32 s4, s8, s2
	s_lshl_b32 s36, s46, 1
	s_lshl_b64 s[24:25], s[22:23], 1
	s_lshl_b64 s[26:27], s[22:23], 2
	;; [unrolled: 1-line block ×3, first 2 shown]
	s_add_u32 s4, s12, s4
	v_lshlrev_b32_e32 v4, 2, v0
	v_mov_b32_e32 v5, v1
	s_addc_u32 s5, s13, s5
	s_lshl_b32 s8, s46, 2
	v_lshl_add_u64 v[4:5], s[4:5], 0, v[4:5]
	s_add_u32 s4, s38, s22
	s_load_dword s3, s[30:31], 0x0
	s_addc_u32 s5, s39, s23
	s_add_u32 s4, s4, s18
	s_addc_u32 s5, s5, s40
	s_mov_b32 s37, 0
	s_add_u32 s12, s20, s4
	s_mov_b32 s9, s37
	s_addc_u32 s13, s21, s5
	s_mov_b64 s[38:39], 0
	s_mov_b32 s23, 0x7f800000
	s_mov_b32 s47, 0x43700000
	v_mov_b32_e32 v6, 0xc3700000
	s_mov_b64 s[40:41], 0
.LBB58_9:                               ; =>This Inner Loop Header: Depth=1
	global_load_ushort v7, v[2:3], off
	v_lshl_add_u64 v[8:9], v[2:3], 0, s[24:25]
	v_lshl_add_u64 v[10:11], v[4:5], 0, s[26:27]
	global_load_dword v14, v[4:5], off
	global_load_ushort v15, v[8:9], off
	global_load_dword v16, v[10:11], off
	s_add_u32 s40, s40, s46
	v_add_u32_e32 v19, s40, v0
	v_cmp_le_i32_e32 vcc, s22, v19
	s_addc_u32 s41, s41, 0
	v_lshl_add_u64 v[12:13], s[12:13], 0, v[0:1]
	s_add_u32 s12, s12, s46
	s_addc_u32 s13, s13, 0
	v_lshl_add_u64 v[8:9], s[34:35], 0, v[0:1]
	s_add_u32 s34, s34, s46
	s_addc_u32 s35, s35, 0
	s_or_b64 s[38:39], vcc, s[38:39]
	v_mov_b32_e32 v17, 0
	v_mov_b32_e32 v18, 0
	v_lshl_add_u64 v[2:3], v[2:3], 0, s[36:37]
	s_waitcnt vmcnt(3)
	v_lshlrev_b32_e32 v7, 16, v7
	s_waitcnt vmcnt(1)
	v_lshlrev_b32_e32 v15, 16, v15
	s_waitcnt vmcnt(0)
	v_mul_f32_e32 v19, v16, v15
	v_mul_f32_e32 v15, v14, v15
	v_fma_f32 v14, v14, v7, -v19
	v_fmac_f32_e32 v15, v16, v7
	s_waitcnt lgkmcnt(0)
	v_div_scale_f32 v7, s[4:5], s3, s3, v14
	v_div_scale_f32 v19, s[4:5], s3, s3, v15
	v_rcp_f32_e32 v21, v7
	v_rcp_f32_e32 v22, v19
	v_div_scale_f32 v16, vcc, v14, s3, v14
	v_fma_f32 v23, -v7, v21, 1.0
	v_fma_f32 v24, -v19, v22, 1.0
	v_fmac_f32_e32 v21, v23, v21
	v_div_scale_f32 v20, s[4:5], v15, s3, v15
	v_fmac_f32_e32 v22, v24, v22
	v_mul_f32_e32 v23, v16, v21
	v_mul_f32_e32 v24, v20, v22
	v_fma_f32 v25, -v7, v23, v16
	v_fma_f32 v26, -v19, v24, v20
	v_fmac_f32_e32 v23, v25, v21
	v_fmac_f32_e32 v24, v26, v22
	v_fma_f32 v7, -v7, v23, v16
	v_fma_f32 v16, -v19, v24, v20
	v_div_fmas_f32 v7, v7, v21, v23
	s_mov_b64 vcc, s[4:5]
	global_store_dword v[4:5], v14, off
	v_div_fixup_f32 v7, v7, s3, v14
	v_div_fmas_f32 v14, v16, v22, v24
	v_med3_f32 v16, v7, s47, v6
	v_div_fixup_f32 v14, v14, s3, v15
	v_cmp_nlg_f32_e64 vcc, |v7|, s23
	v_lshl_add_u64 v[4:5], v[4:5], 0, s[8:9]
	global_store_dword v[10:11], v15, off
	v_cndmask_b32_e32 v7, v16, v7, vcc
	v_med3_f32 v16, v14, s47, v6
	v_cmp_nlg_f32_e64 vcc, |v14|, s23
	v_cvt_pk_fp8_f32 v17, v7, v7
	s_nop 0
	v_cndmask_b32_e32 v7, v16, v14, vcc
	v_cvt_pk_fp8_f32 v18, v7, v7
	global_store_byte v[8:9], v17, off
	global_store_byte v[12:13], v18, off
	s_andn2_b64 exec, exec, s[38:39]
	s_cbranch_execnz .LBB58_9
.LBB58_10:
	s_or_b64 exec, exec, s[28:29]
	v_cmp_gt_i32_e32 vcc, s18, v0
	s_and_saveexec_b64 s[4:5], vcc
	s_cbranch_execz .LBB58_13
; %bb.11:
	s_mul_i32 s3, s2, s11
	s_mul_hi_u32 s4, s2, s10
	s_add_i32 s3, s4, s3
	s_mul_i32 s2, s2, s10
	s_lshl_b64 s[2:3], s[2:3], 2
	s_add_u32 s2, s14, s2
	s_addc_u32 s3, s15, s3
	s_ashr_i32 s4, s16, 31
	s_mul_i32 s4, s6, s4
	s_add_i32 s4, s43, s4
	s_add_i32 s4, s4, s44
	s_add_u32 s5, s20, s45
	s_addc_u32 s4, s21, s4
	s_ashr_i32 s6, s17, 31
	s_mul_i32 s33, s33, s6
	s_add_i32 s6, s42, s33
	s_add_i32 s6, s6, s7
	s_load_dword s8, s[0:1], 0x8c
	s_add_u32 s0, s5, s19
	s_addc_u32 s1, s4, s6
	s_waitcnt lgkmcnt(0)
	s_load_dword s6, s[30:31], 0x0
	s_mov_b64 s[4:5], 0
	s_and_b32 s7, s8, 0xffff
	s_mov_b32 s8, 0x7f800000
	s_mov_b32 s9, 0x43700000
	v_mov_b32_e32 v2, 0xc3700000
.LBB58_12:                              ; =>This Inner Loop Header: Depth=1
	v_ashrrev_i32_e32 v1, 31, v0
	v_lshl_add_u64 v[4:5], v[0:1], 2, s[2:3]
	global_load_dword v3, v[4:5], off
	v_mov_b32_e32 v6, 0
	s_waitcnt vmcnt(0) lgkmcnt(0)
	v_div_scale_f32 v4, s[10:11], s6, s6, v3
	v_rcp_f32_e32 v5, v4
	v_div_scale_f32 v7, vcc, v3, s6, v3
	v_fma_f32 v8, -v4, v5, 1.0
	v_fmac_f32_e32 v5, v8, v5
	v_mul_f32_e32 v8, v7, v5
	v_fma_f32 v9, -v4, v8, v7
	v_fmac_f32_e32 v8, v9, v5
	v_fma_f32 v4, -v4, v8, v7
	v_div_fmas_f32 v4, v4, v5, v8
	v_div_fixup_f32 v3, v4, s6, v3
	v_med3_f32 v4, v3, s9, v2
	v_cmp_nlg_f32_e64 vcc, |v3|, s8
	s_nop 1
	v_cndmask_b32_e32 v3, v4, v3, vcc
	v_cvt_pk_fp8_f32 v6, v3, v3
	v_lshl_add_u64 v[4:5], s[0:1], 0, v[0:1]
	v_add_u32_e32 v0, s7, v0
	v_cmp_le_i32_e32 vcc, s18, v0
	s_or_b64 s[4:5], vcc, s[4:5]
	global_store_byte v[4:5], v6, off
	s_andn2_b64 exec, exec, s[4:5]
	s_cbranch_execnz .LBB58_12
.LBB58_13:
	s_endpgm
.LBB58_14:
                                        ; implicit-def: $sgpr6_sgpr7
	s_branch .LBB58_6
	.section	.rodata,"a",@progbits
	.p2align	6, 0x0
	.amdhsa_kernel _ZN4vllm38concat_and_cache_mla_rope_fused_kernelIfN3c108BFloat16ELb1EfhLNS_18Fp8KVCacheDataTypeE1EEEvPKlPT_S7_PKS6_PKT0_illlliPT3_S5_iiiiPKf
		.amdhsa_group_segment_fixed_size 0
		.amdhsa_private_segment_fixed_size 0
		.amdhsa_kernarg_size 384
		.amdhsa_user_sgpr_count 2
		.amdhsa_user_sgpr_dispatch_ptr 0
		.amdhsa_user_sgpr_queue_ptr 0
		.amdhsa_user_sgpr_kernarg_segment_ptr 1
		.amdhsa_user_sgpr_dispatch_id 0
		.amdhsa_user_sgpr_kernarg_preload_length 0
		.amdhsa_user_sgpr_kernarg_preload_offset 0
		.amdhsa_user_sgpr_private_segment_size 0
		.amdhsa_uses_dynamic_stack 0
		.amdhsa_enable_private_segment 0
		.amdhsa_system_sgpr_workgroup_id_x 1
		.amdhsa_system_sgpr_workgroup_id_y 0
		.amdhsa_system_sgpr_workgroup_id_z 0
		.amdhsa_system_sgpr_workgroup_info 0
		.amdhsa_system_vgpr_workitem_id 0
		.amdhsa_next_free_vgpr 27
		.amdhsa_next_free_sgpr 48
		.amdhsa_accum_offset 28
		.amdhsa_reserve_vcc 1
		.amdhsa_float_round_mode_32 0
		.amdhsa_float_round_mode_16_64 0
		.amdhsa_float_denorm_mode_32 3
		.amdhsa_float_denorm_mode_16_64 3
		.amdhsa_dx10_clamp 1
		.amdhsa_ieee_mode 1
		.amdhsa_fp16_overflow 0
		.amdhsa_tg_split 0
		.amdhsa_exception_fp_ieee_invalid_op 0
		.amdhsa_exception_fp_denorm_src 0
		.amdhsa_exception_fp_ieee_div_zero 0
		.amdhsa_exception_fp_ieee_overflow 0
		.amdhsa_exception_fp_ieee_underflow 0
		.amdhsa_exception_fp_ieee_inexact 0
		.amdhsa_exception_int_div_zero 0
	.end_amdhsa_kernel
	.section	.text._ZN4vllm38concat_and_cache_mla_rope_fused_kernelIfN3c108BFloat16ELb1EfhLNS_18Fp8KVCacheDataTypeE1EEEvPKlPT_S7_PKS6_PKT0_illlliPT3_S5_iiiiPKf,"axG",@progbits,_ZN4vllm38concat_and_cache_mla_rope_fused_kernelIfN3c108BFloat16ELb1EfhLNS_18Fp8KVCacheDataTypeE1EEEvPKlPT_S7_PKS6_PKT0_illlliPT3_S5_iiiiPKf,comdat
.Lfunc_end58:
	.size	_ZN4vllm38concat_and_cache_mla_rope_fused_kernelIfN3c108BFloat16ELb1EfhLNS_18Fp8KVCacheDataTypeE1EEEvPKlPT_S7_PKS6_PKT0_illlliPT3_S5_iiiiPKf, .Lfunc_end58-_ZN4vllm38concat_and_cache_mla_rope_fused_kernelIfN3c108BFloat16ELb1EfhLNS_18Fp8KVCacheDataTypeE1EEEvPKlPT_S7_PKS6_PKT0_illlliPT3_S5_iiiiPKf
                                        ; -- End function
	.section	.AMDGPU.csdata,"",@progbits
; Kernel info:
; codeLenInByte = 2356
; NumSgprs: 54
; NumVgprs: 27
; NumAgprs: 0
; TotalNumVgprs: 27
; ScratchSize: 0
; MemoryBound: 0
; FloatMode: 240
; IeeeMode: 1
; LDSByteSize: 0 bytes/workgroup (compile time only)
; SGPRBlocks: 6
; VGPRBlocks: 3
; NumSGPRsForWavesPerEU: 54
; NumVGPRsForWavesPerEU: 27
; AccumOffset: 28
; Occupancy: 8
; WaveLimiterHint : 1
; COMPUTE_PGM_RSRC2:SCRATCH_EN: 0
; COMPUTE_PGM_RSRC2:USER_SGPR: 2
; COMPUTE_PGM_RSRC2:TRAP_HANDLER: 0
; COMPUTE_PGM_RSRC2:TGID_X_EN: 1
; COMPUTE_PGM_RSRC2:TGID_Y_EN: 0
; COMPUTE_PGM_RSRC2:TGID_Z_EN: 0
; COMPUTE_PGM_RSRC2:TIDIG_COMP_CNT: 0
; COMPUTE_PGM_RSRC3_GFX90A:ACCUM_OFFSET: 6
; COMPUTE_PGM_RSRC3_GFX90A:TG_SPLIT: 0
	.section	.text._ZN4vllm38concat_and_cache_mla_rope_fused_kernelIfN3c108BFloat16ELb0EfhLNS_18Fp8KVCacheDataTypeE1EEEvPKlPT_S7_PKS6_PKT0_illlliPT3_S5_iiiiPKf,"axG",@progbits,_ZN4vllm38concat_and_cache_mla_rope_fused_kernelIfN3c108BFloat16ELb0EfhLNS_18Fp8KVCacheDataTypeE1EEEvPKlPT_S7_PKS6_PKT0_illlliPT3_S5_iiiiPKf,comdat
	.protected	_ZN4vllm38concat_and_cache_mla_rope_fused_kernelIfN3c108BFloat16ELb0EfhLNS_18Fp8KVCacheDataTypeE1EEEvPKlPT_S7_PKS6_PKT0_illlliPT3_S5_iiiiPKf ; -- Begin function _ZN4vllm38concat_and_cache_mla_rope_fused_kernelIfN3c108BFloat16ELb0EfhLNS_18Fp8KVCacheDataTypeE1EEEvPKlPT_S7_PKS6_PKT0_illlliPT3_S5_iiiiPKf
	.globl	_ZN4vllm38concat_and_cache_mla_rope_fused_kernelIfN3c108BFloat16ELb0EfhLNS_18Fp8KVCacheDataTypeE1EEEvPKlPT_S7_PKS6_PKT0_illlliPT3_S5_iiiiPKf
	.p2align	8
	.type	_ZN4vllm38concat_and_cache_mla_rope_fused_kernelIfN3c108BFloat16ELb0EfhLNS_18Fp8KVCacheDataTypeE1EEEvPKlPT_S7_PKS6_PKT0_illlliPT3_S5_iiiiPKf,@function
_ZN4vllm38concat_and_cache_mla_rope_fused_kernelIfN3c108BFloat16ELb0EfhLNS_18Fp8KVCacheDataTypeE1EEEvPKlPT_S7_PKS6_PKT0_illlliPT3_S5_iiiiPKf: ; @_ZN4vllm38concat_and_cache_mla_rope_fused_kernelIfN3c108BFloat16ELb0EfhLNS_18Fp8KVCacheDataTypeE1EEEvPKlPT_S7_PKS6_PKT0_illlliPT3_S5_iiiiPKf
; %bb.0:
	s_load_dwordx2 s[6:7], s[0:1], 0x60
	s_mov_b32 s3, 0
	s_lshl_b64 s[4:5], s[2:3], 3
	s_waitcnt lgkmcnt(0)
	s_add_u32 s6, s6, s4
	s_addc_u32 s7, s7, s5
	s_load_dwordx2 s[26:27], s[6:7], 0x0
	s_waitcnt lgkmcnt(0)
	v_cmp_lt_i64_e64 s[6:7], s[26:27], 0
	s_and_b64 vcc, exec, s[6:7]
	s_cbranch_vccnz .LBB59_13
; %bb.1:
	s_load_dword s3, s[0:1], 0x28
	s_load_dwordx2 s[6:7], s[0:1], 0x0
	s_load_dwordx4 s[12:15], s[0:1], 0x10
	v_lshlrev_b32_e32 v2, 1, v0
	s_waitcnt lgkmcnt(0)
	s_ashr_i32 s22, s3, 31
	s_add_u32 s16, s6, s4
	s_addc_u32 s17, s7, s5
	s_load_dwordx2 s[18:19], s[16:17], 0x0
	s_load_dwordx2 s[24:25], s[0:1], 0x20
	s_load_dwordx8 s[4:11], s[0:1], 0x30
	s_load_dwordx2 s[20:21], s[0:1], 0x58
	s_load_dword s23, s[0:1], 0x50
	s_waitcnt lgkmcnt(0)
	s_mul_i32 s16, s18, s22
	s_mul_hi_u32 s17, s18, s3
	s_mul_i32 s19, s19, s3
	s_add_i32 s16, s17, s16
	s_add_i32 s29, s16, s19
	s_lshr_b32 s16, s3, 31
	s_mul_i32 s28, s18, s3
	s_add_i32 s3, s3, s16
	s_ashr_i32 s22, s3, 1
	s_mul_i32 s3, s22, s23
	v_cmp_gt_i32_e32 vcc, s3, v0
	s_and_saveexec_b64 s[16:17], vcc
	s_cbranch_execz .LBB59_4
; %bb.2:
	s_load_dwordx2 s[30:31], s[0:1], 0x8
	s_load_dword s34, s[0:1], 0x8c
	s_lshl_b64 s[18:19], s[28:29], 1
	s_add_u32 s18, s24, s18
	s_mul_i32 s5, s2, s5
	s_mul_hi_u32 s33, s2, s4
	s_addc_u32 s19, s25, s19
	s_add_i32 s5, s33, s5
	s_mul_i32 s4, s2, s4
	s_ashr_i32 s23, s22, 31
	s_lshl_b64 s[4:5], s[4:5], 2
	s_waitcnt lgkmcnt(0)
	s_add_u32 s4, s30, s4
	s_addc_u32 s5, s31, s5
	s_abs_i32 s33, s22
	v_cvt_f32_u32_e32 v1, s33
	s_sub_i32 s30, 0, s33
	s_and_b32 s34, s34, 0xffff
	s_sub_i32 s35, 0, s22
	v_rcp_iflag_f32_e32 v1, v1
	s_lshl_b32 s37, s34, 1
	v_mov_b32_e32 v4, v2
	v_mov_b32_e32 v6, v0
	v_mul_f32_e32 v1, 0x4f7ffffe, v1
	v_cvt_u32_f32_e32 v1, v1
	v_mul_lo_u32 v3, s30, v1
	v_mul_hi_u32 v3, v1, v3
	s_lshl_b32 s30, s22, 1
	v_add_u32_e32 v1, v1, v3
	s_sub_i32 s36, 0, s30
	s_mov_b64 s[30:31], 0
.LBB59_3:                               ; =>This Inner Loop Header: Depth=1
	v_sub_u32_e32 v5, 0, v6
	v_max_i32_e32 v5, v6, v5
	v_mul_hi_u32 v7, v5, v1
	v_mul_lo_u32 v8, v7, s33
	v_sub_u32_e32 v5, v5, v8
	v_add_u32_e32 v9, 1, v7
	v_cmp_le_u32_e32 vcc, s33, v5
	v_subrev_u32_e32 v8, s33, v5
	v_ashrrev_i32_e32 v3, 31, v6
	v_cndmask_b32_e32 v7, v7, v9, vcc
	v_cndmask_b32_e32 v5, v5, v8, vcc
	v_add_u32_e32 v8, 1, v7
	v_cmp_le_u32_e32 vcc, s33, v5
	v_xor_b32_e32 v3, s23, v3
	s_nop 0
	v_cndmask_b32_e32 v5, v7, v8, vcc
	v_xor_b32_e32 v5, v5, v3
	v_sub_u32_e32 v3, v5, v3
	v_ashrrev_i32_e32 v5, 31, v3
	v_mad_u64_u32 v[8:9], s[38:39], s35, v3, v[6:7]
	v_mul_lo_u32 v7, v3, s7
	v_mad_u64_u32 v[10:11], s[38:39], v3, s6, 0
	v_mad_u64_u32 v[12:13], s[38:39], s36, v3, v[4:5]
	v_mul_lo_u32 v3, v5, s6
	v_ashrrev_i32_e32 v9, 31, v8
	v_add3_u32 v11, v11, v7, v3
	v_ashrrev_i32_e32 v13, 31, v12
	v_lshl_add_u64 v[8:9], v[8:9], 1, s[18:19]
	v_lshl_add_u64 v[10:11], v[10:11], 2, s[4:5]
	;; [unrolled: 1-line block ×3, first 2 shown]
	global_load_ushort v3, v[8:9], off
	global_load_ushort v5, v[14:15], off
	v_lshl_add_u64 v[8:9], v[12:13], 2, v[10:11]
	global_load_dwordx2 v[10:11], v[8:9], off
	v_add_u32_e32 v6, s34, v6
	v_cmp_le_i32_e32 vcc, s3, v6
	v_add_u32_e32 v4, s37, v4
	s_or_b64 s[30:31], vcc, s[30:31]
	s_waitcnt vmcnt(2)
	v_lshlrev_b32_e32 v3, 16, v3
	s_waitcnt vmcnt(1)
	v_lshlrev_b32_e32 v5, 16, v5
	s_waitcnt vmcnt(0)
	v_mul_f32_e32 v7, v11, v5
	v_mul_f32_e32 v13, v10, v5
	v_fma_f32 v12, v10, v3, -v7
	v_fmac_f32_e32 v13, v11, v3
	global_store_dwordx2 v[8:9], v[12:13], off
	s_andn2_b64 exec, exec, s[30:31]
	s_cbranch_execnz .LBB59_3
.LBB59_4:
	s_or_b64 exec, exec, s[16:17]
	s_load_dwordx4 s[16:19], s[0:1], 0x68
	s_waitcnt lgkmcnt(0)
	s_ashr_i32 s35, s19, 31
	s_mov_b32 s34, s19
	s_or_b64 s[4:5], s[26:27], s[34:35]
	s_mov_b32 s4, 0
	s_cmp_lg_u64 s[4:5], 0
	s_cbranch_scc0 .LBB59_14
; %bb.5:
	s_add_u32 s4, s34, s35
	s_mov_b32 s6, s35
	s_mov_b32 s7, s35
	s_addc_u32 s5, s35, s35
	s_xor_b64 s[36:37], s[4:5], s[6:7]
	v_cvt_f32_u32_e32 v1, s36
	v_cvt_f32_u32_e32 v3, s37
	s_sub_u32 s3, 0, s36
	s_subb_u32 s4, 0, s37
	v_fmamk_f32 v1, v3, 0x4f800000, v1
	v_rcp_f32_e32 v1, v1
	s_nop 0
	v_mul_f32_e32 v1, 0x5f7ffffc, v1
	v_mul_f32_e32 v3, 0x2f800000, v1
	v_trunc_f32_e32 v3, v3
	v_fmamk_f32 v1, v3, 0xcf800000, v1
	v_cvt_u32_f32_e32 v3, v3
	v_cvt_u32_f32_e32 v1, v1
	v_readfirstlane_b32 s5, v3
	v_readfirstlane_b32 s19, v1
	s_mul_i32 s23, s3, s5
	s_mul_hi_u32 s38, s3, s19
	s_mul_i32 s33, s4, s19
	s_add_i32 s23, s38, s23
	s_add_i32 s23, s23, s33
	s_mul_i32 s39, s3, s19
	s_mul_hi_u32 s33, s19, s23
	s_mul_i32 s38, s19, s23
	s_mul_hi_u32 s19, s19, s39
	s_add_u32 s19, s19, s38
	s_addc_u32 s33, 0, s33
	s_mul_hi_u32 s40, s5, s39
	s_mul_i32 s39, s5, s39
	s_add_u32 s19, s19, s39
	s_mul_hi_u32 s38, s5, s23
	s_addc_u32 s19, s33, s40
	s_addc_u32 s33, s38, 0
	s_mul_i32 s23, s5, s23
	s_add_u32 s19, s19, s23
	s_addc_u32 s23, 0, s33
	v_add_co_u32_e32 v1, vcc, s19, v1
	s_cmp_lg_u64 vcc, 0
	s_addc_u32 s5, s5, s23
	v_readfirstlane_b32 s23, v1
	s_mul_i32 s19, s3, s5
	s_mul_hi_u32 s33, s3, s23
	s_add_i32 s19, s33, s19
	s_mul_i32 s4, s4, s23
	s_add_i32 s19, s19, s4
	s_mul_i32 s3, s3, s23
	s_mul_hi_u32 s33, s5, s3
	s_mul_i32 s38, s5, s3
	s_mul_i32 s40, s23, s19
	s_mul_hi_u32 s3, s23, s3
	s_mul_hi_u32 s39, s23, s19
	s_add_u32 s3, s3, s40
	s_addc_u32 s23, 0, s39
	s_add_u32 s3, s3, s38
	s_mul_hi_u32 s4, s5, s19
	s_addc_u32 s3, s23, s33
	s_addc_u32 s4, s4, 0
	s_mul_i32 s19, s5, s19
	s_add_u32 s3, s3, s19
	s_addc_u32 s4, 0, s4
	v_add_co_u32_e32 v1, vcc, s3, v1
	s_cmp_lg_u64 vcc, 0
	s_addc_u32 s3, s5, s4
	s_ashr_i32 s38, s27, 31
	s_add_u32 s4, s26, s38
	s_mov_b32 s39, s38
	s_addc_u32 s5, s27, s38
	s_xor_b64 s[40:41], s[4:5], s[38:39]
	v_readfirstlane_b32 s19, v1
	s_mul_i32 s5, s40, s3
	s_mul_hi_u32 s23, s40, s19
	s_mul_hi_u32 s4, s40, s3
	s_add_u32 s5, s23, s5
	s_addc_u32 s4, 0, s4
	s_mul_hi_u32 s33, s41, s19
	s_mul_i32 s19, s41, s19
	s_add_u32 s5, s5, s19
	s_mul_hi_u32 s23, s41, s3
	s_addc_u32 s4, s4, s33
	s_addc_u32 s5, s23, 0
	s_mul_i32 s3, s41, s3
	s_add_u32 s3, s4, s3
	s_addc_u32 s19, 0, s5
	s_mul_i32 s4, s36, s19
	s_mul_hi_u32 s5, s36, s3
	s_add_i32 s4, s5, s4
	s_mul_i32 s5, s37, s3
	s_add_i32 s23, s4, s5
	s_mul_i32 s5, s36, s3
	v_mov_b32_e32 v1, s5
	s_sub_i32 s4, s41, s23
	v_sub_co_u32_e32 v1, vcc, s40, v1
	s_cmp_lg_u64 vcc, 0
	s_subb_u32 s33, s4, s37
	v_subrev_co_u32_e64 v3, s[4:5], s36, v1
	s_cmp_lg_u64 s[4:5], 0
	s_subb_u32 s4, s33, 0
	s_cmp_ge_u32 s4, s37
	v_readfirstlane_b32 s33, v3
	s_cselect_b32 s5, -1, 0
	s_cmp_ge_u32 s33, s36
	s_cselect_b32 s33, -1, 0
	s_cmp_eq_u32 s4, s37
	s_cselect_b32 s4, s33, s5
	s_add_u32 s5, s3, 1
	s_addc_u32 s33, s19, 0
	s_add_u32 s40, s3, 2
	s_addc_u32 s42, s19, 0
	s_cmp_lg_u32 s4, 0
	s_cselect_b32 s4, s40, s5
	s_cselect_b32 s5, s42, s33
	s_cmp_lg_u64 vcc, 0
	s_subb_u32 s23, s41, s23
	s_cmp_ge_u32 s23, s37
	v_readfirstlane_b32 s40, v1
	s_cselect_b32 s33, -1, 0
	s_cmp_ge_u32 s40, s36
	s_cselect_b32 s36, -1, 0
	s_cmp_eq_u32 s23, s37
	s_cselect_b32 s23, s36, s33
	s_cmp_lg_u32 s23, 0
	s_cselect_b32 s5, s5, s19
	s_cselect_b32 s4, s4, s3
	s_xor_b64 s[6:7], s[38:39], s[6:7]
	s_xor_b64 s[4:5], s[4:5], s[6:7]
	s_sub_u32 s6, s4, s6
	s_subb_u32 s7, s5, s7
	s_cbranch_execnz .LBB59_7
.LBB59_6:
	v_cvt_f32_u32_e32 v1, s34
	s_sub_i32 s3, 0, s34
	s_mov_b32 s7, 0
	v_rcp_iflag_f32_e32 v1, v1
	s_nop 0
	v_mul_f32_e32 v1, 0x4f7ffffe, v1
	v_cvt_u32_f32_e32 v1, v1
	s_nop 0
	v_readfirstlane_b32 s4, v1
	s_mul_i32 s3, s3, s4
	s_mul_hi_u32 s3, s4, s3
	s_add_i32 s4, s4, s3
	s_mul_hi_u32 s3, s26, s4
	s_mul_i32 s5, s3, s34
	s_sub_i32 s5, s26, s5
	s_add_i32 s4, s3, 1
	s_sub_i32 s6, s5, s34
	s_cmp_ge_u32 s5, s34
	s_cselect_b32 s3, s4, s3
	s_cselect_b32 s5, s6, s5
	s_add_i32 s4, s3, 1
	s_cmp_ge_u32 s5, s34
	s_cselect_b32 s6, s4, s3
.LBB59_7:
	s_mul_i32 s3, s6, s35
	s_mul_hi_u32 s4, s6, s34
	s_load_dwordx2 s[30:31], s[0:1], 0x78
	s_add_i32 s3, s4, s3
	s_mul_i32 s4, s7, s34
	s_add_i32 s3, s3, s4
	s_mul_i32 s4, s6, s34
	s_sub_u32 s33, s26, s4
	s_subb_u32 s3, s27, s3
	v_cmp_gt_i32_e32 vcc, s22, v0
	s_mul_hi_u32 s35, s6, s16
	s_mul_i32 s36, s7, s16
	s_mul_i32 s37, s6, s16
	s_mul_hi_u32 s34, s33, s17
	s_mul_i32 s7, s3, s17
	s_mul_i32 s19, s33, s17
	s_and_saveexec_b64 s[26:27], vcc
	s_cbranch_execz .LBB59_10
; %bb.8:
	s_ashr_i32 s3, s16, 31
	s_mul_i32 s3, s6, s3
	s_load_dword s4, s[0:1], 0x8c
	s_add_i32 s3, s35, s3
	s_add_i32 s39, s3, s36
	s_ashr_i32 s3, s17, 31
	s_mul_i32 s3, s33, s3
	s_add_i32 s3, s34, s3
	s_ashr_i32 s23, s22, 31
	s_add_i32 s40, s3, s7
	s_ashr_i32 s41, s18, 31
	s_waitcnt lgkmcnt(0)
	s_and_b32 s38, s4, 0xffff
	s_lshl_b64 s[4:5], s[28:29], 1
	s_add_u32 s4, s24, s4
	v_mov_b32_e32 v3, 0
	s_addc_u32 s5, s25, s5
	v_lshl_add_u64 v[4:5], s[4:5], 0, v[2:3]
	s_mul_i32 s4, s9, s2
	s_mul_hi_u32 s5, s8, s2
	s_add_i32 s5, s5, s4
	s_mul_i32 s4, s8, s2
	s_lshl_b32 s28, s38, 1
	s_lshl_b64 s[24:25], s[22:23], 1
	s_lshl_b64 s[4:5], s[4:5], 2
	s_add_u32 s4, s12, s4
	v_lshlrev_b32_e32 v6, 3, v0
	v_mov_b32_e32 v7, v3
	s_addc_u32 s5, s13, s5
	s_lshl_b32 s8, s38, 3
	v_lshl_add_u64 v[6:7], s[4:5], 0, v[6:7]
	s_add_u32 s4, s37, s19
	s_addc_u32 s5, s39, s40
	s_add_u32 s12, s20, s18
	s_load_dword s3, s[30:31], 0x0
	s_addc_u32 s13, s21, s41
	s_add_u32 s4, s12, s4
	s_addc_u32 s5, s13, s5
	s_mov_b32 s29, 0
	v_lshl_add_u64 v[2:3], s[4:5], 0, v[2:3]
	v_lshl_add_u64 v[6:7], v[6:7], 0, 4
	s_mov_b32 s9, s29
	v_lshl_add_u64 v[2:3], v[2:3], 0, 1
	s_mov_b64 s[12:13], 0
	s_mov_b32 s23, 0x7f800000
	s_mov_b32 s39, 0x43700000
	v_mov_b32_e32 v1, 0xc3700000
	v_mov_b32_e32 v8, v0
.LBB59_9:                               ; =>This Inner Loop Header: Depth=1
	v_lshl_add_u64 v[10:11], v[4:5], 0, s[24:25]
	global_load_ushort v9, v[4:5], off
	global_load_dwordx2 v[12:13], v[6:7], off offset:-4
	global_load_ushort v15, v[10:11], off
	v_mov_b32_e32 v17, 0
	v_add_u32_e32 v8, s38, v8
	v_cmp_le_i32_e32 vcc, s22, v8
	s_or_b64 s[12:13], vcc, s[12:13]
	v_mov_b32_e32 v20, 0
	v_lshl_add_u64 v[4:5], v[4:5], 0, s[28:29]
	s_waitcnt vmcnt(2)
	v_lshlrev_b32_e32 v11, 16, v9
	s_waitcnt vmcnt(1)
	v_mov_b32_e32 v14, v13
	s_waitcnt vmcnt(0)
	v_lshlrev_b32_e32 v10, 16, v15
	v_mov_b32_e32 v16, v11
	v_pk_mul_f32 v[14:15], v[14:15], v[10:11]
	v_pk_mul_f32 v[18:19], v[12:13], v[10:11]
	v_pk_fma_f32 v[14:15], v[12:13], v[16:17], v[14:15] op_sel_hi:[1,0,1] neg_lo:[0,0,1] neg_hi:[0,0,1]
	v_mov_b32_e32 v16, v19
	v_pk_fma_f32 v[10:11], v[12:13], v[10:11], v[16:17]
	s_waitcnt lgkmcnt(0)
	v_div_scale_f32 v9, s[4:5], s3, s3, v14
	v_rcp_f32_e32 v12, v9
	v_div_scale_f32 v13, s[4:5], s3, s3, v10
	v_rcp_f32_e32 v18, v13
	v_mov_b32_e32 v15, v10
	global_store_dwordx2 v[6:7], v[14:15], off offset:-4
	v_fma_f32 v15, -v9, v12, 1.0
	v_div_scale_f32 v11, vcc, v14, s3, v14
	v_fmac_f32_e32 v12, v15, v12
	v_fma_f32 v15, -v13, v18, 1.0
	v_div_scale_f32 v16, s[4:5], v10, s3, v10
	v_mul_f32_e32 v19, v11, v12
	v_fmac_f32_e32 v18, v15, v18
	v_fma_f32 v15, -v9, v19, v11
	v_mul_f32_e32 v21, v16, v18
	v_fmac_f32_e32 v19, v15, v12
	v_fma_f32 v15, -v13, v21, v16
	v_fma_f32 v9, -v9, v19, v11
	v_fmac_f32_e32 v21, v15, v18
	v_div_fmas_f32 v9, v9, v12, v19
	v_fma_f32 v11, -v13, v21, v16
	s_mov_b64 vcc, s[4:5]
	v_div_fixup_f32 v9, v9, s3, v14
	v_div_fmas_f32 v11, v11, v18, v21
	v_med3_f32 v12, v9, s39, v1
	v_div_fixup_f32 v10, v11, s3, v10
	v_cmp_nlg_f32_e64 vcc, |v9|, s23
	v_med3_f32 v11, v10, s39, v1
	v_lshl_add_u64 v[6:7], v[6:7], 0, s[8:9]
	v_cndmask_b32_e32 v9, v12, v9, vcc
	v_cmp_nlg_f32_e64 vcc, |v10|, s23
	v_cvt_pk_fp8_f32 v17, v9, v9
	s_nop 0
	v_cndmask_b32_e32 v10, v11, v10, vcc
	v_cvt_pk_fp8_f32 v20, v10, v10
	v_lshlrev_b16_e32 v9, 8, v20
	v_or_b32_sdwa v9, v17, v9 dst_sel:DWORD dst_unused:UNUSED_PAD src0_sel:BYTE_0 src1_sel:DWORD
	global_store_short v[2:3], v9, off offset:-1
	v_lshl_add_u64 v[2:3], v[2:3], 0, s[28:29]
	s_andn2_b64 exec, exec, s[12:13]
	s_cbranch_execnz .LBB59_9
.LBB59_10:
	s_or_b64 exec, exec, s[26:27]
	v_cmp_gt_i32_e32 vcc, s18, v0
	s_and_saveexec_b64 s[4:5], vcc
	s_cbranch_execz .LBB59_13
; %bb.11:
	s_mul_i32 s3, s2, s11
	s_mul_hi_u32 s4, s2, s10
	s_add_i32 s3, s4, s3
	s_mul_i32 s2, s2, s10
	s_lshl_b64 s[2:3], s[2:3], 2
	s_add_u32 s2, s14, s2
	s_addc_u32 s3, s15, s3
	s_ashr_i32 s4, s16, 31
	s_mul_i32 s4, s6, s4
	s_add_i32 s4, s35, s4
	s_add_i32 s4, s4, s36
	s_add_u32 s5, s20, s37
	s_addc_u32 s4, s21, s4
	s_ashr_i32 s6, s17, 31
	s_mul_i32 s33, s33, s6
	s_add_i32 s6, s34, s33
	s_add_i32 s6, s6, s7
	s_load_dword s8, s[0:1], 0x8c
	s_add_u32 s0, s5, s19
	s_addc_u32 s1, s4, s6
	s_waitcnt lgkmcnt(0)
	s_load_dword s6, s[30:31], 0x0
	s_mov_b64 s[4:5], 0
	s_and_b32 s7, s8, 0xffff
	s_mov_b32 s8, 0x7f800000
	s_mov_b32 s9, 0x43700000
	v_mov_b32_e32 v2, 0xc3700000
.LBB59_12:                              ; =>This Inner Loop Header: Depth=1
	v_ashrrev_i32_e32 v1, 31, v0
	v_lshl_add_u64 v[4:5], v[0:1], 2, s[2:3]
	global_load_dword v3, v[4:5], off
	v_mov_b32_e32 v6, 0
	s_waitcnt vmcnt(0) lgkmcnt(0)
	v_div_scale_f32 v4, s[10:11], s6, s6, v3
	v_rcp_f32_e32 v5, v4
	v_div_scale_f32 v7, vcc, v3, s6, v3
	v_fma_f32 v8, -v4, v5, 1.0
	v_fmac_f32_e32 v5, v8, v5
	v_mul_f32_e32 v8, v7, v5
	v_fma_f32 v9, -v4, v8, v7
	v_fmac_f32_e32 v8, v9, v5
	v_fma_f32 v4, -v4, v8, v7
	v_div_fmas_f32 v4, v4, v5, v8
	v_div_fixup_f32 v3, v4, s6, v3
	v_med3_f32 v4, v3, s9, v2
	v_cmp_nlg_f32_e64 vcc, |v3|, s8
	s_nop 1
	v_cndmask_b32_e32 v3, v4, v3, vcc
	v_cvt_pk_fp8_f32 v6, v3, v3
	v_lshl_add_u64 v[4:5], s[0:1], 0, v[0:1]
	v_add_u32_e32 v0, s7, v0
	v_cmp_le_i32_e32 vcc, s18, v0
	s_or_b64 s[4:5], vcc, s[4:5]
	global_store_byte v[4:5], v6, off
	s_andn2_b64 exec, exec, s[4:5]
	s_cbranch_execnz .LBB59_12
.LBB59_13:
	s_endpgm
.LBB59_14:
                                        ; implicit-def: $sgpr6_sgpr7
	s_branch .LBB59_6
	.section	.rodata,"a",@progbits
	.p2align	6, 0x0
	.amdhsa_kernel _ZN4vllm38concat_and_cache_mla_rope_fused_kernelIfN3c108BFloat16ELb0EfhLNS_18Fp8KVCacheDataTypeE1EEEvPKlPT_S7_PKS6_PKT0_illlliPT3_S5_iiiiPKf
		.amdhsa_group_segment_fixed_size 0
		.amdhsa_private_segment_fixed_size 0
		.amdhsa_kernarg_size 384
		.amdhsa_user_sgpr_count 2
		.amdhsa_user_sgpr_dispatch_ptr 0
		.amdhsa_user_sgpr_queue_ptr 0
		.amdhsa_user_sgpr_kernarg_segment_ptr 1
		.amdhsa_user_sgpr_dispatch_id 0
		.amdhsa_user_sgpr_kernarg_preload_length 0
		.amdhsa_user_sgpr_kernarg_preload_offset 0
		.amdhsa_user_sgpr_private_segment_size 0
		.amdhsa_uses_dynamic_stack 0
		.amdhsa_enable_private_segment 0
		.amdhsa_system_sgpr_workgroup_id_x 1
		.amdhsa_system_sgpr_workgroup_id_y 0
		.amdhsa_system_sgpr_workgroup_id_z 0
		.amdhsa_system_sgpr_workgroup_info 0
		.amdhsa_system_vgpr_workitem_id 0
		.amdhsa_next_free_vgpr 22
		.amdhsa_next_free_sgpr 43
		.amdhsa_accum_offset 24
		.amdhsa_reserve_vcc 1
		.amdhsa_float_round_mode_32 0
		.amdhsa_float_round_mode_16_64 0
		.amdhsa_float_denorm_mode_32 3
		.amdhsa_float_denorm_mode_16_64 3
		.amdhsa_dx10_clamp 1
		.amdhsa_ieee_mode 1
		.amdhsa_fp16_overflow 0
		.amdhsa_tg_split 0
		.amdhsa_exception_fp_ieee_invalid_op 0
		.amdhsa_exception_fp_denorm_src 0
		.amdhsa_exception_fp_ieee_div_zero 0
		.amdhsa_exception_fp_ieee_overflow 0
		.amdhsa_exception_fp_ieee_underflow 0
		.amdhsa_exception_fp_ieee_inexact 0
		.amdhsa_exception_int_div_zero 0
	.end_amdhsa_kernel
	.section	.text._ZN4vllm38concat_and_cache_mla_rope_fused_kernelIfN3c108BFloat16ELb0EfhLNS_18Fp8KVCacheDataTypeE1EEEvPKlPT_S7_PKS6_PKT0_illlliPT3_S5_iiiiPKf,"axG",@progbits,_ZN4vllm38concat_and_cache_mla_rope_fused_kernelIfN3c108BFloat16ELb0EfhLNS_18Fp8KVCacheDataTypeE1EEEvPKlPT_S7_PKS6_PKT0_illlliPT3_S5_iiiiPKf,comdat
.Lfunc_end59:
	.size	_ZN4vllm38concat_and_cache_mla_rope_fused_kernelIfN3c108BFloat16ELb0EfhLNS_18Fp8KVCacheDataTypeE1EEEvPKlPT_S7_PKS6_PKT0_illlliPT3_S5_iiiiPKf, .Lfunc_end59-_ZN4vllm38concat_and_cache_mla_rope_fused_kernelIfN3c108BFloat16ELb0EfhLNS_18Fp8KVCacheDataTypeE1EEEvPKlPT_S7_PKS6_PKT0_illlliPT3_S5_iiiiPKf
                                        ; -- End function
	.section	.AMDGPU.csdata,"",@progbits
; Kernel info:
; codeLenInByte = 2324
; NumSgprs: 49
; NumVgprs: 22
; NumAgprs: 0
; TotalNumVgprs: 22
; ScratchSize: 0
; MemoryBound: 0
; FloatMode: 240
; IeeeMode: 1
; LDSByteSize: 0 bytes/workgroup (compile time only)
; SGPRBlocks: 6
; VGPRBlocks: 2
; NumSGPRsForWavesPerEU: 49
; NumVGPRsForWavesPerEU: 22
; AccumOffset: 24
; Occupancy: 8
; WaveLimiterHint : 1
; COMPUTE_PGM_RSRC2:SCRATCH_EN: 0
; COMPUTE_PGM_RSRC2:USER_SGPR: 2
; COMPUTE_PGM_RSRC2:TRAP_HANDLER: 0
; COMPUTE_PGM_RSRC2:TGID_X_EN: 1
; COMPUTE_PGM_RSRC2:TGID_Y_EN: 0
; COMPUTE_PGM_RSRC2:TGID_Z_EN: 0
; COMPUTE_PGM_RSRC2:TIDIG_COMP_CNT: 0
; COMPUTE_PGM_RSRC3_GFX90A:ACCUM_OFFSET: 5
; COMPUTE_PGM_RSRC3_GFX90A:TG_SPLIT: 0
	.section	.text._ZN4vllm38concat_and_cache_mla_rope_fused_kernelIN3c104HalfEfLb1EfhLNS_18Fp8KVCacheDataTypeE1EEEvPKlPT_S7_PKS6_PKT0_illlliPT3_S5_iiiiPKf,"axG",@progbits,_ZN4vllm38concat_and_cache_mla_rope_fused_kernelIN3c104HalfEfLb1EfhLNS_18Fp8KVCacheDataTypeE1EEEvPKlPT_S7_PKS6_PKT0_illlliPT3_S5_iiiiPKf,comdat
	.protected	_ZN4vllm38concat_and_cache_mla_rope_fused_kernelIN3c104HalfEfLb1EfhLNS_18Fp8KVCacheDataTypeE1EEEvPKlPT_S7_PKS6_PKT0_illlliPT3_S5_iiiiPKf ; -- Begin function _ZN4vllm38concat_and_cache_mla_rope_fused_kernelIN3c104HalfEfLb1EfhLNS_18Fp8KVCacheDataTypeE1EEEvPKlPT_S7_PKS6_PKT0_illlliPT3_S5_iiiiPKf
	.globl	_ZN4vllm38concat_and_cache_mla_rope_fused_kernelIN3c104HalfEfLb1EfhLNS_18Fp8KVCacheDataTypeE1EEEvPKlPT_S7_PKS6_PKT0_illlliPT3_S5_iiiiPKf
	.p2align	8
	.type	_ZN4vllm38concat_and_cache_mla_rope_fused_kernelIN3c104HalfEfLb1EfhLNS_18Fp8KVCacheDataTypeE1EEEvPKlPT_S7_PKS6_PKT0_illlliPT3_S5_iiiiPKf,@function
_ZN4vllm38concat_and_cache_mla_rope_fused_kernelIN3c104HalfEfLb1EfhLNS_18Fp8KVCacheDataTypeE1EEEvPKlPT_S7_PKS6_PKT0_illlliPT3_S5_iiiiPKf: ; @_ZN4vllm38concat_and_cache_mla_rope_fused_kernelIN3c104HalfEfLb1EfhLNS_18Fp8KVCacheDataTypeE1EEEvPKlPT_S7_PKS6_PKT0_illlliPT3_S5_iiiiPKf
; %bb.0:
	s_load_dwordx2 s[8:9], s[2:3], 0x60
	s_mov_b32 s5, 0
	s_lshl_b64 s[6:7], s[4:5], 3
	s_waitcnt lgkmcnt(0)
	s_add_u32 s8, s8, s6
	s_addc_u32 s9, s9, s7
	s_load_dwordx2 s[28:29], s[8:9], 0x0
	s_waitcnt lgkmcnt(0)
	v_cmp_lt_i64_e64 s[8:9], s[28:29], 0
	s_and_b64 vcc, exec, s[8:9]
	s_cbranch_vccnz .LBB60_13
; %bb.1:
	s_load_dword s5, s[2:3], 0x28
	s_load_dwordx2 s[8:9], s[2:3], 0x0
	s_load_dwordx2 s[24:25], s[2:3], 0x20
	s_load_dwordx4 s[16:19], s[2:3], 0x10
	v_and_b32_e32 v2, 0x3ff, v0
	s_waitcnt lgkmcnt(0)
	s_ashr_i32 s26, s5, 31
	s_add_u32 s6, s8, s6
	s_addc_u32 s7, s9, s7
	s_load_dwordx2 s[22:23], s[6:7], 0x0
	s_load_dwordx8 s[8:15], s[2:3], 0x30
	s_load_dwordx2 s[20:21], s[2:3], 0x58
	s_load_dword s30, s[2:3], 0x50
	s_waitcnt lgkmcnt(0)
	s_mul_i32 s6, s22, s26
	s_mul_hi_u32 s7, s22, s5
	s_add_i32 s6, s7, s6
	s_mul_i32 s7, s23, s5
	s_add_i32 s27, s6, s7
	s_lshr_b32 s6, s5, 31
	s_mul_i32 s26, s22, s5
	s_add_i32 s5, s5, s6
	s_ashr_i32 s22, s5, 1
	s_mul_i32 s5, s22, s30
	v_cmp_gt_i32_e32 vcc, s5, v2
	s_and_saveexec_b64 s[6:7], vcc
	s_cbranch_execz .LBB60_4
; %bb.2:
	s_load_dwordx2 s[34:35], s[2:3], 0x8
	s_load_dword s36, s[2:3], 0x8c
	s_lshl_b64 s[30:31], s[26:27], 2
	s_add_u32 s30, s24, s30
	s_mul_i32 s9, s4, s9
	s_mul_hi_u32 s33, s4, s8
	s_addc_u32 s31, s25, s31
	s_add_i32 s9, s33, s9
	s_mul_i32 s8, s4, s8
	s_ashr_i32 s23, s22, 31
	s_lshl_b64 s[8:9], s[8:9], 1
	s_waitcnt lgkmcnt(0)
	s_add_u32 s8, s34, s8
	s_addc_u32 s9, s35, s9
	s_abs_i32 s33, s22
	v_cvt_f32_u32_e32 v1, s33
	s_sub_i32 s34, 0, s33
	s_and_b32 s36, s36, 0xffff
	s_sub_i32 s37, 0, s22
	v_rcp_iflag_f32_e32 v1, v1
	v_mov_b32_e32 v4, v2
	v_mul_f32_e32 v1, 0x4f7ffffe, v1
	v_cvt_u32_f32_e32 v1, v1
	v_mul_lo_u32 v3, s34, v1
	v_mul_hi_u32 v3, v1, v3
	v_add_u32_e32 v1, v1, v3
	s_mov_b64 s[34:35], 0
.LBB60_3:                               ; =>This Inner Loop Header: Depth=1
	v_sub_u32_e32 v5, 0, v4
	v_max_i32_e32 v5, v4, v5
	v_mul_hi_u32 v6, v5, v1
	v_mul_lo_u32 v7, v6, s33
	v_sub_u32_e32 v5, v5, v7
	v_add_u32_e32 v8, 1, v6
	v_cmp_le_u32_e32 vcc, s33, v5
	v_subrev_u32_e32 v7, s33, v5
	v_ashrrev_i32_e32 v3, 31, v4
	v_cndmask_b32_e32 v6, v6, v8, vcc
	v_cndmask_b32_e32 v5, v5, v7, vcc
	v_add_u32_e32 v7, 1, v6
	v_cmp_le_u32_e32 vcc, s33, v5
	v_xor_b32_e32 v3, s23, v3
	s_nop 0
	v_cndmask_b32_e32 v5, v6, v7, vcc
	v_xor_b32_e32 v5, v5, v3
	v_sub_u32_e32 v3, v5, v3
	v_mad_u64_u32 v[6:7], s[38:39], s37, v3, v[4:5]
	v_ashrrev_i32_e32 v5, 31, v3
	v_ashrrev_i32_e32 v7, 31, v6
	v_mul_lo_u32 v12, v3, s11
	v_mad_u64_u32 v[8:9], s[38:39], v3, s10, 0
	v_mul_lo_u32 v3, v5, s10
	v_lshl_add_u64 v[10:11], v[6:7], 2, s[30:31]
	v_add3_u32 v9, v9, v12, v3
	v_lshl_add_u64 v[12:13], s[22:23], 2, v[10:11]
	global_load_dword v3, v[10:11], off
	global_load_dword v5, v[12:13], off
	v_lshl_add_u64 v[8:9], v[8:9], 1, s[8:9]
	v_lshl_add_u64 v[6:7], v[6:7], 1, v[8:9]
	;; [unrolled: 1-line block ×3, first 2 shown]
	global_load_ushort v10, v[6:7], off
	global_load_ushort v11, v[8:9], off
	v_add_u32_e32 v4, s36, v4
	v_cmp_le_i32_e32 vcc, s5, v4
	s_or_b64 s[34:35], vcc, s[34:35]
	s_waitcnt vmcnt(3)
	v_cvt_f16_f32_e32 v3, v3
	s_waitcnt vmcnt(2)
	v_cvt_f16_f32_e32 v5, v5
	s_waitcnt vmcnt(0)
	v_mul_f16_e32 v12, v11, v3
	v_mul_f16_e32 v11, v11, v5
	v_fma_f16 v3, v10, v3, -v11
	v_fma_f16 v5, v10, v5, v12
	global_store_short v[6:7], v3, off
	global_store_short v[8:9], v5, off
	s_andn2_b64 exec, exec, s[34:35]
	s_cbranch_execnz .LBB60_3
.LBB60_4:
	s_or_b64 exec, exec, s[6:7]
	s_load_dwordx4 s[8:11], s[2:3], 0x68
	s_waitcnt lgkmcnt(0)
	s_ashr_i32 s35, s11, 31
	s_mov_b32 s34, s11
	s_or_b64 s[6:7], s[28:29], s[34:35]
	s_mov_b32 s6, 0
	s_cmp_lg_u64 s[6:7], 0
	s_cbranch_scc0 .LBB60_14
; %bb.5:
	s_add_u32 s6, s34, s35
	s_mov_b32 s36, s35
	s_mov_b32 s37, s35
	s_addc_u32 s7, s35, s35
	s_xor_b64 s[38:39], s[6:7], s[36:37]
	v_cvt_f32_u32_e32 v1, s38
	v_cvt_f32_u32_e32 v3, s39
	s_sub_u32 s5, 0, s38
	s_subb_u32 s6, 0, s39
	v_fmamk_f32 v1, v3, 0x4f800000, v1
	v_rcp_f32_e32 v1, v1
	s_nop 0
	v_mul_f32_e32 v1, 0x5f7ffffc, v1
	v_mul_f32_e32 v3, 0x2f800000, v1
	v_trunc_f32_e32 v3, v3
	v_fmamk_f32 v1, v3, 0xcf800000, v1
	v_cvt_u32_f32_e32 v3, v3
	v_cvt_u32_f32_e32 v1, v1
	v_readfirstlane_b32 s7, v3
	v_readfirstlane_b32 s11, v1
	s_mul_i32 s23, s5, s7
	s_mul_hi_u32 s40, s5, s11
	s_mul_i32 s33, s6, s11
	s_add_i32 s23, s40, s23
	s_add_i32 s23, s23, s33
	s_mul_i32 s41, s5, s11
	s_mul_hi_u32 s33, s11, s23
	s_mul_i32 s40, s11, s23
	s_mul_hi_u32 s11, s11, s41
	s_add_u32 s11, s11, s40
	s_addc_u32 s33, 0, s33
	s_mul_hi_u32 s42, s7, s41
	s_mul_i32 s41, s7, s41
	s_add_u32 s11, s11, s41
	s_mul_hi_u32 s40, s7, s23
	s_addc_u32 s11, s33, s42
	s_addc_u32 s33, s40, 0
	s_mul_i32 s23, s7, s23
	s_add_u32 s11, s11, s23
	s_addc_u32 s23, 0, s33
	v_add_co_u32_e32 v1, vcc, s11, v1
	s_cmp_lg_u64 vcc, 0
	s_addc_u32 s7, s7, s23
	v_readfirstlane_b32 s23, v1
	s_mul_i32 s11, s5, s7
	s_mul_hi_u32 s33, s5, s23
	s_add_i32 s11, s33, s11
	s_mul_i32 s6, s6, s23
	s_add_i32 s11, s11, s6
	s_mul_i32 s5, s5, s23
	s_mul_hi_u32 s33, s7, s5
	s_mul_i32 s40, s7, s5
	s_mul_i32 s42, s23, s11
	s_mul_hi_u32 s5, s23, s5
	s_mul_hi_u32 s41, s23, s11
	s_add_u32 s5, s5, s42
	s_addc_u32 s23, 0, s41
	s_add_u32 s5, s5, s40
	s_mul_hi_u32 s6, s7, s11
	s_addc_u32 s5, s23, s33
	s_addc_u32 s6, s6, 0
	s_mul_i32 s11, s7, s11
	s_add_u32 s5, s5, s11
	s_addc_u32 s6, 0, s6
	v_add_co_u32_e32 v1, vcc, s5, v1
	s_cmp_lg_u64 vcc, 0
	s_addc_u32 s5, s7, s6
	s_ashr_i32 s40, s29, 31
	s_add_u32 s6, s28, s40
	s_mov_b32 s41, s40
	s_addc_u32 s7, s29, s40
	s_xor_b64 s[42:43], s[6:7], s[40:41]
	v_readfirstlane_b32 s11, v1
	s_mul_i32 s7, s42, s5
	s_mul_hi_u32 s23, s42, s11
	s_mul_hi_u32 s6, s42, s5
	s_add_u32 s7, s23, s7
	s_addc_u32 s6, 0, s6
	s_mul_hi_u32 s33, s43, s11
	s_mul_i32 s11, s43, s11
	s_add_u32 s7, s7, s11
	s_mul_hi_u32 s23, s43, s5
	s_addc_u32 s6, s6, s33
	s_addc_u32 s7, s23, 0
	s_mul_i32 s5, s43, s5
	s_add_u32 s5, s6, s5
	s_addc_u32 s11, 0, s7
	s_mul_i32 s6, s38, s11
	s_mul_hi_u32 s7, s38, s5
	s_add_i32 s6, s7, s6
	s_mul_i32 s7, s39, s5
	s_add_i32 s23, s6, s7
	s_mul_i32 s7, s38, s5
	v_mov_b32_e32 v1, s7
	s_sub_i32 s6, s43, s23
	v_sub_co_u32_e32 v1, vcc, s42, v1
	s_cmp_lg_u64 vcc, 0
	s_subb_u32 s33, s6, s39
	v_subrev_co_u32_e64 v3, s[6:7], s38, v1
	s_cmp_lg_u64 s[6:7], 0
	s_subb_u32 s6, s33, 0
	s_cmp_ge_u32 s6, s39
	v_readfirstlane_b32 s33, v3
	s_cselect_b32 s7, -1, 0
	s_cmp_ge_u32 s33, s38
	s_cselect_b32 s33, -1, 0
	s_cmp_eq_u32 s6, s39
	s_cselect_b32 s6, s33, s7
	s_add_u32 s7, s5, 1
	s_addc_u32 s33, s11, 0
	s_add_u32 s42, s5, 2
	s_addc_u32 s44, s11, 0
	s_cmp_lg_u32 s6, 0
	s_cselect_b32 s6, s42, s7
	s_cselect_b32 s7, s44, s33
	s_cmp_lg_u64 vcc, 0
	s_subb_u32 s23, s43, s23
	s_cmp_ge_u32 s23, s39
	v_readfirstlane_b32 s42, v1
	s_cselect_b32 s33, -1, 0
	s_cmp_ge_u32 s42, s38
	s_cselect_b32 s38, -1, 0
	s_cmp_eq_u32 s23, s39
	s_cselect_b32 s23, s38, s33
	s_cmp_lg_u32 s23, 0
	s_cselect_b32 s7, s7, s11
	s_cselect_b32 s6, s6, s5
	s_xor_b64 s[36:37], s[40:41], s[36:37]
	s_xor_b64 s[6:7], s[6:7], s[36:37]
	s_sub_u32 s6, s6, s36
	s_subb_u32 s7, s7, s37
	s_cbranch_execnz .LBB60_7
.LBB60_6:
	v_cvt_f32_u32_e32 v1, s34
	s_sub_i32 s5, 0, s34
	s_mov_b32 s7, 0
	v_rcp_iflag_f32_e32 v1, v1
	s_nop 0
	v_mul_f32_e32 v1, 0x4f7ffffe, v1
	v_cvt_u32_f32_e32 v1, v1
	s_nop 0
	v_readfirstlane_b32 s6, v1
	s_mul_i32 s5, s5, s6
	s_mul_hi_u32 s5, s6, s5
	s_add_i32 s6, s6, s5
	s_mul_hi_u32 s5, s28, s6
	s_mul_i32 s11, s5, s34
	s_sub_i32 s11, s28, s11
	s_add_i32 s6, s5, 1
	s_sub_i32 s23, s11, s34
	s_cmp_ge_u32 s11, s34
	s_cselect_b32 s5, s6, s5
	s_cselect_b32 s11, s23, s11
	s_add_i32 s6, s5, 1
	s_cmp_ge_u32 s11, s34
	s_cselect_b32 s6, s6, s5
.LBB60_7:
	s_mul_i32 s5, s6, s35
	s_mul_hi_u32 s11, s6, s34
	s_load_dwordx2 s[30:31], s[2:3], 0x78
	s_add_i32 s5, s11, s5
	s_mul_i32 s11, s7, s34
	s_add_i32 s5, s5, s11
	s_mul_i32 s11, s6, s34
	s_sub_u32 s11, s28, s11
	s_subb_u32 s5, s29, s5
	v_cmp_gt_i32_e32 vcc, s22, v2
	s_mul_hi_u32 s42, s6, s8
	s_mul_i32 s43, s7, s8
	s_mul_i32 s44, s6, s8
	s_mul_hi_u32 s33, s11, s9
	s_mul_i32 s5, s5, s9
	s_mul_i32 s7, s11, s9
	s_and_saveexec_b64 s[28:29], vcc
	s_cbranch_execz .LBB60_10
; %bb.8:
	s_load_dwordx2 s[0:1], s[0:1], 0x4
	v_bfe_u32 v1, v0, 10, 10
	s_ashr_i32 s34, s8, 31
	s_ashr_i32 s23, s22, 31
	s_load_dword s36, s[2:3], 0x8c
	s_waitcnt lgkmcnt(0)
	s_lshr_b32 s0, s0, 16
	s_mul_i32 s0, s0, s1
	v_mul_lo_u32 v3, s0, v2
	v_mad_u32_u24 v1, v1, s1, v3
	s_ashr_i32 s1, s9, 31
	s_mul_i32 s0, s6, s34
	s_mul_i32 s1, s11, s1
	s_add_i32 s0, s42, s0
	s_add_i32 s1, s33, s1
	;; [unrolled: 1-line block ×4, first 2 shown]
	s_add_u32 s38, s44, s7
	s_addc_u32 s39, s0, s1
	s_add_u32 s0, s38, s20
	s_addc_u32 s1, s39, s21
	s_ashr_i32 s40, s10, 31
	s_add_u32 s34, s0, s10
	s_addc_u32 s35, s1, s40
	s_and_b32 s46, s36, 0xffff
	s_lshl_b64 s[0:1], s[26:27], 2
	v_bfe_u32 v0, v0, 20, 10
	v_mov_b32_e32 v3, 0
	s_add_u32 s0, s24, s0
	v_add_lshl_u32 v6, v1, v0, 1
	v_lshlrev_b32_e32 v0, 2, v2
	v_mov_b32_e32 v1, v3
	s_addc_u32 s1, s25, s1
	v_lshl_add_u64 v[0:1], s[0:1], 0, v[0:1]
	s_mul_i32 s0, s13, s4
	s_mul_hi_u32 s1, s12, s4
	s_add_i32 s1, s1, s0
	s_mul_i32 s0, s12, s4
	s_lshl_b32 s36, s46, 2
	s_lshl_b64 s[24:25], s[22:23], 2
	s_lshl_b64 s[26:27], s[22:23], 1
	;; [unrolled: 1-line block ×3, first 2 shown]
	s_add_u32 s0, s16, s0
	v_lshlrev_b32_e32 v4, 1, v2
	v_mov_b32_e32 v5, v3
	s_addc_u32 s1, s17, s1
	s_lshl_b32 s12, s46, 1
	v_lshl_add_u64 v[4:5], s[0:1], 0, v[4:5]
	s_add_u32 s0, s38, s22
	s_load_dword s45, s[30:31], 0x0
	s_addc_u32 s1, s39, s23
	s_add_u32 s0, s0, s10
	s_addc_u32 s1, s1, s40
	s_mov_b32 s37, 0
	s_add_u32 s16, s20, s0
	v_add_u32_e32 v7, 0x800, v6
	s_mov_b32 s13, s37
	s_addc_u32 s17, s21, s1
	s_mov_b64 s[38:39], 0
	s_mov_b32 s23, 0x7f800000
	s_mov_b32 s47, 0x43700000
	v_mov_b32_e32 v8, 0xc3700000
	s_mov_b64 s[40:41], 0
.LBB60_9:                               ; =>This Inner Loop Header: Depth=1
	global_load_dword v9, v[0:1], off
	v_lshl_add_u64 v[10:11], v[0:1], 0, s[24:25]
	v_lshl_add_u64 v[12:13], v[4:5], 0, s[26:27]
	global_load_ushort v16, v[4:5], off
	global_load_dword v17, v[10:11], off
	global_load_ushort v18, v[12:13], off
	s_add_u32 s40, s40, s46
	v_add_u32_e32 v21, s40, v2
	v_cmp_le_i32_e32 vcc, s22, v21
	s_addc_u32 s41, s41, 0
	v_lshl_add_u64 v[14:15], s[16:17], 0, v[2:3]
	s_add_u32 s16, s16, s46
	s_addc_u32 s17, s17, 0
	v_lshl_add_u64 v[10:11], s[34:35], 0, v[2:3]
	s_add_u32 s34, s34, s46
	s_addc_u32 s35, s35, 0
	s_or_b64 s[38:39], vcc, s[38:39]
	v_mov_b32_e32 v19, 0
	v_mov_b32_e32 v20, 0
	v_lshl_add_u64 v[0:1], v[0:1], 0, s[36:37]
	s_waitcnt vmcnt(3)
	v_cvt_f16_f32_e32 v9, v9
	s_waitcnt vmcnt(1)
	v_cvt_f16_f32_e32 v17, v17
	s_waitcnt vmcnt(0)
	v_mul_f16_e32 v21, v18, v9
	v_mul_f16_e32 v18, v18, v17
	v_fma_f16 v17, v16, v17, v21
	v_fma_f16 v9, v16, v9, -v18
	ds_write_b16 v6, v17
	ds_write_b16 v7, v9
	ds_read_b32 v16, v6
	global_store_short v[4:5], v9, off
	ds_read_b32 v9, v7
	v_lshl_add_u64 v[4:5], v[4:5], 0, s[12:13]
	global_store_short v[12:13], v17, off
	s_waitcnt lgkmcnt(0)
	v_div_scale_f32 v18, s[0:1], s45, s45, v16
	v_div_scale_f32 v22, s[48:49], s45, s45, v9
	v_rcp_f32_e32 v24, v18
	v_rcp_f32_e32 v25, v22
	v_div_scale_f32 v21, s[0:1], v16, s45, v16
	v_fma_f32 v26, -v18, v24, 1.0
	v_fma_f32 v27, -v22, v25, 1.0
	v_div_scale_f32 v23, vcc, v9, s45, v9
	v_fmac_f32_e32 v24, v26, v24
	v_fmac_f32_e32 v25, v27, v25
	v_mul_f32_e32 v26, v21, v24
	v_mul_f32_e32 v27, v23, v25
	v_fma_f32 v28, -v18, v26, v21
	v_fma_f32 v29, -v22, v27, v23
	v_fmac_f32_e32 v26, v28, v24
	v_fmac_f32_e32 v27, v29, v25
	v_fma_f32 v18, -v18, v26, v21
	v_fma_f32 v21, -v22, v27, v23
	v_div_fmas_f32 v21, v21, v25, v27
	s_mov_b64 vcc, s[0:1]
	v_div_fixup_f32 v9, v21, s45, v9
	v_div_fmas_f32 v18, v18, v24, v26
	v_med3_f32 v21, v9, s47, v8
	v_div_fixup_f32 v16, v18, s45, v16
	v_cmp_nlg_f32_e64 vcc, |v9|, s23
	v_med3_f32 v18, v16, s47, v8
	s_nop 0
	v_cndmask_b32_e32 v9, v21, v9, vcc
	v_cmp_nlg_f32_e64 vcc, |v16|, s23
	v_cvt_pk_fp8_f32 v19, v9, v9
	s_nop 0
	v_cndmask_b32_e32 v9, v18, v16, vcc
	v_cvt_pk_fp8_f32 v20, v9, v9
	global_store_byte v[10:11], v19, off
	global_store_byte v[14:15], v20, off
	s_andn2_b64 exec, exec, s[38:39]
	s_cbranch_execnz .LBB60_9
.LBB60_10:
	s_or_b64 exec, exec, s[28:29]
	v_cmp_gt_i32_e32 vcc, s10, v2
	s_and_saveexec_b64 s[0:1], vcc
	s_cbranch_execz .LBB60_13
; %bb.11:
	s_mul_i32 s0, s4, s15
	s_mul_hi_u32 s1, s4, s14
	s_add_i32 s1, s1, s0
	s_mul_i32 s0, s4, s14
	s_lshl_b64 s[0:1], s[0:1], 1
	s_add_u32 s0, s18, s0
	s_addc_u32 s1, s19, s1
	s_ashr_i32 s4, s8, 31
	s_mul_i32 s4, s6, s4
	s_add_i32 s4, s42, s4
	s_add_i32 s4, s4, s43
	s_add_u32 s6, s20, s44
	s_addc_u32 s4, s21, s4
	s_ashr_i32 s8, s9, 31
	s_mul_i32 s11, s11, s8
	s_add_i32 s8, s33, s11
	s_load_dword s9, s[2:3], 0x8c
	s_add_i32 s8, s8, s5
	s_add_u32 s2, s6, s7
	s_waitcnt lgkmcnt(0)
	s_load_dword s6, s[30:31], 0x0
	s_addc_u32 s3, s4, s8
	s_and_b32 s7, s9, 0xffff
	s_mov_b64 s[4:5], 0
	s_mov_b32 s8, 0x7f800000
	s_mov_b32 s9, 0x43700000
	v_mov_b32_e32 v0, 0xc3700000
.LBB60_12:                              ; =>This Inner Loop Header: Depth=1
	v_ashrrev_i32_e32 v3, 31, v2
	v_lshl_add_u64 v[4:5], v[2:3], 1, s[0:1]
	global_load_dword v1, v[4:5], off
	v_mov_b32_e32 v6, 0
	s_waitcnt vmcnt(0) lgkmcnt(0)
	v_div_scale_f32 v4, s[12:13], s6, s6, v1
	v_rcp_f32_e32 v5, v4
	v_div_scale_f32 v7, vcc, v1, s6, v1
	v_fma_f32 v8, -v4, v5, 1.0
	v_fmac_f32_e32 v5, v8, v5
	v_mul_f32_e32 v8, v7, v5
	v_fma_f32 v9, -v4, v8, v7
	v_fmac_f32_e32 v8, v9, v5
	v_fma_f32 v4, -v4, v8, v7
	v_div_fmas_f32 v4, v4, v5, v8
	v_div_fixup_f32 v1, v4, s6, v1
	v_med3_f32 v4, v1, s9, v0
	v_cmp_nlg_f32_e64 vcc, |v1|, s8
	s_nop 1
	v_cndmask_b32_e32 v1, v4, v1, vcc
	v_cvt_pk_fp8_f32 v6, v1, v1
	v_lshl_add_u64 v[4:5], s[2:3], 0, v[2:3]
	v_add_u32_e32 v2, s7, v2
	v_cmp_le_i32_e32 vcc, s10, v2
	s_or_b64 s[4:5], vcc, s[4:5]
	global_store_byte v[4:5], v6, off
	s_andn2_b64 exec, exec, s[4:5]
	s_cbranch_execnz .LBB60_12
.LBB60_13:
	s_endpgm
.LBB60_14:
                                        ; implicit-def: $sgpr6_sgpr7
	s_branch .LBB60_6
	.section	.rodata,"a",@progbits
	.p2align	6, 0x0
	.amdhsa_kernel _ZN4vllm38concat_and_cache_mla_rope_fused_kernelIN3c104HalfEfLb1EfhLNS_18Fp8KVCacheDataTypeE1EEEvPKlPT_S7_PKS6_PKT0_illlliPT3_S5_iiiiPKf
		.amdhsa_group_segment_fixed_size 4096
		.amdhsa_private_segment_fixed_size 0
		.amdhsa_kernarg_size 384
		.amdhsa_user_sgpr_count 4
		.amdhsa_user_sgpr_dispatch_ptr 1
		.amdhsa_user_sgpr_queue_ptr 0
		.amdhsa_user_sgpr_kernarg_segment_ptr 1
		.amdhsa_user_sgpr_dispatch_id 0
		.amdhsa_user_sgpr_kernarg_preload_length 0
		.amdhsa_user_sgpr_kernarg_preload_offset 0
		.amdhsa_user_sgpr_private_segment_size 0
		.amdhsa_uses_dynamic_stack 0
		.amdhsa_enable_private_segment 0
		.amdhsa_system_sgpr_workgroup_id_x 1
		.amdhsa_system_sgpr_workgroup_id_y 0
		.amdhsa_system_sgpr_workgroup_id_z 0
		.amdhsa_system_sgpr_workgroup_info 0
		.amdhsa_system_vgpr_workitem_id 2
		.amdhsa_next_free_vgpr 30
		.amdhsa_next_free_sgpr 50
		.amdhsa_accum_offset 32
		.amdhsa_reserve_vcc 1
		.amdhsa_float_round_mode_32 0
		.amdhsa_float_round_mode_16_64 0
		.amdhsa_float_denorm_mode_32 3
		.amdhsa_float_denorm_mode_16_64 3
		.amdhsa_dx10_clamp 1
		.amdhsa_ieee_mode 1
		.amdhsa_fp16_overflow 0
		.amdhsa_tg_split 0
		.amdhsa_exception_fp_ieee_invalid_op 0
		.amdhsa_exception_fp_denorm_src 0
		.amdhsa_exception_fp_ieee_div_zero 0
		.amdhsa_exception_fp_ieee_overflow 0
		.amdhsa_exception_fp_ieee_underflow 0
		.amdhsa_exception_fp_ieee_inexact 0
		.amdhsa_exception_int_div_zero 0
	.end_amdhsa_kernel
	.section	.text._ZN4vllm38concat_and_cache_mla_rope_fused_kernelIN3c104HalfEfLb1EfhLNS_18Fp8KVCacheDataTypeE1EEEvPKlPT_S7_PKS6_PKT0_illlliPT3_S5_iiiiPKf,"axG",@progbits,_ZN4vllm38concat_and_cache_mla_rope_fused_kernelIN3c104HalfEfLb1EfhLNS_18Fp8KVCacheDataTypeE1EEEvPKlPT_S7_PKS6_PKT0_illlliPT3_S5_iiiiPKf,comdat
.Lfunc_end60:
	.size	_ZN4vllm38concat_and_cache_mla_rope_fused_kernelIN3c104HalfEfLb1EfhLNS_18Fp8KVCacheDataTypeE1EEEvPKlPT_S7_PKS6_PKT0_illlliPT3_S5_iiiiPKf, .Lfunc_end60-_ZN4vllm38concat_and_cache_mla_rope_fused_kernelIN3c104HalfEfLb1EfhLNS_18Fp8KVCacheDataTypeE1EEEvPKlPT_S7_PKS6_PKT0_illlliPT3_S5_iiiiPKf
                                        ; -- End function
	.section	.AMDGPU.csdata,"",@progbits
; Kernel info:
; codeLenInByte = 2464
; NumSgprs: 56
; NumVgprs: 30
; NumAgprs: 0
; TotalNumVgprs: 30
; ScratchSize: 0
; MemoryBound: 0
; FloatMode: 240
; IeeeMode: 1
; LDSByteSize: 4096 bytes/workgroup (compile time only)
; SGPRBlocks: 6
; VGPRBlocks: 3
; NumSGPRsForWavesPerEU: 56
; NumVGPRsForWavesPerEU: 30
; AccumOffset: 32
; Occupancy: 8
; WaveLimiterHint : 1
; COMPUTE_PGM_RSRC2:SCRATCH_EN: 0
; COMPUTE_PGM_RSRC2:USER_SGPR: 4
; COMPUTE_PGM_RSRC2:TRAP_HANDLER: 0
; COMPUTE_PGM_RSRC2:TGID_X_EN: 1
; COMPUTE_PGM_RSRC2:TGID_Y_EN: 0
; COMPUTE_PGM_RSRC2:TGID_Z_EN: 0
; COMPUTE_PGM_RSRC2:TIDIG_COMP_CNT: 2
; COMPUTE_PGM_RSRC3_GFX90A:ACCUM_OFFSET: 7
; COMPUTE_PGM_RSRC3_GFX90A:TG_SPLIT: 0
	.section	.text._ZN4vllm38concat_and_cache_mla_rope_fused_kernelIN3c104HalfEfLb0EfhLNS_18Fp8KVCacheDataTypeE1EEEvPKlPT_S7_PKS6_PKT0_illlliPT3_S5_iiiiPKf,"axG",@progbits,_ZN4vllm38concat_and_cache_mla_rope_fused_kernelIN3c104HalfEfLb0EfhLNS_18Fp8KVCacheDataTypeE1EEEvPKlPT_S7_PKS6_PKT0_illlliPT3_S5_iiiiPKf,comdat
	.protected	_ZN4vllm38concat_and_cache_mla_rope_fused_kernelIN3c104HalfEfLb0EfhLNS_18Fp8KVCacheDataTypeE1EEEvPKlPT_S7_PKS6_PKT0_illlliPT3_S5_iiiiPKf ; -- Begin function _ZN4vllm38concat_and_cache_mla_rope_fused_kernelIN3c104HalfEfLb0EfhLNS_18Fp8KVCacheDataTypeE1EEEvPKlPT_S7_PKS6_PKT0_illlliPT3_S5_iiiiPKf
	.globl	_ZN4vllm38concat_and_cache_mla_rope_fused_kernelIN3c104HalfEfLb0EfhLNS_18Fp8KVCacheDataTypeE1EEEvPKlPT_S7_PKS6_PKT0_illlliPT3_S5_iiiiPKf
	.p2align	8
	.type	_ZN4vllm38concat_and_cache_mla_rope_fused_kernelIN3c104HalfEfLb0EfhLNS_18Fp8KVCacheDataTypeE1EEEvPKlPT_S7_PKS6_PKT0_illlliPT3_S5_iiiiPKf,@function
_ZN4vllm38concat_and_cache_mla_rope_fused_kernelIN3c104HalfEfLb0EfhLNS_18Fp8KVCacheDataTypeE1EEEvPKlPT_S7_PKS6_PKT0_illlliPT3_S5_iiiiPKf: ; @_ZN4vllm38concat_and_cache_mla_rope_fused_kernelIN3c104HalfEfLb0EfhLNS_18Fp8KVCacheDataTypeE1EEEvPKlPT_S7_PKS6_PKT0_illlliPT3_S5_iiiiPKf
; %bb.0:
	s_load_dwordx2 s[8:9], s[2:3], 0x60
	s_mov_b32 s5, 0
	s_lshl_b64 s[6:7], s[4:5], 3
	s_waitcnt lgkmcnt(0)
	s_add_u32 s8, s8, s6
	s_addc_u32 s9, s9, s7
	s_load_dwordx2 s[28:29], s[8:9], 0x0
	s_waitcnt lgkmcnt(0)
	v_cmp_lt_i64_e64 s[8:9], s[28:29], 0
	s_and_b64 vcc, exec, s[8:9]
	s_cbranch_vccnz .LBB61_13
; %bb.1:
	s_load_dword s5, s[2:3], 0x28
	s_load_dwordx2 s[8:9], s[2:3], 0x0
	s_load_dwordx2 s[24:25], s[2:3], 0x20
	s_load_dwordx4 s[16:19], s[2:3], 0x10
	v_and_b32_e32 v2, 0x3ff, v0
	s_waitcnt lgkmcnt(0)
	s_ashr_i32 s26, s5, 31
	s_add_u32 s6, s8, s6
	s_addc_u32 s7, s9, s7
	s_load_dwordx2 s[22:23], s[6:7], 0x0
	s_load_dwordx8 s[8:15], s[2:3], 0x30
	s_load_dwordx2 s[20:21], s[2:3], 0x58
	s_load_dword s30, s[2:3], 0x50
	v_lshlrev_b32_e32 v4, 1, v2
	s_waitcnt lgkmcnt(0)
	s_mul_i32 s6, s22, s26
	s_mul_hi_u32 s7, s22, s5
	s_add_i32 s6, s7, s6
	s_mul_i32 s7, s23, s5
	s_add_i32 s27, s6, s7
	s_lshr_b32 s6, s5, 31
	s_mul_i32 s26, s22, s5
	s_add_i32 s5, s5, s6
	s_ashr_i32 s22, s5, 1
	s_mul_i32 s5, s22, s30
	v_cmp_gt_i32_e32 vcc, s5, v2
	s_and_saveexec_b64 s[6:7], vcc
	s_cbranch_execz .LBB61_4
; %bb.2:
	s_load_dwordx2 s[34:35], s[2:3], 0x8
	s_load_dword s36, s[2:3], 0x8c
	s_lshl_b64 s[30:31], s[26:27], 2
	s_add_u32 s30, s24, s30
	s_mul_i32 s9, s4, s9
	s_mul_hi_u32 s33, s4, s8
	s_addc_u32 s31, s25, s31
	s_add_i32 s9, s33, s9
	s_mul_i32 s8, s4, s8
	s_ashr_i32 s23, s22, 31
	s_lshl_b64 s[8:9], s[8:9], 1
	s_waitcnt lgkmcnt(0)
	s_add_u32 s8, s34, s8
	s_addc_u32 s9, s35, s9
	s_abs_i32 s33, s22
	v_cvt_f32_u32_e32 v1, s33
	s_sub_i32 s34, 0, s33
	s_and_b32 s36, s36, 0xffff
	s_sub_i32 s37, 0, s22
	v_rcp_iflag_f32_e32 v1, v1
	s_lshl_b32 s39, s36, 1
	v_mov_b32_e32 v6, v4
	v_mov_b32_e32 v8, v2
	v_mul_f32_e32 v1, 0x4f7ffffe, v1
	v_cvt_u32_f32_e32 v1, v1
	v_mul_lo_u32 v3, s34, v1
	v_mul_hi_u32 v3, v1, v3
	s_lshl_b32 s34, s22, 1
	v_add_u32_e32 v1, v1, v3
	s_sub_i32 s38, 0, s34
	s_mov_b64 s[34:35], 0
.LBB61_3:                               ; =>This Inner Loop Header: Depth=1
	v_sub_u32_e32 v5, 0, v8
	v_max_i32_e32 v5, v8, v5
	v_mul_hi_u32 v7, v5, v1
	v_mul_lo_u32 v9, v7, s33
	v_sub_u32_e32 v5, v5, v9
	v_add_u32_e32 v10, 1, v7
	v_cmp_le_u32_e32 vcc, s33, v5
	v_subrev_u32_e32 v9, s33, v5
	v_ashrrev_i32_e32 v3, 31, v8
	v_cndmask_b32_e32 v7, v7, v10, vcc
	v_cndmask_b32_e32 v5, v5, v9, vcc
	v_add_u32_e32 v9, 1, v7
	v_cmp_le_u32_e32 vcc, s33, v5
	v_xor_b32_e32 v3, s23, v3
	s_nop 0
	v_cndmask_b32_e32 v5, v7, v9, vcc
	v_xor_b32_e32 v5, v5, v3
	v_sub_u32_e32 v3, v5, v3
	v_mad_u64_u32 v[10:11], s[40:41], s37, v3, v[8:9]
	v_ashrrev_i32_e32 v5, 31, v3
	v_mul_lo_u32 v7, v3, s11
	v_ashrrev_i32_e32 v11, 31, v10
	v_mad_u64_u32 v[12:13], s[40:41], v3, s10, 0
	v_mad_u64_u32 v[14:15], s[40:41], s38, v3, v[6:7]
	v_mul_lo_u32 v3, v5, s10
	v_lshl_add_u64 v[10:11], v[10:11], 2, s[30:31]
	v_add3_u32 v13, v13, v7, v3
	v_lshl_add_u64 v[16:17], s[22:23], 2, v[10:11]
	global_load_dword v3, v[10:11], off
	global_load_dword v5, v[16:17], off
	v_ashrrev_i32_e32 v15, 31, v14
	v_lshl_add_u64 v[12:13], v[12:13], 1, s[8:9]
	v_lshl_add_u64 v[10:11], v[14:15], 1, v[12:13]
	global_load_dword v7, v[10:11], off
	v_add_u32_e32 v8, s36, v8
	v_cmp_le_i32_e32 vcc, s5, v8
	v_add_u32_e32 v6, s39, v6
	s_or_b64 s[34:35], vcc, s[34:35]
	s_waitcnt vmcnt(2)
	v_cvt_f16_f32_e32 v3, v3
	s_waitcnt vmcnt(1)
	v_cvt_f16_f32_e32 v5, v5
	s_waitcnt vmcnt(0)
	v_mul_f16_sdwa v9, v7, v3 dst_sel:DWORD dst_unused:UNUSED_PAD src0_sel:WORD_1 src1_sel:DWORD
	v_mul_f16_sdwa v12, v7, v5 dst_sel:DWORD dst_unused:UNUSED_PAD src0_sel:WORD_1 src1_sel:DWORD
	v_fma_f16 v5, v7, v5, v9
	v_fma_f16 v3, v7, v3, -v12
	v_pack_b32_f16 v3, v3, v5
	global_store_dword v[10:11], v3, off
	s_andn2_b64 exec, exec, s[34:35]
	s_cbranch_execnz .LBB61_3
.LBB61_4:
	s_or_b64 exec, exec, s[6:7]
	s_load_dwordx4 s[8:11], s[2:3], 0x68
	s_waitcnt lgkmcnt(0)
	s_ashr_i32 s35, s11, 31
	s_mov_b32 s34, s11
	s_or_b64 s[6:7], s[28:29], s[34:35]
	s_mov_b32 s6, 0
	s_cmp_lg_u64 s[6:7], 0
	s_cbranch_scc0 .LBB61_14
; %bb.5:
	s_add_u32 s6, s34, s35
	s_mov_b32 s36, s35
	s_mov_b32 s37, s35
	s_addc_u32 s7, s35, s35
	s_xor_b64 s[38:39], s[6:7], s[36:37]
	v_cvt_f32_u32_e32 v1, s38
	v_cvt_f32_u32_e32 v3, s39
	s_sub_u32 s5, 0, s38
	s_subb_u32 s6, 0, s39
	v_fmamk_f32 v1, v3, 0x4f800000, v1
	v_rcp_f32_e32 v1, v1
	s_nop 0
	v_mul_f32_e32 v1, 0x5f7ffffc, v1
	v_mul_f32_e32 v3, 0x2f800000, v1
	v_trunc_f32_e32 v3, v3
	v_fmamk_f32 v1, v3, 0xcf800000, v1
	v_cvt_u32_f32_e32 v3, v3
	v_cvt_u32_f32_e32 v1, v1
	v_readfirstlane_b32 s7, v3
	v_readfirstlane_b32 s11, v1
	s_mul_i32 s23, s5, s7
	s_mul_hi_u32 s40, s5, s11
	s_mul_i32 s33, s6, s11
	s_add_i32 s23, s40, s23
	s_add_i32 s23, s23, s33
	s_mul_i32 s41, s5, s11
	s_mul_hi_u32 s33, s11, s23
	s_mul_i32 s40, s11, s23
	s_mul_hi_u32 s11, s11, s41
	s_add_u32 s11, s11, s40
	s_addc_u32 s33, 0, s33
	s_mul_hi_u32 s42, s7, s41
	s_mul_i32 s41, s7, s41
	s_add_u32 s11, s11, s41
	s_mul_hi_u32 s40, s7, s23
	s_addc_u32 s11, s33, s42
	s_addc_u32 s33, s40, 0
	s_mul_i32 s23, s7, s23
	s_add_u32 s11, s11, s23
	s_addc_u32 s23, 0, s33
	v_add_co_u32_e32 v1, vcc, s11, v1
	s_cmp_lg_u64 vcc, 0
	s_addc_u32 s7, s7, s23
	v_readfirstlane_b32 s23, v1
	s_mul_i32 s11, s5, s7
	s_mul_hi_u32 s33, s5, s23
	s_add_i32 s11, s33, s11
	s_mul_i32 s6, s6, s23
	s_add_i32 s11, s11, s6
	s_mul_i32 s5, s5, s23
	s_mul_hi_u32 s33, s7, s5
	s_mul_i32 s40, s7, s5
	s_mul_i32 s42, s23, s11
	s_mul_hi_u32 s5, s23, s5
	s_mul_hi_u32 s41, s23, s11
	s_add_u32 s5, s5, s42
	s_addc_u32 s23, 0, s41
	s_add_u32 s5, s5, s40
	s_mul_hi_u32 s6, s7, s11
	s_addc_u32 s5, s23, s33
	s_addc_u32 s6, s6, 0
	s_mul_i32 s11, s7, s11
	s_add_u32 s5, s5, s11
	s_addc_u32 s6, 0, s6
	v_add_co_u32_e32 v1, vcc, s5, v1
	s_cmp_lg_u64 vcc, 0
	s_addc_u32 s5, s7, s6
	s_ashr_i32 s40, s29, 31
	s_add_u32 s6, s28, s40
	s_mov_b32 s41, s40
	s_addc_u32 s7, s29, s40
	s_xor_b64 s[42:43], s[6:7], s[40:41]
	v_readfirstlane_b32 s11, v1
	s_mul_i32 s7, s42, s5
	s_mul_hi_u32 s23, s42, s11
	s_mul_hi_u32 s6, s42, s5
	s_add_u32 s7, s23, s7
	s_addc_u32 s6, 0, s6
	s_mul_hi_u32 s33, s43, s11
	s_mul_i32 s11, s43, s11
	s_add_u32 s7, s7, s11
	s_mul_hi_u32 s23, s43, s5
	s_addc_u32 s6, s6, s33
	s_addc_u32 s7, s23, 0
	s_mul_i32 s5, s43, s5
	s_add_u32 s5, s6, s5
	s_addc_u32 s11, 0, s7
	s_mul_i32 s6, s38, s11
	s_mul_hi_u32 s7, s38, s5
	s_add_i32 s6, s7, s6
	s_mul_i32 s7, s39, s5
	s_add_i32 s23, s6, s7
	s_mul_i32 s7, s38, s5
	v_mov_b32_e32 v1, s7
	s_sub_i32 s6, s43, s23
	v_sub_co_u32_e32 v1, vcc, s42, v1
	s_cmp_lg_u64 vcc, 0
	s_subb_u32 s33, s6, s39
	v_subrev_co_u32_e64 v3, s[6:7], s38, v1
	s_cmp_lg_u64 s[6:7], 0
	s_subb_u32 s6, s33, 0
	s_cmp_ge_u32 s6, s39
	v_readfirstlane_b32 s33, v3
	s_cselect_b32 s7, -1, 0
	s_cmp_ge_u32 s33, s38
	s_cselect_b32 s33, -1, 0
	s_cmp_eq_u32 s6, s39
	s_cselect_b32 s6, s33, s7
	s_add_u32 s7, s5, 1
	s_addc_u32 s33, s11, 0
	s_add_u32 s42, s5, 2
	s_addc_u32 s44, s11, 0
	s_cmp_lg_u32 s6, 0
	s_cselect_b32 s6, s42, s7
	s_cselect_b32 s7, s44, s33
	s_cmp_lg_u64 vcc, 0
	s_subb_u32 s23, s43, s23
	s_cmp_ge_u32 s23, s39
	v_readfirstlane_b32 s42, v1
	s_cselect_b32 s33, -1, 0
	s_cmp_ge_u32 s42, s38
	s_cselect_b32 s38, -1, 0
	s_cmp_eq_u32 s23, s39
	s_cselect_b32 s23, s38, s33
	s_cmp_lg_u32 s23, 0
	s_cselect_b32 s7, s7, s11
	s_cselect_b32 s6, s6, s5
	s_xor_b64 s[36:37], s[40:41], s[36:37]
	s_xor_b64 s[6:7], s[6:7], s[36:37]
	s_sub_u32 s6, s6, s36
	s_subb_u32 s7, s7, s37
	s_cbranch_execnz .LBB61_7
.LBB61_6:
	v_cvt_f32_u32_e32 v1, s34
	s_sub_i32 s5, 0, s34
	s_mov_b32 s7, 0
	v_rcp_iflag_f32_e32 v1, v1
	s_nop 0
	v_mul_f32_e32 v1, 0x4f7ffffe, v1
	v_cvt_u32_f32_e32 v1, v1
	s_nop 0
	v_readfirstlane_b32 s6, v1
	s_mul_i32 s5, s5, s6
	s_mul_hi_u32 s5, s6, s5
	s_add_i32 s6, s6, s5
	s_mul_hi_u32 s5, s28, s6
	s_mul_i32 s11, s5, s34
	s_sub_i32 s11, s28, s11
	s_add_i32 s6, s5, 1
	s_sub_i32 s23, s11, s34
	s_cmp_ge_u32 s11, s34
	s_cselect_b32 s5, s6, s5
	s_cselect_b32 s11, s23, s11
	s_add_i32 s6, s5, 1
	s_cmp_ge_u32 s11, s34
	s_cselect_b32 s6, s6, s5
.LBB61_7:
	s_mul_i32 s5, s6, s35
	s_mul_hi_u32 s11, s6, s34
	s_load_dwordx2 s[30:31], s[2:3], 0x78
	s_add_i32 s5, s11, s5
	s_mul_i32 s11, s7, s34
	s_add_i32 s5, s5, s11
	s_mul_i32 s11, s6, s34
	s_sub_u32 s11, s28, s11
	s_subb_u32 s5, s29, s5
	v_cmp_gt_i32_e32 vcc, s22, v2
	s_mul_hi_u32 s34, s6, s8
	s_mul_i32 s35, s7, s8
	s_mul_i32 s36, s6, s8
	s_mul_hi_u32 s33, s11, s9
	s_mul_i32 s5, s5, s9
	s_mul_i32 s7, s11, s9
	s_and_saveexec_b64 s[28:29], vcc
	s_cbranch_execz .LBB61_10
; %bb.8:
	s_load_dwordx2 s[0:1], s[0:1], 0x4
	v_bfe_u32 v1, v0, 10, 10
	s_ashr_i32 s37, s8, 31
	s_ashr_i32 s23, s22, 31
	;; [unrolled: 1-line block ×3, first 2 shown]
	s_waitcnt lgkmcnt(0)
	s_lshr_b32 s0, s0, 16
	s_mul_i32 s0, s0, s1
	v_mul_lo_u32 v3, s0, v2
	v_mad_u32_u24 v1, v1, s1, v3
	s_mul_i32 s0, s6, s37
	s_load_dword s1, s[2:3], 0x8c
	s_add_i32 s0, s34, s0
	s_add_i32 s39, s0, s35
	s_ashr_i32 s0, s9, 31
	s_mul_i32 s0, s11, s0
	s_add_i32 s0, s33, s0
	s_add_i32 s40, s0, s5
	s_waitcnt lgkmcnt(0)
	s_and_b32 s38, s1, 0xffff
	s_lshl_b64 s[0:1], s[26:27], 2
	s_add_u32 s0, s24, s0
	v_bfe_u32 v0, v0, 20, 10
	v_lshlrev_b32_e32 v8, 2, v2
	v_mov_b32_e32 v9, 0
	s_addc_u32 s1, s25, s1
	s_lshl_b32 s24, s38, 2
	v_add_lshl_u32 v3, v1, v0, 1
	v_lshl_add_u64 v[0:1], s[0:1], 0, v[8:9]
	s_add_u32 s0, s36, s7
	s_addc_u32 s1, s39, s40
	v_lshl_add_u64 v[6:7], s[22:23], 2, v[0:1]
	s_add_u32 s23, s20, s10
	s_addc_u32 s25, s21, s41
	s_add_u32 s0, s23, s0
	v_mov_b32_e32 v5, v9
	s_addc_u32 s1, s25, s1
	v_lshl_add_u64 v[4:5], s[0:1], 0, v[4:5]
	s_mul_i32 s0, s13, s4
	s_mul_hi_u32 s1, s12, s4
	s_load_dword s37, s[30:31], 0x0
	s_add_i32 s1, s1, s0
	s_mul_i32 s0, s12, s4
	s_lshl_b32 s26, s38, 1
	s_lshl_b64 s[0:1], s[0:1], 1
	s_add_u32 s0, s16, s0
	s_addc_u32 s1, s17, s1
	v_add_u32_e32 v10, 0x800, v3
	s_mov_b32 s27, 0
	v_lshl_add_u64 v[4:5], v[4:5], 0, 1
	v_lshl_add_u64 v[8:9], s[0:1], 0, v[8:9]
	s_mov_b64 s[12:13], 0
	s_mov_b32 s23, 0x7f800000
	s_mov_b32 s25, 0x43700000
	v_mov_b32_e32 v11, 0xc3700000
	s_mov_b64 s[16:17], 0
	v_mov_b32_e32 v12, v2
.LBB61_9:                               ; =>This Inner Loop Header: Depth=1
	v_lshl_add_u64 v[16:17], v[6:7], 0, s[16:17]
	v_lshl_add_u64 v[14:15], v[0:1], 0, s[16:17]
	;; [unrolled: 1-line block ×3, first 2 shown]
	global_load_dword v13, v[16:17], off
	global_load_dword v20, v[14:15], off
	;; [unrolled: 1-line block ×3, first 2 shown]
	v_add_u32_e32 v12, s38, v12
	s_add_u32 s16, s16, s24
	s_addc_u32 s17, s17, 0
	v_cmp_le_i32_e32 vcc, s22, v12
	s_or_b64 s[12:13], vcc, s[12:13]
	v_mov_b32_e32 v15, 0
	v_mov_b32_e32 v14, 0
	s_waitcnt vmcnt(2)
	v_cvt_f16_f32_e32 v13, v13
	s_waitcnt vmcnt(1)
	v_cvt_f16_f32_e32 v16, v20
	s_waitcnt vmcnt(0)
	v_mul_f16_sdwa v17, v21, v13 dst_sel:DWORD dst_unused:UNUSED_PAD src0_sel:WORD_1 src1_sel:DWORD
	v_mul_f16_sdwa v20, v21, v16 dst_sel:DWORD dst_unused:UNUSED_PAD src0_sel:WORD_1 src1_sel:DWORD
	v_fma_f16 v16, v21, v16, -v17
	v_fma_f16 v13, v21, v13, v20
	ds_write_b16 v10, v16
	ds_write_b16 v3, v13
	v_pack_b32_f16 v13, v16, v13
	ds_read_b32 v16, v10
	ds_read_b32 v17, v3
	global_store_dword v[18:19], v13, off
	s_waitcnt lgkmcnt(0)
	v_div_scale_f32 v20, s[0:1], s37, s37, v16
	v_div_scale_f32 v22, s[0:1], s37, s37, v17
	v_rcp_f32_e32 v24, v20
	v_rcp_f32_e32 v25, v22
	v_div_scale_f32 v21, vcc, v16, s37, v16
	v_fma_f32 v26, -v20, v24, 1.0
	v_fma_f32 v27, -v22, v25, 1.0
	v_fmac_f32_e32 v24, v26, v24
	v_div_scale_f32 v23, s[0:1], v17, s37, v17
	v_fmac_f32_e32 v25, v27, v25
	v_mul_f32_e32 v26, v21, v24
	v_mul_f32_e32 v27, v23, v25
	v_fma_f32 v28, -v20, v26, v21
	v_fma_f32 v29, -v22, v27, v23
	v_fmac_f32_e32 v26, v28, v24
	v_fmac_f32_e32 v27, v29, v25
	v_fma_f32 v20, -v20, v26, v21
	v_fma_f32 v21, -v22, v27, v23
	v_div_fmas_f32 v20, v20, v24, v26
	s_mov_b64 vcc, s[0:1]
	v_div_fixup_f32 v16, v20, s37, v16
	v_div_fmas_f32 v20, v21, v25, v27
	v_med3_f32 v21, v16, s25, v11
	v_div_fixup_f32 v17, v20, s37, v17
	v_cmp_nlg_f32_e64 vcc, |v16|, s23
	v_med3_f32 v20, v17, s25, v11
	s_nop 0
	v_cndmask_b32_e32 v16, v21, v16, vcc
	v_cmp_nlg_f32_e64 vcc, |v17|, s23
	v_cvt_pk_fp8_f32 v14, v16, v16
	s_nop 0
	v_cndmask_b32_e32 v17, v20, v17, vcc
	v_cvt_pk_fp8_f32 v15, v17, v17
	v_lshlrev_b16_e32 v13, 8, v15
	v_or_b32_sdwa v13, v14, v13 dst_sel:DWORD dst_unused:UNUSED_PAD src0_sel:BYTE_0 src1_sel:DWORD
	global_store_short v[4:5], v13, off offset:-1
	v_lshl_add_u64 v[4:5], v[4:5], 0, s[26:27]
	s_andn2_b64 exec, exec, s[12:13]
	s_cbranch_execnz .LBB61_9
.LBB61_10:
	s_or_b64 exec, exec, s[28:29]
	v_cmp_gt_i32_e32 vcc, s10, v2
	s_and_saveexec_b64 s[0:1], vcc
	s_cbranch_execz .LBB61_13
; %bb.11:
	s_mul_i32 s0, s4, s15
	s_mul_hi_u32 s1, s4, s14
	s_add_i32 s1, s1, s0
	s_mul_i32 s0, s4, s14
	s_lshl_b64 s[0:1], s[0:1], 1
	s_add_u32 s0, s18, s0
	s_addc_u32 s1, s19, s1
	s_ashr_i32 s4, s8, 31
	s_mul_i32 s4, s6, s4
	s_add_i32 s4, s34, s4
	s_add_i32 s4, s4, s35
	s_add_u32 s6, s20, s36
	s_addc_u32 s4, s21, s4
	s_ashr_i32 s8, s9, 31
	s_mul_i32 s11, s11, s8
	s_add_i32 s8, s33, s11
	s_load_dword s9, s[2:3], 0x8c
	s_add_i32 s8, s8, s5
	s_add_u32 s2, s6, s7
	s_waitcnt lgkmcnt(0)
	s_load_dword s6, s[30:31], 0x0
	s_addc_u32 s3, s4, s8
	s_and_b32 s7, s9, 0xffff
	s_mov_b64 s[4:5], 0
	s_mov_b32 s8, 0x7f800000
	s_mov_b32 s9, 0x43700000
	v_mov_b32_e32 v0, 0xc3700000
.LBB61_12:                              ; =>This Inner Loop Header: Depth=1
	v_ashrrev_i32_e32 v3, 31, v2
	v_lshl_add_u64 v[4:5], v[2:3], 1, s[0:1]
	global_load_dword v1, v[4:5], off
	v_mov_b32_e32 v6, 0
	s_waitcnt vmcnt(0) lgkmcnt(0)
	v_div_scale_f32 v4, s[12:13], s6, s6, v1
	v_rcp_f32_e32 v5, v4
	v_div_scale_f32 v7, vcc, v1, s6, v1
	v_fma_f32 v8, -v4, v5, 1.0
	v_fmac_f32_e32 v5, v8, v5
	v_mul_f32_e32 v8, v7, v5
	v_fma_f32 v9, -v4, v8, v7
	v_fmac_f32_e32 v8, v9, v5
	v_fma_f32 v4, -v4, v8, v7
	v_div_fmas_f32 v4, v4, v5, v8
	v_div_fixup_f32 v1, v4, s6, v1
	v_med3_f32 v4, v1, s9, v0
	v_cmp_nlg_f32_e64 vcc, |v1|, s8
	s_nop 1
	v_cndmask_b32_e32 v1, v4, v1, vcc
	v_cvt_pk_fp8_f32 v6, v1, v1
	v_lshl_add_u64 v[4:5], s[2:3], 0, v[2:3]
	v_add_u32_e32 v2, s7, v2
	v_cmp_le_i32_e32 vcc, s10, v2
	s_or_b64 s[4:5], vcc, s[4:5]
	global_store_byte v[4:5], v6, off
	s_andn2_b64 exec, exec, s[4:5]
	s_cbranch_execnz .LBB61_12
.LBB61_13:
	s_endpgm
.LBB61_14:
                                        ; implicit-def: $sgpr6_sgpr7
	s_branch .LBB61_6
	.section	.rodata,"a",@progbits
	.p2align	6, 0x0
	.amdhsa_kernel _ZN4vllm38concat_and_cache_mla_rope_fused_kernelIN3c104HalfEfLb0EfhLNS_18Fp8KVCacheDataTypeE1EEEvPKlPT_S7_PKS6_PKT0_illlliPT3_S5_iiiiPKf
		.amdhsa_group_segment_fixed_size 4096
		.amdhsa_private_segment_fixed_size 0
		.amdhsa_kernarg_size 384
		.amdhsa_user_sgpr_count 4
		.amdhsa_user_sgpr_dispatch_ptr 1
		.amdhsa_user_sgpr_queue_ptr 0
		.amdhsa_user_sgpr_kernarg_segment_ptr 1
		.amdhsa_user_sgpr_dispatch_id 0
		.amdhsa_user_sgpr_kernarg_preload_length 0
		.amdhsa_user_sgpr_kernarg_preload_offset 0
		.amdhsa_user_sgpr_private_segment_size 0
		.amdhsa_uses_dynamic_stack 0
		.amdhsa_enable_private_segment 0
		.amdhsa_system_sgpr_workgroup_id_x 1
		.amdhsa_system_sgpr_workgroup_id_y 0
		.amdhsa_system_sgpr_workgroup_id_z 0
		.amdhsa_system_sgpr_workgroup_info 0
		.amdhsa_system_vgpr_workitem_id 2
		.amdhsa_next_free_vgpr 30
		.amdhsa_next_free_sgpr 45
		.amdhsa_accum_offset 32
		.amdhsa_reserve_vcc 1
		.amdhsa_float_round_mode_32 0
		.amdhsa_float_round_mode_16_64 0
		.amdhsa_float_denorm_mode_32 3
		.amdhsa_float_denorm_mode_16_64 3
		.amdhsa_dx10_clamp 1
		.amdhsa_ieee_mode 1
		.amdhsa_fp16_overflow 0
		.amdhsa_tg_split 0
		.amdhsa_exception_fp_ieee_invalid_op 0
		.amdhsa_exception_fp_denorm_src 0
		.amdhsa_exception_fp_ieee_div_zero 0
		.amdhsa_exception_fp_ieee_overflow 0
		.amdhsa_exception_fp_ieee_underflow 0
		.amdhsa_exception_fp_ieee_inexact 0
		.amdhsa_exception_int_div_zero 0
	.end_amdhsa_kernel
	.section	.text._ZN4vllm38concat_and_cache_mla_rope_fused_kernelIN3c104HalfEfLb0EfhLNS_18Fp8KVCacheDataTypeE1EEEvPKlPT_S7_PKS6_PKT0_illlliPT3_S5_iiiiPKf,"axG",@progbits,_ZN4vllm38concat_and_cache_mla_rope_fused_kernelIN3c104HalfEfLb0EfhLNS_18Fp8KVCacheDataTypeE1EEEvPKlPT_S7_PKS6_PKT0_illlliPT3_S5_iiiiPKf,comdat
.Lfunc_end61:
	.size	_ZN4vllm38concat_and_cache_mla_rope_fused_kernelIN3c104HalfEfLb0EfhLNS_18Fp8KVCacheDataTypeE1EEEvPKlPT_S7_PKS6_PKT0_illlliPT3_S5_iiiiPKf, .Lfunc_end61-_ZN4vllm38concat_and_cache_mla_rope_fused_kernelIN3c104HalfEfLb0EfhLNS_18Fp8KVCacheDataTypeE1EEEvPKlPT_S7_PKS6_PKT0_illlliPT3_S5_iiiiPKf
                                        ; -- End function
	.section	.AMDGPU.csdata,"",@progbits
; Kernel info:
; codeLenInByte = 2452
; NumSgprs: 51
; NumVgprs: 30
; NumAgprs: 0
; TotalNumVgprs: 30
; ScratchSize: 0
; MemoryBound: 0
; FloatMode: 240
; IeeeMode: 1
; LDSByteSize: 4096 bytes/workgroup (compile time only)
; SGPRBlocks: 6
; VGPRBlocks: 3
; NumSGPRsForWavesPerEU: 51
; NumVGPRsForWavesPerEU: 30
; AccumOffset: 32
; Occupancy: 8
; WaveLimiterHint : 1
; COMPUTE_PGM_RSRC2:SCRATCH_EN: 0
; COMPUTE_PGM_RSRC2:USER_SGPR: 4
; COMPUTE_PGM_RSRC2:TRAP_HANDLER: 0
; COMPUTE_PGM_RSRC2:TGID_X_EN: 1
; COMPUTE_PGM_RSRC2:TGID_Y_EN: 0
; COMPUTE_PGM_RSRC2:TGID_Z_EN: 0
; COMPUTE_PGM_RSRC2:TIDIG_COMP_CNT: 2
; COMPUTE_PGM_RSRC3_GFX90A:ACCUM_OFFSET: 7
; COMPUTE_PGM_RSRC3_GFX90A:TG_SPLIT: 0
	.section	.text._ZN4vllm38concat_and_cache_mla_rope_fused_kernelIN3c104HalfES2_Lb1EfhLNS_18Fp8KVCacheDataTypeE1EEEvPKlPT_S7_PKS6_PKT0_illlliPT3_S5_iiiiPKf,"axG",@progbits,_ZN4vllm38concat_and_cache_mla_rope_fused_kernelIN3c104HalfES2_Lb1EfhLNS_18Fp8KVCacheDataTypeE1EEEvPKlPT_S7_PKS6_PKT0_illlliPT3_S5_iiiiPKf,comdat
	.protected	_ZN4vllm38concat_and_cache_mla_rope_fused_kernelIN3c104HalfES2_Lb1EfhLNS_18Fp8KVCacheDataTypeE1EEEvPKlPT_S7_PKS6_PKT0_illlliPT3_S5_iiiiPKf ; -- Begin function _ZN4vllm38concat_and_cache_mla_rope_fused_kernelIN3c104HalfES2_Lb1EfhLNS_18Fp8KVCacheDataTypeE1EEEvPKlPT_S7_PKS6_PKT0_illlliPT3_S5_iiiiPKf
	.globl	_ZN4vllm38concat_and_cache_mla_rope_fused_kernelIN3c104HalfES2_Lb1EfhLNS_18Fp8KVCacheDataTypeE1EEEvPKlPT_S7_PKS6_PKT0_illlliPT3_S5_iiiiPKf
	.p2align	8
	.type	_ZN4vllm38concat_and_cache_mla_rope_fused_kernelIN3c104HalfES2_Lb1EfhLNS_18Fp8KVCacheDataTypeE1EEEvPKlPT_S7_PKS6_PKT0_illlliPT3_S5_iiiiPKf,@function
_ZN4vllm38concat_and_cache_mla_rope_fused_kernelIN3c104HalfES2_Lb1EfhLNS_18Fp8KVCacheDataTypeE1EEEvPKlPT_S7_PKS6_PKT0_illlliPT3_S5_iiiiPKf: ; @_ZN4vllm38concat_and_cache_mla_rope_fused_kernelIN3c104HalfES2_Lb1EfhLNS_18Fp8KVCacheDataTypeE1EEEvPKlPT_S7_PKS6_PKT0_illlliPT3_S5_iiiiPKf
; %bb.0:
	s_load_dwordx2 s[8:9], s[2:3], 0x60
	s_mov_b32 s5, 0
	s_lshl_b64 s[6:7], s[4:5], 3
	s_waitcnt lgkmcnt(0)
	s_add_u32 s8, s8, s6
	s_addc_u32 s9, s9, s7
	s_load_dwordx2 s[30:31], s[8:9], 0x0
	s_waitcnt lgkmcnt(0)
	v_cmp_lt_i64_e64 s[8:9], s[30:31], 0
	s_and_b64 vcc, exec, s[8:9]
	s_cbranch_vccnz .LBB62_13
; %bb.1:
	s_load_dword s5, s[2:3], 0x28
	s_load_dwordx2 s[8:9], s[2:3], 0x0
	s_load_dwordx2 s[26:27], s[2:3], 0x20
	s_load_dwordx4 s[16:19], s[2:3], 0x10
	v_and_b32_e32 v2, 0x3ff, v0
	s_waitcnt lgkmcnt(0)
	s_ashr_i32 s24, s5, 31
	s_add_u32 s6, s8, s6
	s_addc_u32 s7, s9, s7
	s_load_dwordx2 s[22:23], s[6:7], 0x0
	s_load_dwordx8 s[8:15], s[2:3], 0x30
	s_load_dwordx2 s[20:21], s[2:3], 0x58
	s_load_dword s25, s[2:3], 0x50
	s_waitcnt lgkmcnt(0)
	s_mul_i32 s6, s22, s24
	s_mul_hi_u32 s7, s22, s5
	s_add_i32 s6, s7, s6
	s_mul_i32 s7, s23, s5
	s_add_i32 s7, s6, s7
	s_mul_i32 s6, s22, s5
	s_lshl_b64 s[28:29], s[6:7], 1
	s_add_u32 s22, s26, s28
	s_addc_u32 s23, s27, s29
	s_lshr_b32 s6, s5, 31
	s_add_i32 s5, s5, s6
	s_ashr_i32 s24, s5, 1
	s_mul_i32 s5, s24, s25
	v_cmp_gt_i32_e32 vcc, s5, v2
	s_and_saveexec_b64 s[6:7], vcc
	s_cbranch_execz .LBB62_4
; %bb.2:
	s_load_dwordx2 s[34:35], s[2:3], 0x8
	s_load_dword s36, s[2:3], 0x8c
	s_mul_i32 s9, s4, s9
	s_mul_hi_u32 s33, s4, s8
	s_add_i32 s9, s33, s9
	s_mul_i32 s8, s4, s8
	s_ashr_i32 s25, s24, 31
	s_lshl_b64 s[8:9], s[8:9], 1
	s_waitcnt lgkmcnt(0)
	s_add_u32 s8, s34, s8
	s_addc_u32 s9, s35, s9
	s_abs_i32 s33, s24
	v_cvt_f32_u32_e32 v1, s33
	s_sub_i32 s40, 0, s33
	s_mov_b64 s[34:35], 0
	s_and_b32 s38, s36, 0xffff
	v_rcp_iflag_f32_e32 v1, v1
	s_sub_i32 s39, 0, s24
	s_lshl_b64 s[36:37], s[24:25], 1
	v_mov_b32_e32 v4, v2
	v_mul_f32_e32 v1, 0x4f7ffffe, v1
	v_cvt_u32_f32_e32 v1, v1
	v_mul_lo_u32 v3, s40, v1
	v_mul_hi_u32 v3, v1, v3
	v_add_u32_e32 v1, v1, v3
.LBB62_3:                               ; =>This Inner Loop Header: Depth=1
	v_sub_u32_e32 v5, 0, v4
	v_max_i32_e32 v5, v4, v5
	v_mul_hi_u32 v6, v5, v1
	v_mul_lo_u32 v7, v6, s33
	v_sub_u32_e32 v5, v5, v7
	v_add_u32_e32 v8, 1, v6
	v_cmp_le_u32_e32 vcc, s33, v5
	v_subrev_u32_e32 v7, s33, v5
	v_ashrrev_i32_e32 v3, 31, v4
	v_cndmask_b32_e32 v6, v6, v8, vcc
	v_cndmask_b32_e32 v5, v5, v7, vcc
	v_add_u32_e32 v7, 1, v6
	v_cmp_le_u32_e32 vcc, s33, v5
	v_xor_b32_e32 v3, s25, v3
	s_nop 0
	v_cndmask_b32_e32 v5, v6, v7, vcc
	v_xor_b32_e32 v5, v5, v3
	v_sub_u32_e32 v3, v5, v3
	v_mad_u64_u32 v[6:7], s[40:41], s39, v3, v[4:5]
	v_ashrrev_i32_e32 v5, 31, v3
	v_mul_lo_u32 v10, v3, s11
	v_mad_u64_u32 v[8:9], s[40:41], v3, s10, 0
	v_mul_lo_u32 v3, v5, s10
	v_ashrrev_i32_e32 v7, 31, v6
	v_add3_u32 v9, v9, v10, v3
	v_lshlrev_b64 v[6:7], 1, v[6:7]
	v_lshl_add_u64 v[8:9], v[8:9], 1, s[8:9]
	v_lshl_add_u64 v[10:11], s[22:23], 0, v[6:7]
	;; [unrolled: 1-line block ×4, first 2 shown]
	global_load_ushort v3, v[10:11], off
	global_load_ushort v5, v[12:13], off
	v_lshl_add_u64 v[8:9], v[6:7], 0, s[36:37]
	global_load_ushort v10, v[6:7], off
	global_load_ushort v11, v[8:9], off
	v_add_u32_e32 v4, s38, v4
	v_cmp_le_i32_e32 vcc, s5, v4
	s_or_b64 s[34:35], vcc, s[34:35]
	s_waitcnt vmcnt(0)
	v_mul_f16_e32 v12, v5, v11
	v_mul_f16_e32 v11, v3, v11
	v_fma_f16 v3, v3, v10, -v12
	v_fma_f16 v5, v5, v10, v11
	global_store_short v[6:7], v3, off
	global_store_short v[8:9], v5, off
	s_andn2_b64 exec, exec, s[34:35]
	s_cbranch_execnz .LBB62_3
.LBB62_4:
	s_or_b64 exec, exec, s[6:7]
	s_load_dwordx4 s[8:11], s[2:3], 0x68
	s_waitcnt lgkmcnt(0)
	s_ashr_i32 s37, s11, 31
	s_mov_b32 s36, s11
	s_or_b64 s[6:7], s[30:31], s[36:37]
	s_mov_b32 s6, 0
	s_cmp_lg_u64 s[6:7], 0
	s_cbranch_scc0 .LBB62_14
; %bb.5:
	s_add_u32 s6, s36, s37
	s_mov_b32 s38, s37
	s_mov_b32 s39, s37
	s_addc_u32 s7, s37, s37
	s_xor_b64 s[40:41], s[6:7], s[38:39]
	v_cvt_f32_u32_e32 v1, s40
	v_cvt_f32_u32_e32 v3, s41
	s_sub_u32 s5, 0, s40
	s_subb_u32 s6, 0, s41
	v_fmamk_f32 v1, v3, 0x4f800000, v1
	v_rcp_f32_e32 v1, v1
	s_nop 0
	v_mul_f32_e32 v1, 0x5f7ffffc, v1
	v_mul_f32_e32 v3, 0x2f800000, v1
	v_trunc_f32_e32 v3, v3
	v_fmamk_f32 v1, v3, 0xcf800000, v1
	v_cvt_u32_f32_e32 v3, v3
	v_cvt_u32_f32_e32 v1, v1
	v_readfirstlane_b32 s7, v3
	v_readfirstlane_b32 s11, v1
	s_mul_i32 s25, s5, s7
	s_mul_hi_u32 s42, s5, s11
	s_mul_i32 s33, s6, s11
	s_add_i32 s25, s42, s25
	s_add_i32 s25, s25, s33
	s_mul_i32 s43, s5, s11
	s_mul_hi_u32 s33, s11, s25
	s_mul_i32 s42, s11, s25
	s_mul_hi_u32 s11, s11, s43
	s_add_u32 s11, s11, s42
	s_addc_u32 s33, 0, s33
	s_mul_hi_u32 s44, s7, s43
	s_mul_i32 s43, s7, s43
	s_add_u32 s11, s11, s43
	s_mul_hi_u32 s42, s7, s25
	s_addc_u32 s11, s33, s44
	s_addc_u32 s33, s42, 0
	s_mul_i32 s25, s7, s25
	s_add_u32 s11, s11, s25
	s_addc_u32 s25, 0, s33
	v_add_co_u32_e32 v1, vcc, s11, v1
	s_cmp_lg_u64 vcc, 0
	s_addc_u32 s7, s7, s25
	v_readfirstlane_b32 s25, v1
	s_mul_i32 s11, s5, s7
	s_mul_hi_u32 s33, s5, s25
	s_add_i32 s11, s33, s11
	s_mul_i32 s6, s6, s25
	s_add_i32 s11, s11, s6
	s_mul_i32 s5, s5, s25
	s_mul_hi_u32 s33, s7, s5
	s_mul_i32 s42, s7, s5
	s_mul_i32 s44, s25, s11
	s_mul_hi_u32 s5, s25, s5
	s_mul_hi_u32 s43, s25, s11
	s_add_u32 s5, s5, s44
	s_addc_u32 s25, 0, s43
	s_add_u32 s5, s5, s42
	s_mul_hi_u32 s6, s7, s11
	s_addc_u32 s5, s25, s33
	s_addc_u32 s6, s6, 0
	s_mul_i32 s11, s7, s11
	s_add_u32 s5, s5, s11
	s_addc_u32 s6, 0, s6
	v_add_co_u32_e32 v1, vcc, s5, v1
	s_cmp_lg_u64 vcc, 0
	s_addc_u32 s5, s7, s6
	s_ashr_i32 s42, s31, 31
	s_add_u32 s6, s30, s42
	s_mov_b32 s43, s42
	s_addc_u32 s7, s31, s42
	s_xor_b64 s[44:45], s[6:7], s[42:43]
	v_readfirstlane_b32 s11, v1
	s_mul_i32 s7, s44, s5
	s_mul_hi_u32 s25, s44, s11
	s_mul_hi_u32 s6, s44, s5
	s_add_u32 s7, s25, s7
	s_addc_u32 s6, 0, s6
	s_mul_hi_u32 s33, s45, s11
	s_mul_i32 s11, s45, s11
	s_add_u32 s7, s7, s11
	s_mul_hi_u32 s25, s45, s5
	s_addc_u32 s6, s6, s33
	s_addc_u32 s7, s25, 0
	s_mul_i32 s5, s45, s5
	s_add_u32 s5, s6, s5
	s_addc_u32 s11, 0, s7
	s_mul_i32 s6, s40, s11
	s_mul_hi_u32 s7, s40, s5
	s_add_i32 s6, s7, s6
	s_mul_i32 s7, s41, s5
	s_add_i32 s25, s6, s7
	s_mul_i32 s7, s40, s5
	v_mov_b32_e32 v1, s7
	s_sub_i32 s6, s45, s25
	v_sub_co_u32_e32 v1, vcc, s44, v1
	s_cmp_lg_u64 vcc, 0
	s_subb_u32 s33, s6, s41
	v_subrev_co_u32_e64 v3, s[6:7], s40, v1
	s_cmp_lg_u64 s[6:7], 0
	s_subb_u32 s6, s33, 0
	s_cmp_ge_u32 s6, s41
	v_readfirstlane_b32 s33, v3
	s_cselect_b32 s7, -1, 0
	s_cmp_ge_u32 s33, s40
	s_cselect_b32 s33, -1, 0
	s_cmp_eq_u32 s6, s41
	s_cselect_b32 s6, s33, s7
	s_add_u32 s7, s5, 1
	s_addc_u32 s33, s11, 0
	s_add_u32 s44, s5, 2
	s_addc_u32 s46, s11, 0
	s_cmp_lg_u32 s6, 0
	s_cselect_b32 s6, s44, s7
	s_cselect_b32 s7, s46, s33
	s_cmp_lg_u64 vcc, 0
	s_subb_u32 s25, s45, s25
	s_cmp_ge_u32 s25, s41
	v_readfirstlane_b32 s44, v1
	s_cselect_b32 s33, -1, 0
	s_cmp_ge_u32 s44, s40
	s_cselect_b32 s40, -1, 0
	s_cmp_eq_u32 s25, s41
	s_cselect_b32 s25, s40, s33
	s_cmp_lg_u32 s25, 0
	s_cselect_b32 s7, s7, s11
	s_cselect_b32 s6, s6, s5
	s_xor_b64 s[38:39], s[42:43], s[38:39]
	s_xor_b64 s[6:7], s[6:7], s[38:39]
	s_sub_u32 s6, s6, s38
	s_subb_u32 s7, s7, s39
	s_cbranch_execnz .LBB62_7
.LBB62_6:
	v_cvt_f32_u32_e32 v1, s36
	s_sub_i32 s5, 0, s36
	s_mov_b32 s7, 0
	v_rcp_iflag_f32_e32 v1, v1
	s_nop 0
	v_mul_f32_e32 v1, 0x4f7ffffe, v1
	v_cvt_u32_f32_e32 v1, v1
	s_nop 0
	v_readfirstlane_b32 s6, v1
	s_mul_i32 s5, s5, s6
	s_mul_hi_u32 s5, s6, s5
	s_add_i32 s6, s6, s5
	s_mul_hi_u32 s5, s30, s6
	s_mul_i32 s11, s5, s36
	s_sub_i32 s11, s30, s11
	s_add_i32 s6, s5, 1
	s_sub_i32 s25, s11, s36
	s_cmp_ge_u32 s11, s36
	s_cselect_b32 s5, s6, s5
	s_cselect_b32 s11, s25, s11
	s_add_i32 s6, s5, 1
	s_cmp_ge_u32 s11, s36
	s_cselect_b32 s6, s6, s5
.LBB62_7:
	s_mul_i32 s5, s6, s37
	s_mul_hi_u32 s11, s6, s36
	s_load_dwordx2 s[34:35], s[2:3], 0x78
	s_add_i32 s5, s11, s5
	s_mul_i32 s11, s7, s36
	s_add_i32 s5, s5, s11
	s_mul_i32 s11, s6, s36
	s_sub_u32 s11, s30, s11
	s_subb_u32 s5, s31, s5
	v_cmp_gt_i32_e32 vcc, s24, v2
	s_mul_hi_u32 s38, s6, s8
	s_mul_i32 s39, s7, s8
	s_mul_i32 s40, s6, s8
	s_mul_hi_u32 s33, s11, s9
	s_mul_i32 s5, s5, s9
	s_mul_i32 s7, s11, s9
	s_and_saveexec_b64 s[30:31], vcc
	s_cbranch_execz .LBB62_10
; %bb.8:
	s_load_dwordx2 s[0:1], s[0:1], 0x4
	v_bfe_u32 v1, v0, 10, 10
	s_mul_i32 s13, s4, s13
	s_ashr_i32 s25, s24, 31
	s_load_dword s37, s[2:3], 0x8c
	s_waitcnt lgkmcnt(0)
	s_lshr_b32 s0, s0, 16
	s_mul_i32 s0, s0, s1
	v_mul_lo_u32 v3, s0, v2
	s_mul_hi_u32 s0, s4, s12
	v_mad_u32_u24 v1, v1, s1, v3
	s_add_i32 s1, s0, s13
	s_mul_i32 s0, s4, s12
	s_lshl_b64 s[0:1], s[0:1], 1
	s_add_u32 s12, s16, s0
	s_addc_u32 s13, s17, s1
	s_ashr_i32 s36, s8, 31
	s_mul_i32 s36, s6, s36
	s_add_i32 s36, s38, s36
	s_add_i32 s43, s36, s39
	s_ashr_i32 s36, s9, 31
	s_mul_i32 s36, s11, s36
	s_add_i32 s36, s33, s36
	s_add_i32 s46, s36, s5
	s_and_b32 s36, s37, 0xffff
	s_ashr_i32 s47, s10, 31
	s_lshl_b32 s42, s36, 1
	s_lshl_b64 s[44:45], s[24:25], 1
	s_add_u32 s28, s28, s44
	s_addc_u32 s29, s29, s45
	s_add_u32 s26, s26, s28
	s_addc_u32 s27, s27, s29
	;; [unrolled: 2-line block ×5, first 2 shown]
	s_load_dword s41, s[34:35], 0x0
	s_add_u32 s0, s0, s10
	s_addc_u32 s1, s1, s47
	v_bfe_u32 v0, v0, 20, 10
	s_add_u32 s0, s20, s0
	v_add_lshl_u32 v6, v1, v0, 1
	v_mov_b32_e32 v3, 0
	s_addc_u32 s1, s21, s1
	v_add_u32_e32 v7, 0x800, v6
	s_mov_b32 s37, 0
	v_lshlrev_b32_e32 v0, 1, v2
	v_mov_b32_e32 v1, v3
	v_lshl_add_u64 v[4:5], s[0:1], 0, v[2:3]
	s_mov_b64 s[28:29], 0
	s_mov_b32 s43, 0x7f800000
	s_mov_b32 s44, 0x43700000
	v_mov_b32_e32 v3, 0xc3700000
	v_mov_b32_e32 v8, v2
.LBB62_9:                               ; =>This Inner Loop Header: Depth=1
	v_lshl_add_u64 v[12:13], s[26:27], 0, v[0:1]
	v_lshl_add_u64 v[10:11], s[22:23], 0, v[0:1]
	;; [unrolled: 1-line block ×4, first 2 shown]
	global_load_ushort v9, v[12:13], off
	global_load_ushort v18, v[16:17], off
	global_load_ushort v19, v[10:11], off
	global_load_ushort v20, v[14:15], off
	s_add_u32 s22, s22, s42
	s_addc_u32 s23, s23, 0
	s_add_u32 s26, s26, s42
	s_addc_u32 s27, s27, 0
	;; [unrolled: 2-line block ×3, first 2 shown]
	v_add_u32_e32 v8, s36, v8
	s_add_u32 s12, s12, s42
	v_cmp_le_i32_e32 vcc, s24, v8
	s_addc_u32 s13, s13, 0
	s_or_b64 s[28:29], vcc, s[28:29]
	v_mov_b32_e32 v12, 0
	v_mov_b32_e32 v13, 0
	v_lshl_add_u64 v[10:11], v[4:5], 0, s[24:25]
	s_waitcnt vmcnt(2)
	v_mul_f16_e32 v21, v9, v18
	s_waitcnt vmcnt(1)
	v_mul_f16_e32 v18, v19, v18
	s_waitcnt vmcnt(0)
	v_fma_f16 v19, v19, v20, -v21
	v_fma_f16 v9, v9, v20, v18
	ds_write_b16 v7, v19
	ds_write_b16 v6, v9
	global_store_short v[14:15], v19, off
	ds_read_b32 v14, v7
	ds_read_b32 v15, v6
	s_waitcnt lgkmcnt(0)
	v_div_scale_f32 v18, s[0:1], s41, s41, v14
	v_div_scale_f32 v20, s[0:1], s41, s41, v15
	v_rcp_f32_e32 v22, v18
	v_rcp_f32_e32 v23, v20
	v_div_scale_f32 v19, vcc, v14, s41, v14
	v_fma_f32 v24, -v18, v22, 1.0
	v_fma_f32 v25, -v20, v23, 1.0
	v_fmac_f32_e32 v22, v24, v22
	v_div_scale_f32 v21, s[0:1], v15, s41, v15
	v_fmac_f32_e32 v23, v25, v23
	v_mul_f32_e32 v24, v19, v22
	v_mul_f32_e32 v25, v21, v23
	v_fma_f32 v26, -v18, v24, v19
	v_fma_f32 v27, -v20, v25, v21
	v_fmac_f32_e32 v24, v26, v22
	v_fmac_f32_e32 v25, v27, v23
	v_fma_f32 v18, -v18, v24, v19
	v_fma_f32 v19, -v20, v25, v21
	v_div_fmas_f32 v18, v18, v22, v24
	s_mov_b64 vcc, s[0:1]
	v_div_fixup_f32 v14, v18, s41, v14
	v_div_fmas_f32 v18, v19, v23, v25
	v_med3_f32 v19, v14, s44, v3
	v_div_fixup_f32 v15, v18, s41, v15
	v_cmp_nlg_f32_e64 vcc, |v14|, s43
	v_med3_f32 v18, v15, s44, v3
	s_nop 0
	v_cndmask_b32_e32 v14, v19, v14, vcc
	v_cmp_nlg_f32_e64 vcc, |v15|, s43
	v_cvt_pk_fp8_f32 v12, v14, v14
	global_store_short v[16:17], v9, off
	global_store_byte v[4:5], v12, off
	v_cndmask_b32_e32 v14, v18, v15, vcc
	v_cvt_pk_fp8_f32 v13, v14, v14
	v_lshl_add_u64 v[4:5], v[4:5], 0, s[36:37]
	global_store_byte v[10:11], v13, off
	s_andn2_b64 exec, exec, s[28:29]
	s_cbranch_execnz .LBB62_9
.LBB62_10:
	s_or_b64 exec, exec, s[30:31]
	v_cmp_gt_i32_e32 vcc, s10, v2
	s_and_saveexec_b64 s[0:1], vcc
	s_cbranch_execz .LBB62_13
; %bb.11:
	s_mul_i32 s0, s4, s15
	s_mul_hi_u32 s1, s4, s14
	s_add_i32 s1, s1, s0
	s_mul_i32 s0, s4, s14
	s_lshl_b64 s[0:1], s[0:1], 1
	s_add_u32 s0, s18, s0
	s_addc_u32 s1, s19, s1
	s_ashr_i32 s4, s8, 31
	s_mul_i32 s4, s6, s4
	s_add_i32 s4, s38, s4
	s_add_i32 s4, s4, s39
	s_add_u32 s6, s20, s40
	s_addc_u32 s4, s21, s4
	s_ashr_i32 s8, s9, 31
	s_mul_i32 s11, s11, s8
	s_add_i32 s8, s33, s11
	s_load_dword s9, s[2:3], 0x8c
	s_add_i32 s8, s8, s5
	s_add_u32 s2, s6, s7
	s_waitcnt lgkmcnt(0)
	s_load_dword s6, s[34:35], 0x0
	s_addc_u32 s3, s4, s8
	s_and_b32 s7, s9, 0xffff
	s_mov_b64 s[4:5], 0
	s_mov_b32 s8, 0x7f800000
	s_mov_b32 s9, 0x43700000
	v_mov_b32_e32 v0, 0xc3700000
.LBB62_12:                              ; =>This Inner Loop Header: Depth=1
	v_ashrrev_i32_e32 v3, 31, v2
	v_lshl_add_u64 v[4:5], v[2:3], 1, s[0:1]
	global_load_dword v1, v[4:5], off
	v_mov_b32_e32 v6, 0
	s_waitcnt vmcnt(0) lgkmcnt(0)
	v_div_scale_f32 v4, s[12:13], s6, s6, v1
	v_rcp_f32_e32 v5, v4
	v_div_scale_f32 v7, vcc, v1, s6, v1
	v_fma_f32 v8, -v4, v5, 1.0
	v_fmac_f32_e32 v5, v8, v5
	v_mul_f32_e32 v8, v7, v5
	v_fma_f32 v9, -v4, v8, v7
	v_fmac_f32_e32 v8, v9, v5
	v_fma_f32 v4, -v4, v8, v7
	v_div_fmas_f32 v4, v4, v5, v8
	v_div_fixup_f32 v1, v4, s6, v1
	v_med3_f32 v4, v1, s9, v0
	v_cmp_nlg_f32_e64 vcc, |v1|, s8
	s_nop 1
	v_cndmask_b32_e32 v1, v4, v1, vcc
	v_cvt_pk_fp8_f32 v6, v1, v1
	v_lshl_add_u64 v[4:5], s[2:3], 0, v[2:3]
	v_add_u32_e32 v2, s7, v2
	v_cmp_le_i32_e32 vcc, s10, v2
	s_or_b64 s[4:5], vcc, s[4:5]
	global_store_byte v[4:5], v6, off
	s_andn2_b64 exec, exec, s[4:5]
	s_cbranch_execnz .LBB62_12
.LBB62_13:
	s_endpgm
.LBB62_14:
                                        ; implicit-def: $sgpr6_sgpr7
	s_branch .LBB62_6
	.section	.rodata,"a",@progbits
	.p2align	6, 0x0
	.amdhsa_kernel _ZN4vllm38concat_and_cache_mla_rope_fused_kernelIN3c104HalfES2_Lb1EfhLNS_18Fp8KVCacheDataTypeE1EEEvPKlPT_S7_PKS6_PKT0_illlliPT3_S5_iiiiPKf
		.amdhsa_group_segment_fixed_size 4096
		.amdhsa_private_segment_fixed_size 0
		.amdhsa_kernarg_size 384
		.amdhsa_user_sgpr_count 4
		.amdhsa_user_sgpr_dispatch_ptr 1
		.amdhsa_user_sgpr_queue_ptr 0
		.amdhsa_user_sgpr_kernarg_segment_ptr 1
		.amdhsa_user_sgpr_dispatch_id 0
		.amdhsa_user_sgpr_kernarg_preload_length 0
		.amdhsa_user_sgpr_kernarg_preload_offset 0
		.amdhsa_user_sgpr_private_segment_size 0
		.amdhsa_uses_dynamic_stack 0
		.amdhsa_enable_private_segment 0
		.amdhsa_system_sgpr_workgroup_id_x 1
		.amdhsa_system_sgpr_workgroup_id_y 0
		.amdhsa_system_sgpr_workgroup_id_z 0
		.amdhsa_system_sgpr_workgroup_info 0
		.amdhsa_system_vgpr_workitem_id 2
		.amdhsa_next_free_vgpr 28
		.amdhsa_next_free_sgpr 48
		.amdhsa_accum_offset 28
		.amdhsa_reserve_vcc 1
		.amdhsa_float_round_mode_32 0
		.amdhsa_float_round_mode_16_64 0
		.amdhsa_float_denorm_mode_32 3
		.amdhsa_float_denorm_mode_16_64 3
		.amdhsa_dx10_clamp 1
		.amdhsa_ieee_mode 1
		.amdhsa_fp16_overflow 0
		.amdhsa_tg_split 0
		.amdhsa_exception_fp_ieee_invalid_op 0
		.amdhsa_exception_fp_denorm_src 0
		.amdhsa_exception_fp_ieee_div_zero 0
		.amdhsa_exception_fp_ieee_overflow 0
		.amdhsa_exception_fp_ieee_underflow 0
		.amdhsa_exception_fp_ieee_inexact 0
		.amdhsa_exception_int_div_zero 0
	.end_amdhsa_kernel
	.section	.text._ZN4vllm38concat_and_cache_mla_rope_fused_kernelIN3c104HalfES2_Lb1EfhLNS_18Fp8KVCacheDataTypeE1EEEvPKlPT_S7_PKS6_PKT0_illlliPT3_S5_iiiiPKf,"axG",@progbits,_ZN4vllm38concat_and_cache_mla_rope_fused_kernelIN3c104HalfES2_Lb1EfhLNS_18Fp8KVCacheDataTypeE1EEEvPKlPT_S7_PKS6_PKT0_illlliPT3_S5_iiiiPKf,comdat
.Lfunc_end62:
	.size	_ZN4vllm38concat_and_cache_mla_rope_fused_kernelIN3c104HalfES2_Lb1EfhLNS_18Fp8KVCacheDataTypeE1EEEvPKlPT_S7_PKS6_PKT0_illlliPT3_S5_iiiiPKf, .Lfunc_end62-_ZN4vllm38concat_and_cache_mla_rope_fused_kernelIN3c104HalfES2_Lb1EfhLNS_18Fp8KVCacheDataTypeE1EEEvPKlPT_S7_PKS6_PKT0_illlliPT3_S5_iiiiPKf
                                        ; -- End function
	.section	.AMDGPU.csdata,"",@progbits
; Kernel info:
; codeLenInByte = 2424
; NumSgprs: 54
; NumVgprs: 28
; NumAgprs: 0
; TotalNumVgprs: 28
; ScratchSize: 0
; MemoryBound: 0
; FloatMode: 240
; IeeeMode: 1
; LDSByteSize: 4096 bytes/workgroup (compile time only)
; SGPRBlocks: 6
; VGPRBlocks: 3
; NumSGPRsForWavesPerEU: 54
; NumVGPRsForWavesPerEU: 28
; AccumOffset: 28
; Occupancy: 8
; WaveLimiterHint : 1
; COMPUTE_PGM_RSRC2:SCRATCH_EN: 0
; COMPUTE_PGM_RSRC2:USER_SGPR: 4
; COMPUTE_PGM_RSRC2:TRAP_HANDLER: 0
; COMPUTE_PGM_RSRC2:TGID_X_EN: 1
; COMPUTE_PGM_RSRC2:TGID_Y_EN: 0
; COMPUTE_PGM_RSRC2:TGID_Z_EN: 0
; COMPUTE_PGM_RSRC2:TIDIG_COMP_CNT: 2
; COMPUTE_PGM_RSRC3_GFX90A:ACCUM_OFFSET: 6
; COMPUTE_PGM_RSRC3_GFX90A:TG_SPLIT: 0
	.section	.text._ZN4vllm38concat_and_cache_mla_rope_fused_kernelIN3c104HalfES2_Lb0EfhLNS_18Fp8KVCacheDataTypeE1EEEvPKlPT_S7_PKS6_PKT0_illlliPT3_S5_iiiiPKf,"axG",@progbits,_ZN4vllm38concat_and_cache_mla_rope_fused_kernelIN3c104HalfES2_Lb0EfhLNS_18Fp8KVCacheDataTypeE1EEEvPKlPT_S7_PKS6_PKT0_illlliPT3_S5_iiiiPKf,comdat
	.protected	_ZN4vllm38concat_and_cache_mla_rope_fused_kernelIN3c104HalfES2_Lb0EfhLNS_18Fp8KVCacheDataTypeE1EEEvPKlPT_S7_PKS6_PKT0_illlliPT3_S5_iiiiPKf ; -- Begin function _ZN4vllm38concat_and_cache_mla_rope_fused_kernelIN3c104HalfES2_Lb0EfhLNS_18Fp8KVCacheDataTypeE1EEEvPKlPT_S7_PKS6_PKT0_illlliPT3_S5_iiiiPKf
	.globl	_ZN4vllm38concat_and_cache_mla_rope_fused_kernelIN3c104HalfES2_Lb0EfhLNS_18Fp8KVCacheDataTypeE1EEEvPKlPT_S7_PKS6_PKT0_illlliPT3_S5_iiiiPKf
	.p2align	8
	.type	_ZN4vllm38concat_and_cache_mla_rope_fused_kernelIN3c104HalfES2_Lb0EfhLNS_18Fp8KVCacheDataTypeE1EEEvPKlPT_S7_PKS6_PKT0_illlliPT3_S5_iiiiPKf,@function
_ZN4vllm38concat_and_cache_mla_rope_fused_kernelIN3c104HalfES2_Lb0EfhLNS_18Fp8KVCacheDataTypeE1EEEvPKlPT_S7_PKS6_PKT0_illlliPT3_S5_iiiiPKf: ; @_ZN4vllm38concat_and_cache_mla_rope_fused_kernelIN3c104HalfES2_Lb0EfhLNS_18Fp8KVCacheDataTypeE1EEEvPKlPT_S7_PKS6_PKT0_illlliPT3_S5_iiiiPKf
; %bb.0:
	s_load_dwordx2 s[8:9], s[2:3], 0x60
	s_mov_b32 s5, 0
	s_lshl_b64 s[6:7], s[4:5], 3
	s_waitcnt lgkmcnt(0)
	s_add_u32 s8, s8, s6
	s_addc_u32 s9, s9, s7
	s_load_dwordx2 s[28:29], s[8:9], 0x0
	s_waitcnt lgkmcnt(0)
	v_cmp_lt_i64_e64 s[8:9], s[28:29], 0
	s_and_b64 vcc, exec, s[8:9]
	s_cbranch_vccnz .LBB63_13
; %bb.1:
	s_load_dword s5, s[2:3], 0x28
	s_load_dwordx2 s[8:9], s[2:3], 0x0
	s_load_dwordx2 s[24:25], s[2:3], 0x20
	s_load_dwordx4 s[16:19], s[2:3], 0x10
	v_and_b32_e32 v2, 0x3ff, v0
	s_waitcnt lgkmcnt(0)
	s_ashr_i32 s26, s5, 31
	s_add_u32 s6, s8, s6
	s_addc_u32 s7, s9, s7
	s_load_dwordx2 s[22:23], s[6:7], 0x0
	s_load_dwordx8 s[8:15], s[2:3], 0x30
	s_load_dwordx2 s[20:21], s[2:3], 0x58
	s_load_dword s30, s[2:3], 0x50
	v_lshlrev_b32_e32 v4, 1, v2
	s_waitcnt lgkmcnt(0)
	s_mul_i32 s6, s22, s26
	s_mul_hi_u32 s7, s22, s5
	s_add_i32 s6, s7, s6
	s_mul_i32 s7, s23, s5
	s_add_i32 s27, s6, s7
	s_lshr_b32 s6, s5, 31
	s_mul_i32 s26, s22, s5
	s_add_i32 s5, s5, s6
	s_ashr_i32 s22, s5, 1
	s_mul_i32 s5, s22, s30
	v_cmp_gt_i32_e32 vcc, s5, v2
	s_and_saveexec_b64 s[6:7], vcc
	s_cbranch_execz .LBB63_4
; %bb.2:
	s_load_dwordx2 s[34:35], s[2:3], 0x8
	s_load_dword s36, s[2:3], 0x8c
	s_lshl_b64 s[30:31], s[26:27], 1
	s_add_u32 s30, s24, s30
	s_mul_i32 s9, s4, s9
	s_mul_hi_u32 s33, s4, s8
	s_addc_u32 s31, s25, s31
	s_add_i32 s9, s33, s9
	s_mul_i32 s8, s4, s8
	s_ashr_i32 s23, s22, 31
	s_lshl_b64 s[8:9], s[8:9], 1
	s_waitcnt lgkmcnt(0)
	s_add_u32 s8, s34, s8
	s_addc_u32 s9, s35, s9
	s_abs_i32 s33, s22
	v_cvt_f32_u32_e32 v1, s33
	s_sub_i32 s34, 0, s33
	s_and_b32 s36, s36, 0xffff
	s_sub_i32 s37, 0, s22
	v_rcp_iflag_f32_e32 v1, v1
	s_lshl_b32 s39, s36, 1
	v_mov_b32_e32 v6, v4
	v_mov_b32_e32 v8, v2
	v_mul_f32_e32 v1, 0x4f7ffffe, v1
	v_cvt_u32_f32_e32 v1, v1
	v_mul_lo_u32 v3, s34, v1
	v_mul_hi_u32 v3, v1, v3
	s_lshl_b32 s34, s22, 1
	v_add_u32_e32 v1, v1, v3
	s_sub_i32 s38, 0, s34
	s_mov_b64 s[34:35], 0
.LBB63_3:                               ; =>This Inner Loop Header: Depth=1
	v_sub_u32_e32 v5, 0, v8
	v_max_i32_e32 v5, v8, v5
	v_mul_hi_u32 v7, v5, v1
	v_mul_lo_u32 v9, v7, s33
	v_sub_u32_e32 v5, v5, v9
	v_add_u32_e32 v10, 1, v7
	v_cmp_le_u32_e32 vcc, s33, v5
	v_subrev_u32_e32 v9, s33, v5
	v_ashrrev_i32_e32 v3, 31, v8
	v_cndmask_b32_e32 v7, v7, v10, vcc
	v_cndmask_b32_e32 v5, v5, v9, vcc
	v_add_u32_e32 v9, 1, v7
	v_cmp_le_u32_e32 vcc, s33, v5
	v_xor_b32_e32 v3, s23, v3
	s_nop 0
	v_cndmask_b32_e32 v5, v7, v9, vcc
	v_xor_b32_e32 v5, v5, v3
	v_sub_u32_e32 v3, v5, v3
	v_ashrrev_i32_e32 v5, 31, v3
	v_mul_lo_u32 v7, v3, s11
	v_mad_u64_u32 v[10:11], s[40:41], s37, v3, v[8:9]
	v_mad_u64_u32 v[12:13], s[40:41], v3, s10, 0
	;; [unrolled: 1-line block ×3, first 2 shown]
	v_mul_lo_u32 v3, v5, s10
	v_ashrrev_i32_e32 v11, 31, v10
	v_add3_u32 v13, v13, v7, v3
	v_ashrrev_i32_e32 v15, 31, v14
	v_lshl_add_u64 v[10:11], v[10:11], 1, s[30:31]
	v_lshl_add_u64 v[12:13], v[12:13], 1, s[8:9]
	;; [unrolled: 1-line block ×3, first 2 shown]
	global_load_ushort v3, v[10:11], off
	global_load_ushort v5, v[16:17], off
	v_lshl_add_u64 v[10:11], v[14:15], 1, v[12:13]
	global_load_dword v7, v[10:11], off
	v_add_u32_e32 v8, s36, v8
	v_cmp_le_i32_e32 vcc, s5, v8
	v_add_u32_e32 v6, s39, v6
	s_or_b64 s[34:35], vcc, s[34:35]
	s_waitcnt vmcnt(0)
	v_mul_f16_sdwa v9, v5, v7 dst_sel:DWORD dst_unused:UNUSED_PAD src0_sel:DWORD src1_sel:WORD_1
	v_mul_f16_sdwa v12, v3, v7 dst_sel:DWORD dst_unused:UNUSED_PAD src0_sel:DWORD src1_sel:WORD_1
	v_fma_f16 v3, v3, v7, -v9
	v_fma_f16 v5, v5, v7, v12
	v_pack_b32_f16 v3, v3, v5
	global_store_dword v[10:11], v3, off
	s_andn2_b64 exec, exec, s[34:35]
	s_cbranch_execnz .LBB63_3
.LBB63_4:
	s_or_b64 exec, exec, s[6:7]
	s_load_dwordx4 s[8:11], s[2:3], 0x68
	s_waitcnt lgkmcnt(0)
	s_ashr_i32 s35, s11, 31
	s_mov_b32 s34, s11
	s_or_b64 s[6:7], s[28:29], s[34:35]
	s_mov_b32 s6, 0
	s_cmp_lg_u64 s[6:7], 0
	s_cbranch_scc0 .LBB63_14
; %bb.5:
	s_add_u32 s6, s34, s35
	s_mov_b32 s36, s35
	s_mov_b32 s37, s35
	s_addc_u32 s7, s35, s35
	s_xor_b64 s[38:39], s[6:7], s[36:37]
	v_cvt_f32_u32_e32 v1, s38
	v_cvt_f32_u32_e32 v3, s39
	s_sub_u32 s5, 0, s38
	s_subb_u32 s6, 0, s39
	v_fmamk_f32 v1, v3, 0x4f800000, v1
	v_rcp_f32_e32 v1, v1
	s_nop 0
	v_mul_f32_e32 v1, 0x5f7ffffc, v1
	v_mul_f32_e32 v3, 0x2f800000, v1
	v_trunc_f32_e32 v3, v3
	v_fmamk_f32 v1, v3, 0xcf800000, v1
	v_cvt_u32_f32_e32 v3, v3
	v_cvt_u32_f32_e32 v1, v1
	v_readfirstlane_b32 s7, v3
	v_readfirstlane_b32 s11, v1
	s_mul_i32 s23, s5, s7
	s_mul_hi_u32 s40, s5, s11
	s_mul_i32 s33, s6, s11
	s_add_i32 s23, s40, s23
	s_add_i32 s23, s23, s33
	s_mul_i32 s41, s5, s11
	s_mul_hi_u32 s33, s11, s23
	s_mul_i32 s40, s11, s23
	s_mul_hi_u32 s11, s11, s41
	s_add_u32 s11, s11, s40
	s_addc_u32 s33, 0, s33
	s_mul_hi_u32 s42, s7, s41
	s_mul_i32 s41, s7, s41
	s_add_u32 s11, s11, s41
	s_mul_hi_u32 s40, s7, s23
	s_addc_u32 s11, s33, s42
	s_addc_u32 s33, s40, 0
	s_mul_i32 s23, s7, s23
	s_add_u32 s11, s11, s23
	s_addc_u32 s23, 0, s33
	v_add_co_u32_e32 v1, vcc, s11, v1
	s_cmp_lg_u64 vcc, 0
	s_addc_u32 s7, s7, s23
	v_readfirstlane_b32 s23, v1
	s_mul_i32 s11, s5, s7
	s_mul_hi_u32 s33, s5, s23
	s_add_i32 s11, s33, s11
	s_mul_i32 s6, s6, s23
	s_add_i32 s11, s11, s6
	s_mul_i32 s5, s5, s23
	s_mul_hi_u32 s33, s7, s5
	s_mul_i32 s40, s7, s5
	s_mul_i32 s42, s23, s11
	s_mul_hi_u32 s5, s23, s5
	s_mul_hi_u32 s41, s23, s11
	s_add_u32 s5, s5, s42
	s_addc_u32 s23, 0, s41
	s_add_u32 s5, s5, s40
	s_mul_hi_u32 s6, s7, s11
	s_addc_u32 s5, s23, s33
	s_addc_u32 s6, s6, 0
	s_mul_i32 s11, s7, s11
	s_add_u32 s5, s5, s11
	s_addc_u32 s6, 0, s6
	v_add_co_u32_e32 v1, vcc, s5, v1
	s_cmp_lg_u64 vcc, 0
	s_addc_u32 s5, s7, s6
	s_ashr_i32 s40, s29, 31
	s_add_u32 s6, s28, s40
	s_mov_b32 s41, s40
	s_addc_u32 s7, s29, s40
	s_xor_b64 s[42:43], s[6:7], s[40:41]
	v_readfirstlane_b32 s11, v1
	s_mul_i32 s7, s42, s5
	s_mul_hi_u32 s23, s42, s11
	s_mul_hi_u32 s6, s42, s5
	s_add_u32 s7, s23, s7
	s_addc_u32 s6, 0, s6
	s_mul_hi_u32 s33, s43, s11
	s_mul_i32 s11, s43, s11
	s_add_u32 s7, s7, s11
	s_mul_hi_u32 s23, s43, s5
	s_addc_u32 s6, s6, s33
	s_addc_u32 s7, s23, 0
	s_mul_i32 s5, s43, s5
	s_add_u32 s5, s6, s5
	s_addc_u32 s11, 0, s7
	s_mul_i32 s6, s38, s11
	s_mul_hi_u32 s7, s38, s5
	s_add_i32 s6, s7, s6
	s_mul_i32 s7, s39, s5
	s_add_i32 s23, s6, s7
	s_mul_i32 s7, s38, s5
	v_mov_b32_e32 v1, s7
	s_sub_i32 s6, s43, s23
	v_sub_co_u32_e32 v1, vcc, s42, v1
	s_cmp_lg_u64 vcc, 0
	s_subb_u32 s33, s6, s39
	v_subrev_co_u32_e64 v3, s[6:7], s38, v1
	s_cmp_lg_u64 s[6:7], 0
	s_subb_u32 s6, s33, 0
	s_cmp_ge_u32 s6, s39
	v_readfirstlane_b32 s33, v3
	s_cselect_b32 s7, -1, 0
	s_cmp_ge_u32 s33, s38
	s_cselect_b32 s33, -1, 0
	s_cmp_eq_u32 s6, s39
	s_cselect_b32 s6, s33, s7
	s_add_u32 s7, s5, 1
	s_addc_u32 s33, s11, 0
	s_add_u32 s42, s5, 2
	s_addc_u32 s44, s11, 0
	s_cmp_lg_u32 s6, 0
	s_cselect_b32 s6, s42, s7
	s_cselect_b32 s7, s44, s33
	s_cmp_lg_u64 vcc, 0
	s_subb_u32 s23, s43, s23
	s_cmp_ge_u32 s23, s39
	v_readfirstlane_b32 s42, v1
	s_cselect_b32 s33, -1, 0
	s_cmp_ge_u32 s42, s38
	s_cselect_b32 s38, -1, 0
	s_cmp_eq_u32 s23, s39
	s_cselect_b32 s23, s38, s33
	s_cmp_lg_u32 s23, 0
	s_cselect_b32 s7, s7, s11
	s_cselect_b32 s6, s6, s5
	s_xor_b64 s[36:37], s[40:41], s[36:37]
	s_xor_b64 s[6:7], s[6:7], s[36:37]
	s_sub_u32 s6, s6, s36
	s_subb_u32 s7, s7, s37
	s_cbranch_execnz .LBB63_7
.LBB63_6:
	v_cvt_f32_u32_e32 v1, s34
	s_sub_i32 s5, 0, s34
	s_mov_b32 s7, 0
	v_rcp_iflag_f32_e32 v1, v1
	s_nop 0
	v_mul_f32_e32 v1, 0x4f7ffffe, v1
	v_cvt_u32_f32_e32 v1, v1
	s_nop 0
	v_readfirstlane_b32 s6, v1
	s_mul_i32 s5, s5, s6
	s_mul_hi_u32 s5, s6, s5
	s_add_i32 s6, s6, s5
	s_mul_hi_u32 s5, s28, s6
	s_mul_i32 s11, s5, s34
	s_sub_i32 s11, s28, s11
	s_add_i32 s6, s5, 1
	s_sub_i32 s23, s11, s34
	s_cmp_ge_u32 s11, s34
	s_cselect_b32 s5, s6, s5
	s_cselect_b32 s11, s23, s11
	s_add_i32 s6, s5, 1
	s_cmp_ge_u32 s11, s34
	s_cselect_b32 s6, s6, s5
.LBB63_7:
	s_mul_i32 s5, s6, s35
	s_mul_hi_u32 s11, s6, s34
	s_load_dwordx2 s[30:31], s[2:3], 0x78
	s_add_i32 s5, s11, s5
	s_mul_i32 s11, s7, s34
	s_add_i32 s5, s5, s11
	s_mul_i32 s11, s6, s34
	s_sub_u32 s11, s28, s11
	s_subb_u32 s5, s29, s5
	v_cmp_gt_i32_e32 vcc, s22, v2
	s_mul_hi_u32 s34, s6, s8
	s_mul_i32 s35, s7, s8
	s_mul_i32 s36, s6, s8
	s_mul_hi_u32 s33, s11, s9
	s_mul_i32 s5, s5, s9
	s_mul_i32 s7, s11, s9
	s_and_saveexec_b64 s[28:29], vcc
	s_cbranch_execz .LBB63_10
; %bb.8:
	s_load_dwordx2 s[0:1], s[0:1], 0x4
	v_bfe_u32 v1, v0, 10, 10
	s_ashr_i32 s37, s8, 31
	s_ashr_i32 s23, s22, 31
	;; [unrolled: 1-line block ×3, first 2 shown]
	s_waitcnt lgkmcnt(0)
	s_lshr_b32 s0, s0, 16
	s_mul_i32 s0, s0, s1
	v_mul_lo_u32 v3, s0, v2
	v_mad_u32_u24 v1, v1, s1, v3
	s_mul_i32 s0, s6, s37
	s_load_dword s1, s[2:3], 0x8c
	s_add_i32 s0, s34, s0
	s_add_i32 s39, s0, s35
	s_ashr_i32 s0, s9, 31
	s_mul_i32 s0, s11, s0
	s_add_i32 s0, s33, s0
	s_add_i32 s40, s0, s5
	s_waitcnt lgkmcnt(0)
	s_and_b32 s38, s1, 0xffff
	s_lshl_b64 s[0:1], s[26:27], 1
	s_add_u32 s0, s24, s0
	v_bfe_u32 v0, v0, 20, 10
	v_mov_b32_e32 v5, 0
	s_addc_u32 s1, s25, s1
	s_lshl_b32 s24, s38, 1
	v_add_lshl_u32 v3, v1, v0, 1
	v_lshl_add_u64 v[0:1], s[0:1], 0, v[4:5]
	s_add_u32 s0, s36, s7
	s_addc_u32 s1, s39, s40
	v_lshl_add_u64 v[6:7], s[22:23], 1, v[0:1]
	s_add_u32 s23, s20, s10
	s_addc_u32 s25, s21, s41
	s_add_u32 s0, s23, s0
	s_addc_u32 s1, s25, s1
	v_lshl_add_u64 v[8:9], s[0:1], 0, v[4:5]
	s_mul_i32 s0, s13, s4
	s_mul_hi_u32 s1, s12, s4
	s_add_i32 s1, s1, s0
	s_mul_i32 s0, s12, s4
	s_load_dword s37, s[30:31], 0x0
	s_lshl_b64 s[0:1], s[0:1], 1
	s_add_u32 s0, s16, s0
	v_lshlrev_b32_e32 v4, 2, v2
	s_addc_u32 s1, s17, s1
	v_lshl_add_u64 v[4:5], s[0:1], 0, v[4:5]
	v_add_u32_e32 v10, 0x800, v3
	s_mov_b32 s27, 0
	v_lshl_add_u64 v[8:9], v[8:9], 0, 1
	v_lshl_add_u64 v[4:5], v[4:5], 0, 2
	s_lshl_b32 s26, s38, 2
	s_mov_b64 s[12:13], 0
	s_mov_b32 s23, 0x7f800000
	s_mov_b32 s25, 0x43700000
	v_mov_b32_e32 v11, 0xc3700000
	s_mov_b64 s[16:17], 0
	v_mov_b32_e32 v12, v2
.LBB63_9:                               ; =>This Inner Loop Header: Depth=1
	v_lshl_add_u64 v[14:15], v[0:1], 0, s[16:17]
	v_lshl_add_u64 v[16:17], v[6:7], 0, s[16:17]
	global_load_dword v13, v[4:5], off offset:-2
	global_load_ushort v18, v[16:17], off
	global_load_ushort v19, v[14:15], off
	v_lshl_add_u64 v[14:15], v[8:9], 0, s[16:17]
	v_add_u32_e32 v12, s38, v12
	s_add_u32 s16, s16, s24
	s_addc_u32 s17, s17, 0
	v_cmp_le_i32_e32 vcc, s22, v12
	s_or_b64 s[12:13], vcc, s[12:13]
	v_mov_b32_e32 v17, 0
	v_mov_b32_e32 v16, 0
	s_waitcnt vmcnt(1)
	v_mul_f16_sdwa v20, v18, v13 dst_sel:DWORD dst_unused:UNUSED_PAD src0_sel:DWORD src1_sel:WORD_1
	s_waitcnt vmcnt(0)
	v_mul_f16_sdwa v21, v19, v13 dst_sel:DWORD dst_unused:UNUSED_PAD src0_sel:DWORD src1_sel:WORD_1
	v_fma_f16 v19, v19, v13, -v20
	v_fma_f16 v13, v18, v13, v21
	ds_write_b16 v10, v19
	ds_write_b16 v3, v13
	v_pack_b32_f16 v13, v19, v13
	ds_read_b32 v18, v10
	ds_read_b32 v19, v3
	global_store_dword v[4:5], v13, off offset:-2
	v_lshl_add_u64 v[4:5], v[4:5], 0, s[26:27]
	s_waitcnt lgkmcnt(0)
	v_div_scale_f32 v20, s[0:1], s37, s37, v18
	v_div_scale_f32 v22, s[0:1], s37, s37, v19
	v_rcp_f32_e32 v24, v20
	v_rcp_f32_e32 v25, v22
	v_div_scale_f32 v21, vcc, v18, s37, v18
	v_fma_f32 v26, -v20, v24, 1.0
	v_fma_f32 v27, -v22, v25, 1.0
	v_fmac_f32_e32 v24, v26, v24
	v_div_scale_f32 v23, s[0:1], v19, s37, v19
	v_fmac_f32_e32 v25, v27, v25
	v_mul_f32_e32 v26, v21, v24
	v_mul_f32_e32 v27, v23, v25
	v_fma_f32 v28, -v20, v26, v21
	v_fma_f32 v29, -v22, v27, v23
	v_fmac_f32_e32 v26, v28, v24
	v_fmac_f32_e32 v27, v29, v25
	v_fma_f32 v20, -v20, v26, v21
	v_fma_f32 v21, -v22, v27, v23
	v_div_fmas_f32 v20, v20, v24, v26
	s_mov_b64 vcc, s[0:1]
	v_div_fixup_f32 v18, v20, s37, v18
	v_div_fmas_f32 v20, v21, v25, v27
	v_med3_f32 v21, v18, s25, v11
	v_div_fixup_f32 v19, v20, s37, v19
	v_cmp_nlg_f32_e64 vcc, |v18|, s23
	v_med3_f32 v20, v19, s25, v11
	s_nop 0
	v_cndmask_b32_e32 v18, v21, v18, vcc
	v_cmp_nlg_f32_e64 vcc, |v19|, s23
	v_cvt_pk_fp8_f32 v16, v18, v18
	s_nop 0
	v_cndmask_b32_e32 v19, v20, v19, vcc
	v_cvt_pk_fp8_f32 v17, v19, v19
	v_lshlrev_b16_e32 v13, 8, v17
	v_or_b32_sdwa v13, v16, v13 dst_sel:DWORD dst_unused:UNUSED_PAD src0_sel:BYTE_0 src1_sel:DWORD
	global_store_short v[14:15], v13, off offset:-1
	s_andn2_b64 exec, exec, s[12:13]
	s_cbranch_execnz .LBB63_9
.LBB63_10:
	s_or_b64 exec, exec, s[28:29]
	v_cmp_gt_i32_e32 vcc, s10, v2
	s_and_saveexec_b64 s[0:1], vcc
	s_cbranch_execz .LBB63_13
; %bb.11:
	s_mul_i32 s0, s4, s15
	s_mul_hi_u32 s1, s4, s14
	s_add_i32 s1, s1, s0
	s_mul_i32 s0, s4, s14
	s_lshl_b64 s[0:1], s[0:1], 1
	s_add_u32 s0, s18, s0
	s_addc_u32 s1, s19, s1
	s_ashr_i32 s4, s8, 31
	s_mul_i32 s4, s6, s4
	s_add_i32 s4, s34, s4
	s_add_i32 s4, s4, s35
	s_add_u32 s6, s20, s36
	s_addc_u32 s4, s21, s4
	s_ashr_i32 s8, s9, 31
	s_mul_i32 s11, s11, s8
	s_add_i32 s8, s33, s11
	s_load_dword s9, s[2:3], 0x8c
	s_add_i32 s8, s8, s5
	s_add_u32 s2, s6, s7
	s_waitcnt lgkmcnt(0)
	s_load_dword s6, s[30:31], 0x0
	s_addc_u32 s3, s4, s8
	s_and_b32 s7, s9, 0xffff
	s_mov_b64 s[4:5], 0
	s_mov_b32 s8, 0x7f800000
	s_mov_b32 s9, 0x43700000
	v_mov_b32_e32 v0, 0xc3700000
.LBB63_12:                              ; =>This Inner Loop Header: Depth=1
	v_ashrrev_i32_e32 v3, 31, v2
	v_lshl_add_u64 v[4:5], v[2:3], 1, s[0:1]
	global_load_dword v1, v[4:5], off
	v_mov_b32_e32 v6, 0
	s_waitcnt vmcnt(0) lgkmcnt(0)
	v_div_scale_f32 v4, s[12:13], s6, s6, v1
	v_rcp_f32_e32 v5, v4
	v_div_scale_f32 v7, vcc, v1, s6, v1
	v_fma_f32 v8, -v4, v5, 1.0
	v_fmac_f32_e32 v5, v8, v5
	v_mul_f32_e32 v8, v7, v5
	v_fma_f32 v9, -v4, v8, v7
	v_fmac_f32_e32 v8, v9, v5
	v_fma_f32 v4, -v4, v8, v7
	v_div_fmas_f32 v4, v4, v5, v8
	v_div_fixup_f32 v1, v4, s6, v1
	v_med3_f32 v4, v1, s9, v0
	v_cmp_nlg_f32_e64 vcc, |v1|, s8
	s_nop 1
	v_cndmask_b32_e32 v1, v4, v1, vcc
	v_cvt_pk_fp8_f32 v6, v1, v1
	v_lshl_add_u64 v[4:5], s[2:3], 0, v[2:3]
	v_add_u32_e32 v2, s7, v2
	v_cmp_le_i32_e32 vcc, s10, v2
	s_or_b64 s[4:5], vcc, s[4:5]
	global_store_byte v[4:5], v6, off
	s_andn2_b64 exec, exec, s[4:5]
	s_cbranch_execnz .LBB63_12
.LBB63_13:
	s_endpgm
.LBB63_14:
                                        ; implicit-def: $sgpr6_sgpr7
	s_branch .LBB63_6
	.section	.rodata,"a",@progbits
	.p2align	6, 0x0
	.amdhsa_kernel _ZN4vllm38concat_and_cache_mla_rope_fused_kernelIN3c104HalfES2_Lb0EfhLNS_18Fp8KVCacheDataTypeE1EEEvPKlPT_S7_PKS6_PKT0_illlliPT3_S5_iiiiPKf
		.amdhsa_group_segment_fixed_size 4096
		.amdhsa_private_segment_fixed_size 0
		.amdhsa_kernarg_size 384
		.amdhsa_user_sgpr_count 4
		.amdhsa_user_sgpr_dispatch_ptr 1
		.amdhsa_user_sgpr_queue_ptr 0
		.amdhsa_user_sgpr_kernarg_segment_ptr 1
		.amdhsa_user_sgpr_dispatch_id 0
		.amdhsa_user_sgpr_kernarg_preload_length 0
		.amdhsa_user_sgpr_kernarg_preload_offset 0
		.amdhsa_user_sgpr_private_segment_size 0
		.amdhsa_uses_dynamic_stack 0
		.amdhsa_enable_private_segment 0
		.amdhsa_system_sgpr_workgroup_id_x 1
		.amdhsa_system_sgpr_workgroup_id_y 0
		.amdhsa_system_sgpr_workgroup_id_z 0
		.amdhsa_system_sgpr_workgroup_info 0
		.amdhsa_system_vgpr_workitem_id 2
		.amdhsa_next_free_vgpr 30
		.amdhsa_next_free_sgpr 45
		.amdhsa_accum_offset 32
		.amdhsa_reserve_vcc 1
		.amdhsa_float_round_mode_32 0
		.amdhsa_float_round_mode_16_64 0
		.amdhsa_float_denorm_mode_32 3
		.amdhsa_float_denorm_mode_16_64 3
		.amdhsa_dx10_clamp 1
		.amdhsa_ieee_mode 1
		.amdhsa_fp16_overflow 0
		.amdhsa_tg_split 0
		.amdhsa_exception_fp_ieee_invalid_op 0
		.amdhsa_exception_fp_denorm_src 0
		.amdhsa_exception_fp_ieee_div_zero 0
		.amdhsa_exception_fp_ieee_overflow 0
		.amdhsa_exception_fp_ieee_underflow 0
		.amdhsa_exception_fp_ieee_inexact 0
		.amdhsa_exception_int_div_zero 0
	.end_amdhsa_kernel
	.section	.text._ZN4vllm38concat_and_cache_mla_rope_fused_kernelIN3c104HalfES2_Lb0EfhLNS_18Fp8KVCacheDataTypeE1EEEvPKlPT_S7_PKS6_PKT0_illlliPT3_S5_iiiiPKf,"axG",@progbits,_ZN4vllm38concat_and_cache_mla_rope_fused_kernelIN3c104HalfES2_Lb0EfhLNS_18Fp8KVCacheDataTypeE1EEEvPKlPT_S7_PKS6_PKT0_illlliPT3_S5_iiiiPKf,comdat
.Lfunc_end63:
	.size	_ZN4vllm38concat_and_cache_mla_rope_fused_kernelIN3c104HalfES2_Lb0EfhLNS_18Fp8KVCacheDataTypeE1EEEvPKlPT_S7_PKS6_PKT0_illlliPT3_S5_iiiiPKf, .Lfunc_end63-_ZN4vllm38concat_and_cache_mla_rope_fused_kernelIN3c104HalfES2_Lb0EfhLNS_18Fp8KVCacheDataTypeE1EEEvPKlPT_S7_PKS6_PKT0_illlliPT3_S5_iiiiPKf
                                        ; -- End function
	.section	.AMDGPU.csdata,"",@progbits
; Kernel info:
; codeLenInByte = 2428
; NumSgprs: 51
; NumVgprs: 30
; NumAgprs: 0
; TotalNumVgprs: 30
; ScratchSize: 0
; MemoryBound: 0
; FloatMode: 240
; IeeeMode: 1
; LDSByteSize: 4096 bytes/workgroup (compile time only)
; SGPRBlocks: 6
; VGPRBlocks: 3
; NumSGPRsForWavesPerEU: 51
; NumVGPRsForWavesPerEU: 30
; AccumOffset: 32
; Occupancy: 8
; WaveLimiterHint : 1
; COMPUTE_PGM_RSRC2:SCRATCH_EN: 0
; COMPUTE_PGM_RSRC2:USER_SGPR: 4
; COMPUTE_PGM_RSRC2:TRAP_HANDLER: 0
; COMPUTE_PGM_RSRC2:TGID_X_EN: 1
; COMPUTE_PGM_RSRC2:TGID_Y_EN: 0
; COMPUTE_PGM_RSRC2:TGID_Z_EN: 0
; COMPUTE_PGM_RSRC2:TIDIG_COMP_CNT: 2
; COMPUTE_PGM_RSRC3_GFX90A:ACCUM_OFFSET: 7
; COMPUTE_PGM_RSRC3_GFX90A:TG_SPLIT: 0
	.section	.text._ZN4vllm38concat_and_cache_mla_rope_fused_kernelIN3c104HalfENS1_8BFloat16ELb1EfhLNS_18Fp8KVCacheDataTypeE1EEEvPKlPT_S8_PKS7_PKT0_illlliPT3_S6_iiiiPKf,"axG",@progbits,_ZN4vllm38concat_and_cache_mla_rope_fused_kernelIN3c104HalfENS1_8BFloat16ELb1EfhLNS_18Fp8KVCacheDataTypeE1EEEvPKlPT_S8_PKS7_PKT0_illlliPT3_S6_iiiiPKf,comdat
	.protected	_ZN4vllm38concat_and_cache_mla_rope_fused_kernelIN3c104HalfENS1_8BFloat16ELb1EfhLNS_18Fp8KVCacheDataTypeE1EEEvPKlPT_S8_PKS7_PKT0_illlliPT3_S6_iiiiPKf ; -- Begin function _ZN4vllm38concat_and_cache_mla_rope_fused_kernelIN3c104HalfENS1_8BFloat16ELb1EfhLNS_18Fp8KVCacheDataTypeE1EEEvPKlPT_S8_PKS7_PKT0_illlliPT3_S6_iiiiPKf
	.globl	_ZN4vllm38concat_and_cache_mla_rope_fused_kernelIN3c104HalfENS1_8BFloat16ELb1EfhLNS_18Fp8KVCacheDataTypeE1EEEvPKlPT_S8_PKS7_PKT0_illlliPT3_S6_iiiiPKf
	.p2align	8
	.type	_ZN4vllm38concat_and_cache_mla_rope_fused_kernelIN3c104HalfENS1_8BFloat16ELb1EfhLNS_18Fp8KVCacheDataTypeE1EEEvPKlPT_S8_PKS7_PKT0_illlliPT3_S6_iiiiPKf,@function
_ZN4vllm38concat_and_cache_mla_rope_fused_kernelIN3c104HalfENS1_8BFloat16ELb1EfhLNS_18Fp8KVCacheDataTypeE1EEEvPKlPT_S8_PKS7_PKT0_illlliPT3_S6_iiiiPKf: ; @_ZN4vllm38concat_and_cache_mla_rope_fused_kernelIN3c104HalfENS1_8BFloat16ELb1EfhLNS_18Fp8KVCacheDataTypeE1EEEvPKlPT_S8_PKS7_PKT0_illlliPT3_S6_iiiiPKf
; %bb.0:
	s_load_dwordx2 s[8:9], s[2:3], 0x60
	s_mov_b32 s5, 0
	s_lshl_b64 s[6:7], s[4:5], 3
	s_waitcnt lgkmcnt(0)
	s_add_u32 s8, s8, s6
	s_addc_u32 s9, s9, s7
	s_load_dwordx2 s[30:31], s[8:9], 0x0
	s_waitcnt lgkmcnt(0)
	v_cmp_lt_i64_e64 s[8:9], s[30:31], 0
	s_and_b64 vcc, exec, s[8:9]
	s_cbranch_vccnz .LBB64_13
; %bb.1:
	s_load_dword s5, s[2:3], 0x28
	s_load_dwordx2 s[8:9], s[2:3], 0x0
	s_load_dwordx2 s[26:27], s[2:3], 0x20
	s_load_dwordx4 s[16:19], s[2:3], 0x10
	v_and_b32_e32 v2, 0x3ff, v0
	s_waitcnt lgkmcnt(0)
	s_ashr_i32 s24, s5, 31
	s_add_u32 s6, s8, s6
	s_addc_u32 s7, s9, s7
	s_load_dwordx2 s[22:23], s[6:7], 0x0
	s_load_dwordx8 s[8:15], s[2:3], 0x30
	s_load_dwordx2 s[20:21], s[2:3], 0x58
	s_load_dword s25, s[2:3], 0x50
	s_waitcnt lgkmcnt(0)
	s_mul_i32 s6, s22, s24
	s_mul_hi_u32 s7, s22, s5
	s_add_i32 s6, s7, s6
	s_mul_i32 s7, s23, s5
	s_add_i32 s7, s6, s7
	s_mul_i32 s6, s22, s5
	s_lshl_b64 s[28:29], s[6:7], 1
	s_add_u32 s22, s26, s28
	s_addc_u32 s23, s27, s29
	s_lshr_b32 s6, s5, 31
	s_add_i32 s5, s5, s6
	s_ashr_i32 s24, s5, 1
	s_mul_i32 s5, s24, s25
	v_cmp_gt_i32_e32 vcc, s5, v2
	s_and_saveexec_b64 s[6:7], vcc
	s_cbranch_execz .LBB64_4
; %bb.2:
	s_load_dwordx2 s[34:35], s[2:3], 0x8
	s_load_dword s36, s[2:3], 0x8c
	s_mul_i32 s9, s4, s9
	s_mul_hi_u32 s33, s4, s8
	s_add_i32 s9, s33, s9
	s_mul_i32 s8, s4, s8
	s_ashr_i32 s25, s24, 31
	s_lshl_b64 s[8:9], s[8:9], 1
	s_waitcnt lgkmcnt(0)
	s_add_u32 s8, s34, s8
	s_addc_u32 s9, s35, s9
	s_abs_i32 s33, s24
	v_cvt_f32_u32_e32 v1, s33
	s_sub_i32 s40, 0, s33
	s_mov_b64 s[34:35], 0
	s_and_b32 s38, s36, 0xffff
	v_rcp_iflag_f32_e32 v1, v1
	s_sub_i32 s39, 0, s24
	s_lshl_b64 s[36:37], s[24:25], 1
	v_mov_b32_e32 v4, v2
	v_mul_f32_e32 v1, 0x4f7ffffe, v1
	v_cvt_u32_f32_e32 v1, v1
	v_mul_lo_u32 v3, s40, v1
	v_mul_hi_u32 v3, v1, v3
	v_add_u32_e32 v1, v1, v3
.LBB64_3:                               ; =>This Inner Loop Header: Depth=1
	v_sub_u32_e32 v5, 0, v4
	v_max_i32_e32 v5, v4, v5
	v_mul_hi_u32 v6, v5, v1
	v_mul_lo_u32 v7, v6, s33
	v_sub_u32_e32 v5, v5, v7
	v_add_u32_e32 v8, 1, v6
	v_cmp_le_u32_e32 vcc, s33, v5
	v_subrev_u32_e32 v7, s33, v5
	v_ashrrev_i32_e32 v3, 31, v4
	v_cndmask_b32_e32 v6, v6, v8, vcc
	v_cndmask_b32_e32 v5, v5, v7, vcc
	v_add_u32_e32 v7, 1, v6
	v_cmp_le_u32_e32 vcc, s33, v5
	v_xor_b32_e32 v3, s25, v3
	s_nop 0
	v_cndmask_b32_e32 v5, v6, v7, vcc
	v_xor_b32_e32 v5, v5, v3
	v_sub_u32_e32 v3, v5, v3
	v_mad_u64_u32 v[6:7], s[40:41], s39, v3, v[4:5]
	v_ashrrev_i32_e32 v5, 31, v3
	v_ashrrev_i32_e32 v7, 31, v6
	v_mul_lo_u32 v10, v3, s11
	v_mad_u64_u32 v[8:9], s[40:41], v3, s10, 0
	v_mul_lo_u32 v3, v5, s10
	v_lshlrev_b64 v[6:7], 1, v[6:7]
	v_add3_u32 v9, v9, v10, v3
	v_lshl_add_u64 v[10:11], s[22:23], 0, v[6:7]
	v_lshl_add_u64 v[12:13], v[10:11], 0, s[36:37]
	global_load_ushort v3, v[10:11], off
	global_load_ushort v5, v[12:13], off
	v_lshl_add_u64 v[8:9], v[8:9], 1, s[8:9]
	v_lshl_add_u64 v[6:7], v[8:9], 0, v[6:7]
	;; [unrolled: 1-line block ×3, first 2 shown]
	global_load_ushort v10, v[6:7], off
	global_load_ushort v11, v[8:9], off
	v_add_u32_e32 v4, s38, v4
	v_cmp_le_i32_e32 vcc, s5, v4
	s_or_b64 s[34:35], vcc, s[34:35]
	s_waitcnt vmcnt(3)
	v_lshlrev_b32_e32 v3, 16, v3
	s_waitcnt vmcnt(2)
	v_lshlrev_b32_e32 v5, 16, v5
	v_cvt_f16_f32_e32 v5, v5
	v_cvt_f16_f32_e32 v3, v3
	s_waitcnt vmcnt(0)
	v_mul_f16_e32 v12, v11, v5
	v_mul_f16_e32 v5, v10, v5
	v_fma_f16 v10, v10, v3, -v12
	v_fma_f16 v3, v11, v3, v5
	global_store_short v[6:7], v10, off
	global_store_short v[8:9], v3, off
	s_andn2_b64 exec, exec, s[34:35]
	s_cbranch_execnz .LBB64_3
.LBB64_4:
	s_or_b64 exec, exec, s[6:7]
	s_load_dwordx4 s[8:11], s[2:3], 0x68
	s_waitcnt lgkmcnt(0)
	s_ashr_i32 s37, s11, 31
	s_mov_b32 s36, s11
	s_or_b64 s[6:7], s[30:31], s[36:37]
	s_mov_b32 s6, 0
	s_cmp_lg_u64 s[6:7], 0
	s_cbranch_scc0 .LBB64_14
; %bb.5:
	s_add_u32 s6, s36, s37
	s_mov_b32 s38, s37
	s_mov_b32 s39, s37
	s_addc_u32 s7, s37, s37
	s_xor_b64 s[40:41], s[6:7], s[38:39]
	v_cvt_f32_u32_e32 v1, s40
	v_cvt_f32_u32_e32 v3, s41
	s_sub_u32 s5, 0, s40
	s_subb_u32 s6, 0, s41
	v_fmamk_f32 v1, v3, 0x4f800000, v1
	v_rcp_f32_e32 v1, v1
	s_nop 0
	v_mul_f32_e32 v1, 0x5f7ffffc, v1
	v_mul_f32_e32 v3, 0x2f800000, v1
	v_trunc_f32_e32 v3, v3
	v_fmamk_f32 v1, v3, 0xcf800000, v1
	v_cvt_u32_f32_e32 v3, v3
	v_cvt_u32_f32_e32 v1, v1
	v_readfirstlane_b32 s7, v3
	v_readfirstlane_b32 s11, v1
	s_mul_i32 s25, s5, s7
	s_mul_hi_u32 s42, s5, s11
	s_mul_i32 s33, s6, s11
	s_add_i32 s25, s42, s25
	s_add_i32 s25, s25, s33
	s_mul_i32 s43, s5, s11
	s_mul_hi_u32 s33, s11, s25
	s_mul_i32 s42, s11, s25
	s_mul_hi_u32 s11, s11, s43
	s_add_u32 s11, s11, s42
	s_addc_u32 s33, 0, s33
	s_mul_hi_u32 s44, s7, s43
	s_mul_i32 s43, s7, s43
	s_add_u32 s11, s11, s43
	s_mul_hi_u32 s42, s7, s25
	s_addc_u32 s11, s33, s44
	s_addc_u32 s33, s42, 0
	s_mul_i32 s25, s7, s25
	s_add_u32 s11, s11, s25
	s_addc_u32 s25, 0, s33
	v_add_co_u32_e32 v1, vcc, s11, v1
	s_cmp_lg_u64 vcc, 0
	s_addc_u32 s7, s7, s25
	v_readfirstlane_b32 s25, v1
	s_mul_i32 s11, s5, s7
	s_mul_hi_u32 s33, s5, s25
	s_add_i32 s11, s33, s11
	s_mul_i32 s6, s6, s25
	s_add_i32 s11, s11, s6
	s_mul_i32 s5, s5, s25
	s_mul_hi_u32 s33, s7, s5
	s_mul_i32 s42, s7, s5
	s_mul_i32 s44, s25, s11
	s_mul_hi_u32 s5, s25, s5
	s_mul_hi_u32 s43, s25, s11
	s_add_u32 s5, s5, s44
	s_addc_u32 s25, 0, s43
	s_add_u32 s5, s5, s42
	s_mul_hi_u32 s6, s7, s11
	s_addc_u32 s5, s25, s33
	s_addc_u32 s6, s6, 0
	s_mul_i32 s11, s7, s11
	s_add_u32 s5, s5, s11
	s_addc_u32 s6, 0, s6
	v_add_co_u32_e32 v1, vcc, s5, v1
	s_cmp_lg_u64 vcc, 0
	s_addc_u32 s5, s7, s6
	s_ashr_i32 s42, s31, 31
	s_add_u32 s6, s30, s42
	s_mov_b32 s43, s42
	s_addc_u32 s7, s31, s42
	s_xor_b64 s[44:45], s[6:7], s[42:43]
	v_readfirstlane_b32 s11, v1
	s_mul_i32 s7, s44, s5
	s_mul_hi_u32 s25, s44, s11
	s_mul_hi_u32 s6, s44, s5
	s_add_u32 s7, s25, s7
	s_addc_u32 s6, 0, s6
	s_mul_hi_u32 s33, s45, s11
	s_mul_i32 s11, s45, s11
	s_add_u32 s7, s7, s11
	s_mul_hi_u32 s25, s45, s5
	s_addc_u32 s6, s6, s33
	s_addc_u32 s7, s25, 0
	s_mul_i32 s5, s45, s5
	s_add_u32 s5, s6, s5
	s_addc_u32 s11, 0, s7
	s_mul_i32 s6, s40, s11
	s_mul_hi_u32 s7, s40, s5
	s_add_i32 s6, s7, s6
	s_mul_i32 s7, s41, s5
	s_add_i32 s25, s6, s7
	s_mul_i32 s7, s40, s5
	v_mov_b32_e32 v1, s7
	s_sub_i32 s6, s45, s25
	v_sub_co_u32_e32 v1, vcc, s44, v1
	s_cmp_lg_u64 vcc, 0
	s_subb_u32 s33, s6, s41
	v_subrev_co_u32_e64 v3, s[6:7], s40, v1
	s_cmp_lg_u64 s[6:7], 0
	s_subb_u32 s6, s33, 0
	s_cmp_ge_u32 s6, s41
	v_readfirstlane_b32 s33, v3
	s_cselect_b32 s7, -1, 0
	s_cmp_ge_u32 s33, s40
	s_cselect_b32 s33, -1, 0
	s_cmp_eq_u32 s6, s41
	s_cselect_b32 s6, s33, s7
	s_add_u32 s7, s5, 1
	s_addc_u32 s33, s11, 0
	s_add_u32 s44, s5, 2
	s_addc_u32 s46, s11, 0
	s_cmp_lg_u32 s6, 0
	s_cselect_b32 s6, s44, s7
	s_cselect_b32 s7, s46, s33
	s_cmp_lg_u64 vcc, 0
	s_subb_u32 s25, s45, s25
	s_cmp_ge_u32 s25, s41
	v_readfirstlane_b32 s44, v1
	s_cselect_b32 s33, -1, 0
	s_cmp_ge_u32 s44, s40
	s_cselect_b32 s40, -1, 0
	s_cmp_eq_u32 s25, s41
	s_cselect_b32 s25, s40, s33
	s_cmp_lg_u32 s25, 0
	s_cselect_b32 s7, s7, s11
	s_cselect_b32 s6, s6, s5
	s_xor_b64 s[38:39], s[42:43], s[38:39]
	s_xor_b64 s[6:7], s[6:7], s[38:39]
	s_sub_u32 s6, s6, s38
	s_subb_u32 s7, s7, s39
	s_cbranch_execnz .LBB64_7
.LBB64_6:
	v_cvt_f32_u32_e32 v1, s36
	s_sub_i32 s5, 0, s36
	s_mov_b32 s7, 0
	v_rcp_iflag_f32_e32 v1, v1
	s_nop 0
	v_mul_f32_e32 v1, 0x4f7ffffe, v1
	v_cvt_u32_f32_e32 v1, v1
	s_nop 0
	v_readfirstlane_b32 s6, v1
	s_mul_i32 s5, s5, s6
	s_mul_hi_u32 s5, s6, s5
	s_add_i32 s6, s6, s5
	s_mul_hi_u32 s5, s30, s6
	s_mul_i32 s11, s5, s36
	s_sub_i32 s11, s30, s11
	s_add_i32 s6, s5, 1
	s_sub_i32 s25, s11, s36
	s_cmp_ge_u32 s11, s36
	s_cselect_b32 s5, s6, s5
	s_cselect_b32 s11, s25, s11
	s_add_i32 s6, s5, 1
	s_cmp_ge_u32 s11, s36
	s_cselect_b32 s6, s6, s5
.LBB64_7:
	s_mul_i32 s5, s6, s37
	s_mul_hi_u32 s11, s6, s36
	s_load_dwordx2 s[34:35], s[2:3], 0x78
	s_add_i32 s5, s11, s5
	s_mul_i32 s11, s7, s36
	s_add_i32 s5, s5, s11
	s_mul_i32 s11, s6, s36
	s_sub_u32 s11, s30, s11
	s_subb_u32 s5, s31, s5
	v_cmp_gt_i32_e32 vcc, s24, v2
	s_mul_hi_u32 s38, s6, s8
	s_mul_i32 s39, s7, s8
	s_mul_i32 s40, s6, s8
	s_mul_hi_u32 s33, s11, s9
	s_mul_i32 s5, s5, s9
	s_mul_i32 s7, s11, s9
	s_and_saveexec_b64 s[30:31], vcc
	s_cbranch_execz .LBB64_10
; %bb.8:
	s_load_dwordx2 s[0:1], s[0:1], 0x4
	v_bfe_u32 v1, v0, 10, 10
	s_mul_i32 s13, s4, s13
	s_ashr_i32 s25, s24, 31
	s_load_dword s37, s[2:3], 0x8c
	s_waitcnt lgkmcnt(0)
	s_lshr_b32 s0, s0, 16
	s_mul_i32 s0, s0, s1
	v_mul_lo_u32 v3, s0, v2
	s_mul_hi_u32 s0, s4, s12
	v_mad_u32_u24 v1, v1, s1, v3
	s_add_i32 s1, s0, s13
	s_mul_i32 s0, s4, s12
	s_lshl_b64 s[0:1], s[0:1], 1
	s_add_u32 s12, s16, s0
	s_addc_u32 s13, s17, s1
	s_ashr_i32 s36, s8, 31
	s_mul_i32 s36, s6, s36
	s_add_i32 s36, s38, s36
	s_add_i32 s43, s36, s39
	s_ashr_i32 s36, s9, 31
	s_mul_i32 s36, s11, s36
	s_add_i32 s36, s33, s36
	s_add_i32 s46, s36, s5
	s_and_b32 s36, s37, 0xffff
	s_ashr_i32 s47, s10, 31
	s_lshl_b32 s42, s36, 1
	s_lshl_b64 s[44:45], s[24:25], 1
	s_add_u32 s28, s28, s44
	s_addc_u32 s29, s29, s45
	s_add_u32 s26, s26, s28
	s_addc_u32 s27, s27, s29
	s_add_u32 s0, s0, s44
	s_addc_u32 s1, s1, s45
	s_add_u32 s16, s16, s0
	s_addc_u32 s17, s17, s1
	s_add_u32 s0, s40, s7
	s_addc_u32 s1, s43, s46
	s_load_dword s41, s[34:35], 0x0
	s_add_u32 s0, s0, s10
	s_addc_u32 s1, s1, s47
	v_bfe_u32 v0, v0, 20, 10
	s_add_u32 s0, s20, s0
	v_add_lshl_u32 v8, v1, v0, 1
	v_mov_b32_e32 v3, 0
	s_addc_u32 s1, s21, s1
	v_add_u32_e32 v9, 0x800, v8
	s_mov_b32 s37, 0
	v_lshlrev_b32_e32 v0, 1, v2
	v_mov_b32_e32 v1, v3
	v_lshl_add_u64 v[4:5], s[0:1], 0, v[2:3]
	s_mov_b64 s[28:29], 0
	s_mov_b32 s43, 0x7f800000
	s_mov_b32 s44, 0x43700000
	v_mov_b32_e32 v3, 0xc3700000
	v_mov_b32_e32 v10, v2
.LBB64_9:                               ; =>This Inner Loop Header: Depth=1
	v_lshl_add_u64 v[12:13], s[22:23], 0, v[0:1]
	v_lshl_add_u64 v[14:15], s[26:27], 0, v[0:1]
	;; [unrolled: 1-line block ×4, first 2 shown]
	global_load_ushort v11, v[12:13], off
	global_load_ushort v18, v[14:15], off
	;; [unrolled: 1-line block ×4, first 2 shown]
	s_add_u32 s22, s22, s42
	s_addc_u32 s23, s23, 0
	s_add_u32 s26, s26, s42
	s_addc_u32 s27, s27, 0
	;; [unrolled: 2-line block ×3, first 2 shown]
	v_add_u32_e32 v10, s36, v10
	s_add_u32 s12, s12, s42
	v_cmp_le_i32_e32 vcc, s24, v10
	s_addc_u32 s13, s13, 0
	s_or_b64 s[28:29], vcc, s[28:29]
	v_mov_b32_e32 v14, 0
	v_mov_b32_e32 v15, 0
	v_lshl_add_u64 v[12:13], v[4:5], 0, s[24:25]
	s_waitcnt vmcnt(3)
	v_lshlrev_b32_e32 v11, 16, v11
	s_waitcnt vmcnt(2)
	v_lshlrev_b32_e32 v18, 16, v18
	v_cvt_f16_f32_e32 v18, v18
	v_cvt_f16_f32_e32 v11, v11
	s_waitcnt vmcnt(1)
	v_mul_f16_e32 v21, v19, v18
	s_waitcnt vmcnt(0)
	v_mul_f16_e32 v18, v20, v18
	v_fma_f16 v20, v20, v11, -v21
	v_fma_f16 v11, v19, v11, v18
	ds_write_b16 v9, v20
	ds_write_b16 v8, v11
	global_store_short v[16:17], v20, off
	ds_read_b32 v16, v9
	ds_read_b32 v17, v8
	s_waitcnt lgkmcnt(0)
	v_div_scale_f32 v18, s[0:1], s41, s41, v16
	v_div_scale_f32 v20, s[0:1], s41, s41, v17
	v_rcp_f32_e32 v22, v18
	v_rcp_f32_e32 v23, v20
	v_div_scale_f32 v19, vcc, v16, s41, v16
	v_fma_f32 v24, -v18, v22, 1.0
	v_fma_f32 v25, -v20, v23, 1.0
	v_fmac_f32_e32 v22, v24, v22
	v_div_scale_f32 v21, s[0:1], v17, s41, v17
	v_fmac_f32_e32 v23, v25, v23
	v_mul_f32_e32 v24, v19, v22
	v_mul_f32_e32 v25, v21, v23
	v_fma_f32 v26, -v18, v24, v19
	v_fma_f32 v27, -v20, v25, v21
	v_fmac_f32_e32 v24, v26, v22
	v_fmac_f32_e32 v25, v27, v23
	v_fma_f32 v18, -v18, v24, v19
	v_fma_f32 v19, -v20, v25, v21
	v_div_fmas_f32 v18, v18, v22, v24
	s_mov_b64 vcc, s[0:1]
	v_div_fixup_f32 v16, v18, s41, v16
	v_div_fmas_f32 v18, v19, v23, v25
	v_med3_f32 v19, v16, s44, v3
	v_div_fixup_f32 v17, v18, s41, v17
	v_cmp_nlg_f32_e64 vcc, |v16|, s43
	v_med3_f32 v18, v17, s44, v3
	s_nop 0
	v_cndmask_b32_e32 v16, v19, v16, vcc
	v_cmp_nlg_f32_e64 vcc, |v17|, s43
	v_cvt_pk_fp8_f32 v14, v16, v16
	global_store_short v[6:7], v11, off
	global_store_byte v[4:5], v14, off
	v_cndmask_b32_e32 v16, v18, v17, vcc
	v_cvt_pk_fp8_f32 v15, v16, v16
	v_lshl_add_u64 v[4:5], v[4:5], 0, s[36:37]
	global_store_byte v[12:13], v15, off
	s_andn2_b64 exec, exec, s[28:29]
	s_cbranch_execnz .LBB64_9
.LBB64_10:
	s_or_b64 exec, exec, s[30:31]
	v_cmp_gt_i32_e32 vcc, s10, v2
	s_and_saveexec_b64 s[0:1], vcc
	s_cbranch_execz .LBB64_13
; %bb.11:
	s_mul_i32 s0, s4, s15
	s_mul_hi_u32 s1, s4, s14
	s_add_i32 s1, s1, s0
	s_mul_i32 s0, s4, s14
	s_lshl_b64 s[0:1], s[0:1], 1
	s_add_u32 s0, s18, s0
	s_addc_u32 s1, s19, s1
	s_ashr_i32 s4, s8, 31
	s_mul_i32 s4, s6, s4
	s_add_i32 s4, s38, s4
	s_add_i32 s4, s4, s39
	s_add_u32 s6, s20, s40
	s_addc_u32 s4, s21, s4
	s_ashr_i32 s8, s9, 31
	s_mul_i32 s11, s11, s8
	s_add_i32 s8, s33, s11
	s_load_dword s9, s[2:3], 0x8c
	s_add_i32 s8, s8, s5
	s_add_u32 s2, s6, s7
	s_waitcnt lgkmcnt(0)
	s_load_dword s6, s[34:35], 0x0
	s_addc_u32 s3, s4, s8
	s_and_b32 s7, s9, 0xffff
	s_mov_b64 s[4:5], 0
	s_mov_b32 s8, 0x7f800000
	s_mov_b32 s9, 0x43700000
	v_mov_b32_e32 v0, 0xc3700000
.LBB64_12:                              ; =>This Inner Loop Header: Depth=1
	v_ashrrev_i32_e32 v3, 31, v2
	v_lshl_add_u64 v[4:5], v[2:3], 1, s[0:1]
	global_load_dword v1, v[4:5], off
	v_mov_b32_e32 v6, 0
	s_waitcnt vmcnt(0) lgkmcnt(0)
	v_div_scale_f32 v4, s[12:13], s6, s6, v1
	v_rcp_f32_e32 v5, v4
	v_div_scale_f32 v7, vcc, v1, s6, v1
	v_fma_f32 v8, -v4, v5, 1.0
	v_fmac_f32_e32 v5, v8, v5
	v_mul_f32_e32 v8, v7, v5
	v_fma_f32 v9, -v4, v8, v7
	v_fmac_f32_e32 v8, v9, v5
	v_fma_f32 v4, -v4, v8, v7
	v_div_fmas_f32 v4, v4, v5, v8
	v_div_fixup_f32 v1, v4, s6, v1
	v_med3_f32 v4, v1, s9, v0
	v_cmp_nlg_f32_e64 vcc, |v1|, s8
	s_nop 1
	v_cndmask_b32_e32 v1, v4, v1, vcc
	v_cvt_pk_fp8_f32 v6, v1, v1
	v_lshl_add_u64 v[4:5], s[2:3], 0, v[2:3]
	v_add_u32_e32 v2, s7, v2
	v_cmp_le_i32_e32 vcc, s10, v2
	s_or_b64 s[4:5], vcc, s[4:5]
	global_store_byte v[4:5], v6, off
	s_andn2_b64 exec, exec, s[4:5]
	s_cbranch_execnz .LBB64_12
.LBB64_13:
	s_endpgm
.LBB64_14:
                                        ; implicit-def: $sgpr6_sgpr7
	s_branch .LBB64_6
	.section	.rodata,"a",@progbits
	.p2align	6, 0x0
	.amdhsa_kernel _ZN4vllm38concat_and_cache_mla_rope_fused_kernelIN3c104HalfENS1_8BFloat16ELb1EfhLNS_18Fp8KVCacheDataTypeE1EEEvPKlPT_S8_PKS7_PKT0_illlliPT3_S6_iiiiPKf
		.amdhsa_group_segment_fixed_size 4096
		.amdhsa_private_segment_fixed_size 0
		.amdhsa_kernarg_size 384
		.amdhsa_user_sgpr_count 4
		.amdhsa_user_sgpr_dispatch_ptr 1
		.amdhsa_user_sgpr_queue_ptr 0
		.amdhsa_user_sgpr_kernarg_segment_ptr 1
		.amdhsa_user_sgpr_dispatch_id 0
		.amdhsa_user_sgpr_kernarg_preload_length 0
		.amdhsa_user_sgpr_kernarg_preload_offset 0
		.amdhsa_user_sgpr_private_segment_size 0
		.amdhsa_uses_dynamic_stack 0
		.amdhsa_enable_private_segment 0
		.amdhsa_system_sgpr_workgroup_id_x 1
		.amdhsa_system_sgpr_workgroup_id_y 0
		.amdhsa_system_sgpr_workgroup_id_z 0
		.amdhsa_system_sgpr_workgroup_info 0
		.amdhsa_system_vgpr_workitem_id 2
		.amdhsa_next_free_vgpr 28
		.amdhsa_next_free_sgpr 48
		.amdhsa_accum_offset 28
		.amdhsa_reserve_vcc 1
		.amdhsa_float_round_mode_32 0
		.amdhsa_float_round_mode_16_64 0
		.amdhsa_float_denorm_mode_32 3
		.amdhsa_float_denorm_mode_16_64 3
		.amdhsa_dx10_clamp 1
		.amdhsa_ieee_mode 1
		.amdhsa_fp16_overflow 0
		.amdhsa_tg_split 0
		.amdhsa_exception_fp_ieee_invalid_op 0
		.amdhsa_exception_fp_denorm_src 0
		.amdhsa_exception_fp_ieee_div_zero 0
		.amdhsa_exception_fp_ieee_overflow 0
		.amdhsa_exception_fp_ieee_underflow 0
		.amdhsa_exception_fp_ieee_inexact 0
		.amdhsa_exception_int_div_zero 0
	.end_amdhsa_kernel
	.section	.text._ZN4vllm38concat_and_cache_mla_rope_fused_kernelIN3c104HalfENS1_8BFloat16ELb1EfhLNS_18Fp8KVCacheDataTypeE1EEEvPKlPT_S8_PKS7_PKT0_illlliPT3_S6_iiiiPKf,"axG",@progbits,_ZN4vllm38concat_and_cache_mla_rope_fused_kernelIN3c104HalfENS1_8BFloat16ELb1EfhLNS_18Fp8KVCacheDataTypeE1EEEvPKlPT_S8_PKS7_PKT0_illlliPT3_S6_iiiiPKf,comdat
.Lfunc_end64:
	.size	_ZN4vllm38concat_and_cache_mla_rope_fused_kernelIN3c104HalfENS1_8BFloat16ELb1EfhLNS_18Fp8KVCacheDataTypeE1EEEvPKlPT_S8_PKS7_PKT0_illlliPT3_S6_iiiiPKf, .Lfunc_end64-_ZN4vllm38concat_and_cache_mla_rope_fused_kernelIN3c104HalfENS1_8BFloat16ELb1EfhLNS_18Fp8KVCacheDataTypeE1EEEvPKlPT_S8_PKS7_PKT0_illlliPT3_S6_iiiiPKf
                                        ; -- End function
	.section	.AMDGPU.csdata,"",@progbits
; Kernel info:
; codeLenInByte = 2468
; NumSgprs: 54
; NumVgprs: 28
; NumAgprs: 0
; TotalNumVgprs: 28
; ScratchSize: 0
; MemoryBound: 0
; FloatMode: 240
; IeeeMode: 1
; LDSByteSize: 4096 bytes/workgroup (compile time only)
; SGPRBlocks: 6
; VGPRBlocks: 3
; NumSGPRsForWavesPerEU: 54
; NumVGPRsForWavesPerEU: 28
; AccumOffset: 28
; Occupancy: 8
; WaveLimiterHint : 1
; COMPUTE_PGM_RSRC2:SCRATCH_EN: 0
; COMPUTE_PGM_RSRC2:USER_SGPR: 4
; COMPUTE_PGM_RSRC2:TRAP_HANDLER: 0
; COMPUTE_PGM_RSRC2:TGID_X_EN: 1
; COMPUTE_PGM_RSRC2:TGID_Y_EN: 0
; COMPUTE_PGM_RSRC2:TGID_Z_EN: 0
; COMPUTE_PGM_RSRC2:TIDIG_COMP_CNT: 2
; COMPUTE_PGM_RSRC3_GFX90A:ACCUM_OFFSET: 6
; COMPUTE_PGM_RSRC3_GFX90A:TG_SPLIT: 0
	.section	.text._ZN4vllm38concat_and_cache_mla_rope_fused_kernelIN3c104HalfENS1_8BFloat16ELb0EfhLNS_18Fp8KVCacheDataTypeE1EEEvPKlPT_S8_PKS7_PKT0_illlliPT3_S6_iiiiPKf,"axG",@progbits,_ZN4vllm38concat_and_cache_mla_rope_fused_kernelIN3c104HalfENS1_8BFloat16ELb0EfhLNS_18Fp8KVCacheDataTypeE1EEEvPKlPT_S8_PKS7_PKT0_illlliPT3_S6_iiiiPKf,comdat
	.protected	_ZN4vllm38concat_and_cache_mla_rope_fused_kernelIN3c104HalfENS1_8BFloat16ELb0EfhLNS_18Fp8KVCacheDataTypeE1EEEvPKlPT_S8_PKS7_PKT0_illlliPT3_S6_iiiiPKf ; -- Begin function _ZN4vllm38concat_and_cache_mla_rope_fused_kernelIN3c104HalfENS1_8BFloat16ELb0EfhLNS_18Fp8KVCacheDataTypeE1EEEvPKlPT_S8_PKS7_PKT0_illlliPT3_S6_iiiiPKf
	.globl	_ZN4vllm38concat_and_cache_mla_rope_fused_kernelIN3c104HalfENS1_8BFloat16ELb0EfhLNS_18Fp8KVCacheDataTypeE1EEEvPKlPT_S8_PKS7_PKT0_illlliPT3_S6_iiiiPKf
	.p2align	8
	.type	_ZN4vllm38concat_and_cache_mla_rope_fused_kernelIN3c104HalfENS1_8BFloat16ELb0EfhLNS_18Fp8KVCacheDataTypeE1EEEvPKlPT_S8_PKS7_PKT0_illlliPT3_S6_iiiiPKf,@function
_ZN4vllm38concat_and_cache_mla_rope_fused_kernelIN3c104HalfENS1_8BFloat16ELb0EfhLNS_18Fp8KVCacheDataTypeE1EEEvPKlPT_S8_PKS7_PKT0_illlliPT3_S6_iiiiPKf: ; @_ZN4vllm38concat_and_cache_mla_rope_fused_kernelIN3c104HalfENS1_8BFloat16ELb0EfhLNS_18Fp8KVCacheDataTypeE1EEEvPKlPT_S8_PKS7_PKT0_illlliPT3_S6_iiiiPKf
; %bb.0:
	s_load_dwordx2 s[8:9], s[2:3], 0x60
	s_mov_b32 s5, 0
	s_lshl_b64 s[6:7], s[4:5], 3
	s_waitcnt lgkmcnt(0)
	s_add_u32 s8, s8, s6
	s_addc_u32 s9, s9, s7
	s_load_dwordx2 s[28:29], s[8:9], 0x0
	s_waitcnt lgkmcnt(0)
	v_cmp_lt_i64_e64 s[8:9], s[28:29], 0
	s_and_b64 vcc, exec, s[8:9]
	s_cbranch_vccnz .LBB65_13
; %bb.1:
	s_load_dword s5, s[2:3], 0x28
	s_load_dwordx2 s[8:9], s[2:3], 0x0
	s_load_dwordx2 s[24:25], s[2:3], 0x20
	s_load_dwordx4 s[16:19], s[2:3], 0x10
	v_and_b32_e32 v2, 0x3ff, v0
	s_waitcnt lgkmcnt(0)
	s_ashr_i32 s26, s5, 31
	s_add_u32 s6, s8, s6
	s_addc_u32 s7, s9, s7
	s_load_dwordx2 s[22:23], s[6:7], 0x0
	s_load_dwordx8 s[8:15], s[2:3], 0x30
	s_load_dwordx2 s[20:21], s[2:3], 0x58
	s_load_dword s30, s[2:3], 0x50
	v_lshlrev_b32_e32 v4, 1, v2
	s_waitcnt lgkmcnt(0)
	s_mul_i32 s6, s22, s26
	s_mul_hi_u32 s7, s22, s5
	s_add_i32 s6, s7, s6
	s_mul_i32 s7, s23, s5
	s_add_i32 s27, s6, s7
	s_lshr_b32 s6, s5, 31
	s_mul_i32 s26, s22, s5
	s_add_i32 s5, s5, s6
	s_ashr_i32 s22, s5, 1
	s_mul_i32 s5, s22, s30
	v_cmp_gt_i32_e32 vcc, s5, v2
	s_and_saveexec_b64 s[6:7], vcc
	s_cbranch_execz .LBB65_4
; %bb.2:
	s_load_dwordx2 s[34:35], s[2:3], 0x8
	s_load_dword s36, s[2:3], 0x8c
	s_lshl_b64 s[30:31], s[26:27], 1
	s_add_u32 s30, s24, s30
	s_mul_i32 s9, s4, s9
	s_mul_hi_u32 s33, s4, s8
	s_addc_u32 s31, s25, s31
	s_add_i32 s9, s33, s9
	s_mul_i32 s8, s4, s8
	s_ashr_i32 s23, s22, 31
	s_lshl_b64 s[8:9], s[8:9], 1
	s_waitcnt lgkmcnt(0)
	s_add_u32 s8, s34, s8
	s_addc_u32 s9, s35, s9
	s_abs_i32 s33, s22
	v_cvt_f32_u32_e32 v1, s33
	s_sub_i32 s34, 0, s33
	s_and_b32 s36, s36, 0xffff
	s_sub_i32 s37, 0, s22
	v_rcp_iflag_f32_e32 v1, v1
	s_lshl_b32 s39, s36, 1
	v_mov_b32_e32 v6, v4
	v_mov_b32_e32 v8, v2
	v_mul_f32_e32 v1, 0x4f7ffffe, v1
	v_cvt_u32_f32_e32 v1, v1
	v_mul_lo_u32 v3, s34, v1
	v_mul_hi_u32 v3, v1, v3
	s_lshl_b32 s34, s22, 1
	v_add_u32_e32 v1, v1, v3
	s_sub_i32 s38, 0, s34
	s_mov_b64 s[34:35], 0
.LBB65_3:                               ; =>This Inner Loop Header: Depth=1
	v_sub_u32_e32 v5, 0, v8
	v_max_i32_e32 v5, v8, v5
	v_mul_hi_u32 v7, v5, v1
	v_mul_lo_u32 v9, v7, s33
	v_sub_u32_e32 v5, v5, v9
	v_add_u32_e32 v10, 1, v7
	v_cmp_le_u32_e32 vcc, s33, v5
	v_subrev_u32_e32 v9, s33, v5
	v_ashrrev_i32_e32 v3, 31, v8
	v_cndmask_b32_e32 v7, v7, v10, vcc
	v_cndmask_b32_e32 v5, v5, v9, vcc
	v_add_u32_e32 v9, 1, v7
	v_cmp_le_u32_e32 vcc, s33, v5
	v_xor_b32_e32 v3, s23, v3
	s_nop 0
	v_cndmask_b32_e32 v5, v7, v9, vcc
	v_xor_b32_e32 v5, v5, v3
	v_sub_u32_e32 v3, v5, v3
	v_mad_u64_u32 v[10:11], s[40:41], s37, v3, v[8:9]
	v_ashrrev_i32_e32 v11, 31, v10
	v_ashrrev_i32_e32 v5, 31, v3
	v_mul_lo_u32 v7, v3, s11
	v_lshl_add_u64 v[10:11], v[10:11], 1, s[30:31]
	v_mad_u64_u32 v[12:13], s[40:41], v3, s10, 0
	v_mad_u64_u32 v[14:15], s[40:41], s38, v3, v[6:7]
	v_mul_lo_u32 v3, v5, s10
	v_lshl_add_u64 v[16:17], s[22:23], 1, v[10:11]
	v_add3_u32 v13, v13, v7, v3
	global_load_ushort v3, v[10:11], off
	global_load_ushort v5, v[16:17], off
	v_ashrrev_i32_e32 v15, 31, v14
	v_lshl_add_u64 v[10:11], v[12:13], 1, s[8:9]
	v_lshl_add_u64 v[10:11], v[14:15], 1, v[10:11]
	global_load_dword v7, v[10:11], off
	v_add_u32_e32 v8, s36, v8
	v_cmp_le_i32_e32 vcc, s5, v8
	v_add_u32_e32 v6, s39, v6
	s_or_b64 s[34:35], vcc, s[34:35]
	s_waitcnt vmcnt(2)
	v_lshlrev_b32_e32 v3, 16, v3
	s_waitcnt vmcnt(1)
	v_lshlrev_b32_e32 v5, 16, v5
	v_cvt_f16_f32_e32 v5, v5
	v_cvt_f16_f32_e32 v3, v3
	s_waitcnt vmcnt(0)
	v_lshrrev_b32_e32 v9, 16, v7
	v_mul_f16_e32 v12, v9, v5
	v_mul_f16_e32 v5, v7, v5
	v_fma_f16 v7, v7, v3, -v12
	v_fma_f16 v3, v9, v3, v5
	v_pack_b32_f16 v3, v7, v3
	global_store_dword v[10:11], v3, off
	s_andn2_b64 exec, exec, s[34:35]
	s_cbranch_execnz .LBB65_3
.LBB65_4:
	s_or_b64 exec, exec, s[6:7]
	s_load_dwordx4 s[8:11], s[2:3], 0x68
	s_waitcnt lgkmcnt(0)
	s_ashr_i32 s35, s11, 31
	s_mov_b32 s34, s11
	s_or_b64 s[6:7], s[28:29], s[34:35]
	s_mov_b32 s6, 0
	s_cmp_lg_u64 s[6:7], 0
	s_cbranch_scc0 .LBB65_14
; %bb.5:
	s_add_u32 s6, s34, s35
	s_mov_b32 s36, s35
	s_mov_b32 s37, s35
	s_addc_u32 s7, s35, s35
	s_xor_b64 s[38:39], s[6:7], s[36:37]
	v_cvt_f32_u32_e32 v1, s38
	v_cvt_f32_u32_e32 v3, s39
	s_sub_u32 s5, 0, s38
	s_subb_u32 s6, 0, s39
	v_fmamk_f32 v1, v3, 0x4f800000, v1
	v_rcp_f32_e32 v1, v1
	s_nop 0
	v_mul_f32_e32 v1, 0x5f7ffffc, v1
	v_mul_f32_e32 v3, 0x2f800000, v1
	v_trunc_f32_e32 v3, v3
	v_fmamk_f32 v1, v3, 0xcf800000, v1
	v_cvt_u32_f32_e32 v3, v3
	v_cvt_u32_f32_e32 v1, v1
	v_readfirstlane_b32 s7, v3
	v_readfirstlane_b32 s11, v1
	s_mul_i32 s23, s5, s7
	s_mul_hi_u32 s40, s5, s11
	s_mul_i32 s33, s6, s11
	s_add_i32 s23, s40, s23
	s_add_i32 s23, s23, s33
	s_mul_i32 s41, s5, s11
	s_mul_hi_u32 s33, s11, s23
	s_mul_i32 s40, s11, s23
	s_mul_hi_u32 s11, s11, s41
	s_add_u32 s11, s11, s40
	s_addc_u32 s33, 0, s33
	s_mul_hi_u32 s42, s7, s41
	s_mul_i32 s41, s7, s41
	s_add_u32 s11, s11, s41
	s_mul_hi_u32 s40, s7, s23
	s_addc_u32 s11, s33, s42
	s_addc_u32 s33, s40, 0
	s_mul_i32 s23, s7, s23
	s_add_u32 s11, s11, s23
	s_addc_u32 s23, 0, s33
	v_add_co_u32_e32 v1, vcc, s11, v1
	s_cmp_lg_u64 vcc, 0
	s_addc_u32 s7, s7, s23
	v_readfirstlane_b32 s23, v1
	s_mul_i32 s11, s5, s7
	s_mul_hi_u32 s33, s5, s23
	s_add_i32 s11, s33, s11
	s_mul_i32 s6, s6, s23
	s_add_i32 s11, s11, s6
	s_mul_i32 s5, s5, s23
	s_mul_hi_u32 s33, s7, s5
	s_mul_i32 s40, s7, s5
	s_mul_i32 s42, s23, s11
	s_mul_hi_u32 s5, s23, s5
	s_mul_hi_u32 s41, s23, s11
	s_add_u32 s5, s5, s42
	s_addc_u32 s23, 0, s41
	s_add_u32 s5, s5, s40
	s_mul_hi_u32 s6, s7, s11
	s_addc_u32 s5, s23, s33
	s_addc_u32 s6, s6, 0
	s_mul_i32 s11, s7, s11
	s_add_u32 s5, s5, s11
	s_addc_u32 s6, 0, s6
	v_add_co_u32_e32 v1, vcc, s5, v1
	s_cmp_lg_u64 vcc, 0
	s_addc_u32 s5, s7, s6
	s_ashr_i32 s40, s29, 31
	s_add_u32 s6, s28, s40
	s_mov_b32 s41, s40
	s_addc_u32 s7, s29, s40
	s_xor_b64 s[42:43], s[6:7], s[40:41]
	v_readfirstlane_b32 s11, v1
	s_mul_i32 s7, s42, s5
	s_mul_hi_u32 s23, s42, s11
	s_mul_hi_u32 s6, s42, s5
	s_add_u32 s7, s23, s7
	s_addc_u32 s6, 0, s6
	s_mul_hi_u32 s33, s43, s11
	s_mul_i32 s11, s43, s11
	s_add_u32 s7, s7, s11
	s_mul_hi_u32 s23, s43, s5
	s_addc_u32 s6, s6, s33
	s_addc_u32 s7, s23, 0
	s_mul_i32 s5, s43, s5
	s_add_u32 s5, s6, s5
	s_addc_u32 s11, 0, s7
	s_mul_i32 s6, s38, s11
	s_mul_hi_u32 s7, s38, s5
	s_add_i32 s6, s7, s6
	s_mul_i32 s7, s39, s5
	s_add_i32 s23, s6, s7
	s_mul_i32 s7, s38, s5
	v_mov_b32_e32 v1, s7
	s_sub_i32 s6, s43, s23
	v_sub_co_u32_e32 v1, vcc, s42, v1
	s_cmp_lg_u64 vcc, 0
	s_subb_u32 s33, s6, s39
	v_subrev_co_u32_e64 v3, s[6:7], s38, v1
	s_cmp_lg_u64 s[6:7], 0
	s_subb_u32 s6, s33, 0
	s_cmp_ge_u32 s6, s39
	v_readfirstlane_b32 s33, v3
	s_cselect_b32 s7, -1, 0
	s_cmp_ge_u32 s33, s38
	s_cselect_b32 s33, -1, 0
	s_cmp_eq_u32 s6, s39
	s_cselect_b32 s6, s33, s7
	s_add_u32 s7, s5, 1
	s_addc_u32 s33, s11, 0
	s_add_u32 s42, s5, 2
	s_addc_u32 s44, s11, 0
	s_cmp_lg_u32 s6, 0
	s_cselect_b32 s6, s42, s7
	s_cselect_b32 s7, s44, s33
	s_cmp_lg_u64 vcc, 0
	s_subb_u32 s23, s43, s23
	s_cmp_ge_u32 s23, s39
	v_readfirstlane_b32 s42, v1
	s_cselect_b32 s33, -1, 0
	s_cmp_ge_u32 s42, s38
	s_cselect_b32 s38, -1, 0
	s_cmp_eq_u32 s23, s39
	s_cselect_b32 s23, s38, s33
	s_cmp_lg_u32 s23, 0
	s_cselect_b32 s7, s7, s11
	s_cselect_b32 s6, s6, s5
	s_xor_b64 s[36:37], s[40:41], s[36:37]
	s_xor_b64 s[6:7], s[6:7], s[36:37]
	s_sub_u32 s6, s6, s36
	s_subb_u32 s7, s7, s37
	s_cbranch_execnz .LBB65_7
.LBB65_6:
	v_cvt_f32_u32_e32 v1, s34
	s_sub_i32 s5, 0, s34
	s_mov_b32 s7, 0
	v_rcp_iflag_f32_e32 v1, v1
	s_nop 0
	v_mul_f32_e32 v1, 0x4f7ffffe, v1
	v_cvt_u32_f32_e32 v1, v1
	s_nop 0
	v_readfirstlane_b32 s6, v1
	s_mul_i32 s5, s5, s6
	s_mul_hi_u32 s5, s6, s5
	s_add_i32 s6, s6, s5
	s_mul_hi_u32 s5, s28, s6
	s_mul_i32 s11, s5, s34
	s_sub_i32 s11, s28, s11
	s_add_i32 s6, s5, 1
	s_sub_i32 s23, s11, s34
	s_cmp_ge_u32 s11, s34
	s_cselect_b32 s5, s6, s5
	s_cselect_b32 s11, s23, s11
	s_add_i32 s6, s5, 1
	s_cmp_ge_u32 s11, s34
	s_cselect_b32 s6, s6, s5
.LBB65_7:
	s_mul_i32 s5, s6, s35
	s_mul_hi_u32 s11, s6, s34
	s_load_dwordx2 s[30:31], s[2:3], 0x78
	s_add_i32 s5, s11, s5
	s_mul_i32 s11, s7, s34
	s_add_i32 s5, s5, s11
	s_mul_i32 s11, s6, s34
	s_sub_u32 s11, s28, s11
	s_subb_u32 s5, s29, s5
	v_cmp_gt_i32_e32 vcc, s22, v2
	s_mul_hi_u32 s34, s6, s8
	s_mul_i32 s35, s7, s8
	s_mul_i32 s36, s6, s8
	s_mul_hi_u32 s33, s11, s9
	s_mul_i32 s5, s5, s9
	s_mul_i32 s7, s11, s9
	s_and_saveexec_b64 s[28:29], vcc
	s_cbranch_execz .LBB65_10
; %bb.8:
	s_load_dwordx2 s[0:1], s[0:1], 0x4
	v_bfe_u32 v1, v0, 10, 10
	s_ashr_i32 s37, s8, 31
	s_ashr_i32 s23, s22, 31
	;; [unrolled: 1-line block ×3, first 2 shown]
	s_waitcnt lgkmcnt(0)
	s_lshr_b32 s0, s0, 16
	s_mul_i32 s0, s0, s1
	v_mul_lo_u32 v3, s0, v2
	v_mad_u32_u24 v1, v1, s1, v3
	s_mul_i32 s0, s6, s37
	s_load_dword s1, s[2:3], 0x8c
	s_add_i32 s0, s34, s0
	s_add_i32 s39, s0, s35
	s_ashr_i32 s0, s9, 31
	s_mul_i32 s0, s11, s0
	s_add_i32 s0, s33, s0
	s_add_i32 s40, s0, s5
	s_waitcnt lgkmcnt(0)
	s_and_b32 s38, s1, 0xffff
	s_lshl_b64 s[0:1], s[26:27], 1
	s_add_u32 s0, s24, s0
	v_bfe_u32 v0, v0, 20, 10
	v_mov_b32_e32 v5, 0
	s_addc_u32 s1, s25, s1
	s_lshl_b32 s24, s38, 1
	v_add_lshl_u32 v3, v1, v0, 1
	v_lshl_add_u64 v[0:1], s[0:1], 0, v[4:5]
	s_add_u32 s0, s36, s7
	s_addc_u32 s1, s39, s40
	v_lshl_add_u64 v[6:7], s[22:23], 1, v[0:1]
	s_add_u32 s23, s20, s10
	s_addc_u32 s25, s21, s41
	s_add_u32 s0, s23, s0
	s_addc_u32 s1, s25, s1
	v_lshl_add_u64 v[8:9], s[0:1], 0, v[4:5]
	s_mul_i32 s0, s13, s4
	s_mul_hi_u32 s1, s12, s4
	s_add_i32 s1, s1, s0
	s_mul_i32 s0, s12, s4
	s_load_dword s37, s[30:31], 0x0
	s_lshl_b64 s[0:1], s[0:1], 1
	s_add_u32 s0, s16, s0
	v_lshlrev_b32_e32 v4, 2, v2
	s_addc_u32 s1, s17, s1
	v_lshl_add_u64 v[4:5], s[0:1], 0, v[4:5]
	v_add_u32_e32 v10, 0x800, v3
	s_mov_b32 s27, 0
	v_lshl_add_u64 v[8:9], v[8:9], 0, 1
	v_lshl_add_u64 v[4:5], v[4:5], 0, 2
	s_lshl_b32 s26, s38, 2
	s_mov_b64 s[12:13], 0
	s_mov_b32 s23, 0x7f800000
	s_mov_b32 s25, 0x43700000
	v_mov_b32_e32 v11, 0xc3700000
	s_mov_b64 s[16:17], 0
	v_mov_b32_e32 v12, v2
.LBB65_9:                               ; =>This Inner Loop Header: Depth=1
	v_lshl_add_u64 v[14:15], v[0:1], 0, s[16:17]
	v_lshl_add_u64 v[16:17], v[6:7], 0, s[16:17]
	global_load_ushort v13, v[14:15], off
	global_load_ushort v18, v[16:17], off
	global_load_dword v19, v[4:5], off offset:-2
	v_lshl_add_u64 v[14:15], v[8:9], 0, s[16:17]
	v_add_u32_e32 v12, s38, v12
	s_add_u32 s16, s16, s24
	s_addc_u32 s17, s17, 0
	v_cmp_le_i32_e32 vcc, s22, v12
	s_or_b64 s[12:13], vcc, s[12:13]
	v_mov_b32_e32 v17, 0
	v_mov_b32_e32 v16, 0
	s_waitcnt vmcnt(2)
	v_lshlrev_b32_e32 v13, 16, v13
	s_waitcnt vmcnt(1)
	v_lshlrev_b32_e32 v18, 16, v18
	v_cvt_f16_f32_e32 v18, v18
	v_cvt_f16_f32_e32 v13, v13
	s_waitcnt vmcnt(0)
	v_lshrrev_b32_e32 v20, 16, v19
	v_mul_f16_e32 v21, v20, v18
	v_mul_f16_e32 v18, v19, v18
	v_fma_f16 v19, v19, v13, -v21
	v_fma_f16 v13, v20, v13, v18
	ds_write_b16 v10, v19
	ds_write_b16 v3, v13
	v_pack_b32_f16 v13, v19, v13
	ds_read_b32 v18, v10
	ds_read_b32 v19, v3
	global_store_dword v[4:5], v13, off offset:-2
	v_lshl_add_u64 v[4:5], v[4:5], 0, s[26:27]
	s_waitcnt lgkmcnt(0)
	v_div_scale_f32 v20, s[0:1], s37, s37, v18
	v_div_scale_f32 v22, s[0:1], s37, s37, v19
	v_rcp_f32_e32 v24, v20
	v_rcp_f32_e32 v25, v22
	v_div_scale_f32 v21, vcc, v18, s37, v18
	v_fma_f32 v26, -v20, v24, 1.0
	v_fma_f32 v27, -v22, v25, 1.0
	v_fmac_f32_e32 v24, v26, v24
	v_div_scale_f32 v23, s[0:1], v19, s37, v19
	v_fmac_f32_e32 v25, v27, v25
	v_mul_f32_e32 v26, v21, v24
	v_mul_f32_e32 v27, v23, v25
	v_fma_f32 v28, -v20, v26, v21
	v_fma_f32 v29, -v22, v27, v23
	v_fmac_f32_e32 v26, v28, v24
	v_fmac_f32_e32 v27, v29, v25
	v_fma_f32 v20, -v20, v26, v21
	v_fma_f32 v21, -v22, v27, v23
	v_div_fmas_f32 v20, v20, v24, v26
	s_mov_b64 vcc, s[0:1]
	v_div_fixup_f32 v18, v20, s37, v18
	v_div_fmas_f32 v20, v21, v25, v27
	v_med3_f32 v21, v18, s25, v11
	v_div_fixup_f32 v19, v20, s37, v19
	v_cmp_nlg_f32_e64 vcc, |v18|, s23
	v_med3_f32 v20, v19, s25, v11
	s_nop 0
	v_cndmask_b32_e32 v18, v21, v18, vcc
	v_cmp_nlg_f32_e64 vcc, |v19|, s23
	v_cvt_pk_fp8_f32 v16, v18, v18
	s_nop 0
	v_cndmask_b32_e32 v19, v20, v19, vcc
	v_cvt_pk_fp8_f32 v17, v19, v19
	v_lshlrev_b16_e32 v13, 8, v17
	v_or_b32_sdwa v13, v16, v13 dst_sel:DWORD dst_unused:UNUSED_PAD src0_sel:BYTE_0 src1_sel:DWORD
	global_store_short v[14:15], v13, off offset:-1
	s_andn2_b64 exec, exec, s[12:13]
	s_cbranch_execnz .LBB65_9
.LBB65_10:
	s_or_b64 exec, exec, s[28:29]
	v_cmp_gt_i32_e32 vcc, s10, v2
	s_and_saveexec_b64 s[0:1], vcc
	s_cbranch_execz .LBB65_13
; %bb.11:
	s_mul_i32 s0, s4, s15
	s_mul_hi_u32 s1, s4, s14
	s_add_i32 s1, s1, s0
	s_mul_i32 s0, s4, s14
	s_lshl_b64 s[0:1], s[0:1], 1
	s_add_u32 s0, s18, s0
	s_addc_u32 s1, s19, s1
	s_ashr_i32 s4, s8, 31
	s_mul_i32 s4, s6, s4
	s_add_i32 s4, s34, s4
	s_add_i32 s4, s4, s35
	s_add_u32 s6, s20, s36
	s_addc_u32 s4, s21, s4
	s_ashr_i32 s8, s9, 31
	s_mul_i32 s11, s11, s8
	s_add_i32 s8, s33, s11
	s_load_dword s9, s[2:3], 0x8c
	s_add_i32 s8, s8, s5
	s_add_u32 s2, s6, s7
	s_waitcnt lgkmcnt(0)
	s_load_dword s6, s[30:31], 0x0
	s_addc_u32 s3, s4, s8
	s_and_b32 s7, s9, 0xffff
	s_mov_b64 s[4:5], 0
	s_mov_b32 s8, 0x7f800000
	s_mov_b32 s9, 0x43700000
	v_mov_b32_e32 v0, 0xc3700000
.LBB65_12:                              ; =>This Inner Loop Header: Depth=1
	v_ashrrev_i32_e32 v3, 31, v2
	v_lshl_add_u64 v[4:5], v[2:3], 1, s[0:1]
	global_load_dword v1, v[4:5], off
	v_mov_b32_e32 v6, 0
	s_waitcnt vmcnt(0) lgkmcnt(0)
	v_div_scale_f32 v4, s[12:13], s6, s6, v1
	v_rcp_f32_e32 v5, v4
	v_div_scale_f32 v7, vcc, v1, s6, v1
	v_fma_f32 v8, -v4, v5, 1.0
	v_fmac_f32_e32 v5, v8, v5
	v_mul_f32_e32 v8, v7, v5
	v_fma_f32 v9, -v4, v8, v7
	v_fmac_f32_e32 v8, v9, v5
	v_fma_f32 v4, -v4, v8, v7
	v_div_fmas_f32 v4, v4, v5, v8
	v_div_fixup_f32 v1, v4, s6, v1
	v_med3_f32 v4, v1, s9, v0
	v_cmp_nlg_f32_e64 vcc, |v1|, s8
	s_nop 1
	v_cndmask_b32_e32 v1, v4, v1, vcc
	v_cvt_pk_fp8_f32 v6, v1, v1
	v_lshl_add_u64 v[4:5], s[2:3], 0, v[2:3]
	v_add_u32_e32 v2, s7, v2
	v_cmp_le_i32_e32 vcc, s10, v2
	s_or_b64 s[4:5], vcc, s[4:5]
	global_store_byte v[4:5], v6, off
	s_andn2_b64 exec, exec, s[4:5]
	s_cbranch_execnz .LBB65_12
.LBB65_13:
	s_endpgm
.LBB65_14:
                                        ; implicit-def: $sgpr6_sgpr7
	s_branch .LBB65_6
	.section	.rodata,"a",@progbits
	.p2align	6, 0x0
	.amdhsa_kernel _ZN4vllm38concat_and_cache_mla_rope_fused_kernelIN3c104HalfENS1_8BFloat16ELb0EfhLNS_18Fp8KVCacheDataTypeE1EEEvPKlPT_S8_PKS7_PKT0_illlliPT3_S6_iiiiPKf
		.amdhsa_group_segment_fixed_size 4096
		.amdhsa_private_segment_fixed_size 0
		.amdhsa_kernarg_size 384
		.amdhsa_user_sgpr_count 4
		.amdhsa_user_sgpr_dispatch_ptr 1
		.amdhsa_user_sgpr_queue_ptr 0
		.amdhsa_user_sgpr_kernarg_segment_ptr 1
		.amdhsa_user_sgpr_dispatch_id 0
		.amdhsa_user_sgpr_kernarg_preload_length 0
		.amdhsa_user_sgpr_kernarg_preload_offset 0
		.amdhsa_user_sgpr_private_segment_size 0
		.amdhsa_uses_dynamic_stack 0
		.amdhsa_enable_private_segment 0
		.amdhsa_system_sgpr_workgroup_id_x 1
		.amdhsa_system_sgpr_workgroup_id_y 0
		.amdhsa_system_sgpr_workgroup_id_z 0
		.amdhsa_system_sgpr_workgroup_info 0
		.amdhsa_system_vgpr_workitem_id 2
		.amdhsa_next_free_vgpr 30
		.amdhsa_next_free_sgpr 45
		.amdhsa_accum_offset 32
		.amdhsa_reserve_vcc 1
		.amdhsa_float_round_mode_32 0
		.amdhsa_float_round_mode_16_64 0
		.amdhsa_float_denorm_mode_32 3
		.amdhsa_float_denorm_mode_16_64 3
		.amdhsa_dx10_clamp 1
		.amdhsa_ieee_mode 1
		.amdhsa_fp16_overflow 0
		.amdhsa_tg_split 0
		.amdhsa_exception_fp_ieee_invalid_op 0
		.amdhsa_exception_fp_denorm_src 0
		.amdhsa_exception_fp_ieee_div_zero 0
		.amdhsa_exception_fp_ieee_overflow 0
		.amdhsa_exception_fp_ieee_underflow 0
		.amdhsa_exception_fp_ieee_inexact 0
		.amdhsa_exception_int_div_zero 0
	.end_amdhsa_kernel
	.section	.text._ZN4vllm38concat_and_cache_mla_rope_fused_kernelIN3c104HalfENS1_8BFloat16ELb0EfhLNS_18Fp8KVCacheDataTypeE1EEEvPKlPT_S8_PKS7_PKT0_illlliPT3_S6_iiiiPKf,"axG",@progbits,_ZN4vllm38concat_and_cache_mla_rope_fused_kernelIN3c104HalfENS1_8BFloat16ELb0EfhLNS_18Fp8KVCacheDataTypeE1EEEvPKlPT_S8_PKS7_PKT0_illlliPT3_S6_iiiiPKf,comdat
.Lfunc_end65:
	.size	_ZN4vllm38concat_and_cache_mla_rope_fused_kernelIN3c104HalfENS1_8BFloat16ELb0EfhLNS_18Fp8KVCacheDataTypeE1EEEvPKlPT_S8_PKS7_PKT0_illlliPT3_S6_iiiiPKf, .Lfunc_end65-_ZN4vllm38concat_and_cache_mla_rope_fused_kernelIN3c104HalfENS1_8BFloat16ELb0EfhLNS_18Fp8KVCacheDataTypeE1EEEvPKlPT_S8_PKS7_PKT0_illlliPT3_S6_iiiiPKf
                                        ; -- End function
	.section	.AMDGPU.csdata,"",@progbits
; Kernel info:
; codeLenInByte = 2464
; NumSgprs: 51
; NumVgprs: 30
; NumAgprs: 0
; TotalNumVgprs: 30
; ScratchSize: 0
; MemoryBound: 0
; FloatMode: 240
; IeeeMode: 1
; LDSByteSize: 4096 bytes/workgroup (compile time only)
; SGPRBlocks: 6
; VGPRBlocks: 3
; NumSGPRsForWavesPerEU: 51
; NumVGPRsForWavesPerEU: 30
; AccumOffset: 32
; Occupancy: 8
; WaveLimiterHint : 1
; COMPUTE_PGM_RSRC2:SCRATCH_EN: 0
; COMPUTE_PGM_RSRC2:USER_SGPR: 4
; COMPUTE_PGM_RSRC2:TRAP_HANDLER: 0
; COMPUTE_PGM_RSRC2:TGID_X_EN: 1
; COMPUTE_PGM_RSRC2:TGID_Y_EN: 0
; COMPUTE_PGM_RSRC2:TGID_Z_EN: 0
; COMPUTE_PGM_RSRC2:TIDIG_COMP_CNT: 2
; COMPUTE_PGM_RSRC3_GFX90A:ACCUM_OFFSET: 7
; COMPUTE_PGM_RSRC3_GFX90A:TG_SPLIT: 0
	.section	.text._ZN4vllm38concat_and_cache_mla_rope_fused_kernelIN3c108BFloat16EfLb1EfhLNS_18Fp8KVCacheDataTypeE1EEEvPKlPT_S7_PKS6_PKT0_illlliPT3_S5_iiiiPKf,"axG",@progbits,_ZN4vllm38concat_and_cache_mla_rope_fused_kernelIN3c108BFloat16EfLb1EfhLNS_18Fp8KVCacheDataTypeE1EEEvPKlPT_S7_PKS6_PKT0_illlliPT3_S5_iiiiPKf,comdat
	.protected	_ZN4vllm38concat_and_cache_mla_rope_fused_kernelIN3c108BFloat16EfLb1EfhLNS_18Fp8KVCacheDataTypeE1EEEvPKlPT_S7_PKS6_PKT0_illlliPT3_S5_iiiiPKf ; -- Begin function _ZN4vllm38concat_and_cache_mla_rope_fused_kernelIN3c108BFloat16EfLb1EfhLNS_18Fp8KVCacheDataTypeE1EEEvPKlPT_S7_PKS6_PKT0_illlliPT3_S5_iiiiPKf
	.globl	_ZN4vllm38concat_and_cache_mla_rope_fused_kernelIN3c108BFloat16EfLb1EfhLNS_18Fp8KVCacheDataTypeE1EEEvPKlPT_S7_PKS6_PKT0_illlliPT3_S5_iiiiPKf
	.p2align	8
	.type	_ZN4vllm38concat_and_cache_mla_rope_fused_kernelIN3c108BFloat16EfLb1EfhLNS_18Fp8KVCacheDataTypeE1EEEvPKlPT_S7_PKS6_PKT0_illlliPT3_S5_iiiiPKf,@function
_ZN4vllm38concat_and_cache_mla_rope_fused_kernelIN3c108BFloat16EfLb1EfhLNS_18Fp8KVCacheDataTypeE1EEEvPKlPT_S7_PKS6_PKT0_illlliPT3_S5_iiiiPKf: ; @_ZN4vllm38concat_and_cache_mla_rope_fused_kernelIN3c108BFloat16EfLb1EfhLNS_18Fp8KVCacheDataTypeE1EEEvPKlPT_S7_PKS6_PKT0_illlliPT3_S5_iiiiPKf
; %bb.0:
	s_load_dwordx2 s[8:9], s[2:3], 0x60
	s_mov_b32 s5, 0
	s_lshl_b64 s[6:7], s[4:5], 3
	s_waitcnt lgkmcnt(0)
	s_add_u32 s8, s8, s6
	s_addc_u32 s9, s9, s7
	s_load_dwordx2 s[34:35], s[8:9], 0x0
	s_waitcnt lgkmcnt(0)
	v_cmp_lt_i64_e64 s[8:9], s[34:35], 0
	s_and_b64 vcc, exec, s[8:9]
	s_cbranch_vccnz .LBB66_13
; %bb.1:
	s_load_dword s5, s[2:3], 0x28
	s_load_dwordx2 s[8:9], s[2:3], 0x0
	s_load_dwordx2 s[28:29], s[2:3], 0x20
	s_load_dwordx4 s[20:23], s[2:3], 0x10
	v_and_b32_e32 v2, 0x3ff, v0
	s_waitcnt lgkmcnt(0)
	s_ashr_i32 s10, s5, 31
	s_add_u32 s6, s8, s6
	s_addc_u32 s7, s9, s7
	s_load_dwordx2 s[8:9], s[6:7], 0x0
	s_load_dwordx8 s[12:19], s[2:3], 0x30
	s_load_dwordx2 s[24:25], s[2:3], 0x58
	s_load_dword s11, s[2:3], 0x50
	s_waitcnt lgkmcnt(0)
	s_mul_i32 s6, s8, s10
	s_mul_hi_u32 s7, s8, s5
	s_add_i32 s6, s7, s6
	s_mul_i32 s7, s9, s5
	s_add_i32 s31, s6, s7
	s_lshr_b32 s6, s5, 31
	s_mul_i32 s30, s8, s5
	s_add_i32 s5, s5, s6
	s_ashr_i32 s26, s5, 1
	s_mul_i32 s5, s26, s11
	v_cmp_gt_i32_e32 vcc, s5, v2
	s_and_saveexec_b64 s[36:37], vcc
	s_cbranch_execz .LBB66_4
; %bb.2:
	s_lshl_b64 s[6:7], s[30:31], 2
	s_add_u32 s38, s28, s6
	s_addc_u32 s39, s29, s7
	s_load_dwordx2 s[6:7], s[2:3], 0x8
	s_load_dword s10, s[2:3], 0x8c
	s_mul_i32 s8, s4, s13
	s_mul_hi_u32 s9, s4, s12
	s_add_i32 s9, s9, s8
	s_mul_i32 s8, s4, s12
	s_ashr_i32 s27, s26, 31
	s_lshl_b64 s[8:9], s[8:9], 1
	s_waitcnt lgkmcnt(0)
	s_add_u32 s12, s6, s8
	s_addc_u32 s13, s7, s9
	s_abs_i32 s33, s26
	v_cvt_f32_u32_e32 v1, s33
	s_sub_i32 s6, 0, s33
	s_and_b32 s42, s10, 0xffff
	s_sub_i32 s43, 0, s26
	v_rcp_iflag_f32_e32 v1, v1
	s_mov_b64 s[40:41], 0
	s_movk_i32 s44, 0x7fff
	v_mov_b32_e32 v5, 0x7fc0
	v_mul_f32_e32 v1, 0x4f7ffffe, v1
	v_cvt_u32_f32_e32 v1, v1
	v_mov_b32_e32 v4, v2
	v_mul_lo_u32 v3, s6, v1
	v_mul_hi_u32 v3, v1, v3
	v_add_u32_e32 v1, v1, v3
	v_mov_b32_e32 v3, 0x7fc00000
.LBB66_3:                               ; =>This Inner Loop Header: Depth=1
	v_sub_u32_e32 v7, 0, v4
	v_max_i32_e32 v7, v4, v7
	v_mul_hi_u32 v8, v7, v1
	v_mul_lo_u32 v9, v8, s33
	v_sub_u32_e32 v7, v7, v9
	v_add_u32_e32 v10, 1, v8
	v_cmp_le_u32_e32 vcc, s33, v7
	v_subrev_u32_e32 v9, s33, v7
	v_ashrrev_i32_e32 v6, 31, v4
	v_cndmask_b32_e32 v8, v8, v10, vcc
	v_cndmask_b32_e32 v7, v7, v9, vcc
	v_add_u32_e32 v9, 1, v8
	v_cmp_le_u32_e32 vcc, s33, v7
	v_xor_b32_e32 v6, s27, v6
	s_nop 0
	v_cndmask_b32_e32 v7, v8, v9, vcc
	v_xor_b32_e32 v7, v7, v6
	v_sub_u32_e32 v8, v7, v6
	v_mad_u64_u32 v[6:7], s[6:7], s43, v8, v[4:5]
	v_ashrrev_i32_e32 v10, 31, v8
	v_mul_lo_u32 v12, v8, s15
	v_mad_u64_u32 v[8:9], s[6:7], v8, s14, 0
	v_ashrrev_i32_e32 v7, 31, v6
	v_mul_lo_u32 v13, v10, s14
	v_lshl_add_u64 v[10:11], v[6:7], 2, s[38:39]
	v_add3_u32 v9, v9, v12, v13
	v_lshl_add_u64 v[12:13], s[26:27], 2, v[10:11]
	v_lshl_add_u64 v[8:9], v[8:9], 1, s[12:13]
	global_load_dword v14, v[10:11], off
	global_load_dword v15, v[12:13], off
	v_lshl_add_u64 v[6:7], v[6:7], 1, v[8:9]
	v_lshl_add_u64 v[8:9], s[26:27], 1, v[6:7]
	global_load_ushort v10, v[6:7], off
	global_load_ushort v12, v[8:9], off
	v_add_u32_e32 v4, s42, v4
	v_cmp_le_i32_e32 vcc, s5, v4
	s_or_b64 s[40:41], vcc, s[40:41]
	s_waitcnt vmcnt(3)
	v_bfe_u32 v11, v14, 16, 1
	s_waitcnt vmcnt(2)
	v_bfe_u32 v13, v15, 16, 1
	v_add3_u32 v11, v14, v11, s44
	v_add3_u32 v13, v15, v13, s44
	v_and_b32_e32 v16, 0xffff0000, v11
	v_cmp_o_f32_e32 vcc, v14, v14
	v_and_b32_e32 v13, 0xffff0000, v13
	s_waitcnt vmcnt(1)
	v_lshlrev_b32_e32 v11, 16, v10
	s_waitcnt vmcnt(0)
	v_lshlrev_b32_e32 v10, 16, v12
	v_cndmask_b32_e32 v12, v3, v16, vcc
	v_cmp_o_f32_e32 vcc, v15, v15
	v_mov_b32_e32 v14, v11
	v_mov_b32_e32 v15, v10
	v_cndmask_b32_e32 v13, v3, v13, vcc
	v_pk_mul_f32 v[14:15], v[12:13], v[14:15]
	v_pk_mul_f32 v[10:11], v[12:13], v[10:11]
	v_bfe_u32 v12, v14, 16, 1
	v_bfe_u32 v13, v15, 16, 1
	;; [unrolled: 1-line block ×4, first 2 shown]
	v_add3_u32 v13, v15, v13, s44
	v_add3_u32 v12, v14, v12, s44
	;; [unrolled: 1-line block ×4, first 2 shown]
	v_and_b32_e32 v12, 0xffff0000, v12
	v_and_b32_e32 v13, 0xffff0000, v13
	v_cmp_o_f32_e32 vcc, v14, v14
	v_cmp_o_f32_e64 s[10:11], v15, v15
	v_and_b32_e32 v14, 0xffff0000, v16
	v_and_b32_e32 v16, 0xffff0000, v17
	v_cmp_o_f32_e64 s[6:7], v11, v11
	v_cmp_o_f32_e64 s[8:9], v10, v10
	v_cndmask_b32_e64 v10, v3, v13, s[10:11]
	v_cndmask_b32_e32 v11, v3, v12, vcc
	v_cndmask_b32_e64 v12, v3, v16, s[6:7]
	v_cndmask_b32_e64 v13, v3, v14, s[8:9]
	v_sub_f32_e32 v10, v11, v10
	v_add_f32_e32 v11, v13, v12
	v_bfe_u32 v12, v10, 16, 1
	v_bfe_u32 v13, v11, 16, 1
	v_add3_u32 v12, v10, v12, s44
	v_add3_u32 v13, v11, v13, s44
	v_lshrrev_b32_e32 v12, 16, v12
	v_cmp_o_f32_e64 s[6:7], v10, v10
	v_lshrrev_b32_e32 v13, 16, v13
	v_cmp_o_f32_e32 vcc, v11, v11
	v_cndmask_b32_e64 v10, v5, v12, s[6:7]
	s_nop 0
	v_cndmask_b32_e32 v11, v5, v13, vcc
	global_store_short v[6:7], v10, off
	global_store_short v[8:9], v11, off
	s_andn2_b64 exec, exec, s[40:41]
	s_cbranch_execnz .LBB66_3
.LBB66_4:
	s_or_b64 exec, exec, s[36:37]
	s_load_dwordx4 s[12:15], s[2:3], 0x68
	s_waitcnt lgkmcnt(0)
	s_ashr_i32 s9, s15, 31
	s_mov_b32 s8, s15
	s_or_b64 s[6:7], s[34:35], s[8:9]
	s_mov_b32 s6, 0
	s_cmp_lg_u64 s[6:7], 0
	s_cbranch_scc0 .LBB66_14
; %bb.5:
	s_add_u32 s6, s8, s9
	s_mov_b32 s10, s9
	s_mov_b32 s11, s9
	s_addc_u32 s7, s9, s9
	s_xor_b64 s[38:39], s[6:7], s[10:11]
	v_cvt_f32_u32_e32 v1, s38
	v_cvt_f32_u32_e32 v3, s39
	s_sub_u32 s5, 0, s38
	s_subb_u32 s6, 0, s39
	v_fmamk_f32 v1, v3, 0x4f800000, v1
	v_rcp_f32_e32 v1, v1
	s_nop 0
	v_mul_f32_e32 v1, 0x5f7ffffc, v1
	v_mul_f32_e32 v3, 0x2f800000, v1
	v_trunc_f32_e32 v3, v3
	v_fmamk_f32 v1, v3, 0xcf800000, v1
	v_cvt_u32_f32_e32 v3, v3
	v_cvt_u32_f32_e32 v1, v1
	v_readfirstlane_b32 s7, v3
	v_readfirstlane_b32 s15, v1
	s_mul_i32 s27, s5, s7
	s_mul_hi_u32 s40, s5, s15
	s_mul_i32 s33, s6, s15
	s_add_i32 s27, s40, s27
	s_add_i32 s27, s27, s33
	s_mul_i32 s41, s5, s15
	s_mul_hi_u32 s33, s15, s27
	s_mul_i32 s40, s15, s27
	s_mul_hi_u32 s15, s15, s41
	s_add_u32 s15, s15, s40
	s_addc_u32 s33, 0, s33
	s_mul_hi_u32 s42, s7, s41
	s_mul_i32 s41, s7, s41
	s_add_u32 s15, s15, s41
	s_mul_hi_u32 s40, s7, s27
	s_addc_u32 s15, s33, s42
	s_addc_u32 s33, s40, 0
	s_mul_i32 s27, s7, s27
	s_add_u32 s15, s15, s27
	s_addc_u32 s27, 0, s33
	v_add_co_u32_e32 v1, vcc, s15, v1
	s_cmp_lg_u64 vcc, 0
	s_addc_u32 s7, s7, s27
	v_readfirstlane_b32 s27, v1
	s_mul_i32 s15, s5, s7
	s_mul_hi_u32 s33, s5, s27
	s_add_i32 s15, s33, s15
	s_mul_i32 s6, s6, s27
	s_add_i32 s15, s15, s6
	s_mul_i32 s5, s5, s27
	s_mul_hi_u32 s33, s7, s5
	s_mul_i32 s40, s7, s5
	s_mul_i32 s42, s27, s15
	s_mul_hi_u32 s5, s27, s5
	s_mul_hi_u32 s41, s27, s15
	s_add_u32 s5, s5, s42
	s_addc_u32 s27, 0, s41
	s_add_u32 s5, s5, s40
	s_mul_hi_u32 s6, s7, s15
	s_addc_u32 s5, s27, s33
	s_addc_u32 s6, s6, 0
	s_mul_i32 s15, s7, s15
	s_add_u32 s5, s5, s15
	s_addc_u32 s6, 0, s6
	v_add_co_u32_e32 v1, vcc, s5, v1
	s_cmp_lg_u64 vcc, 0
	s_addc_u32 s5, s7, s6
	s_ashr_i32 s40, s35, 31
	s_add_u32 s6, s34, s40
	s_mov_b32 s41, s40
	s_addc_u32 s7, s35, s40
	s_xor_b64 s[42:43], s[6:7], s[40:41]
	v_readfirstlane_b32 s15, v1
	s_mul_i32 s7, s42, s5
	s_mul_hi_u32 s27, s42, s15
	s_mul_hi_u32 s6, s42, s5
	s_add_u32 s7, s27, s7
	s_addc_u32 s6, 0, s6
	s_mul_hi_u32 s33, s43, s15
	s_mul_i32 s15, s43, s15
	s_add_u32 s7, s7, s15
	s_mul_hi_u32 s27, s43, s5
	s_addc_u32 s6, s6, s33
	s_addc_u32 s7, s27, 0
	s_mul_i32 s5, s43, s5
	s_add_u32 s5, s6, s5
	s_addc_u32 s15, 0, s7
	s_mul_i32 s6, s38, s15
	s_mul_hi_u32 s7, s38, s5
	s_add_i32 s6, s7, s6
	s_mul_i32 s7, s39, s5
	s_add_i32 s27, s6, s7
	s_mul_i32 s7, s38, s5
	v_mov_b32_e32 v1, s7
	s_sub_i32 s6, s43, s27
	v_sub_co_u32_e32 v1, vcc, s42, v1
	s_cmp_lg_u64 vcc, 0
	s_subb_u32 s33, s6, s39
	v_subrev_co_u32_e64 v3, s[6:7], s38, v1
	s_cmp_lg_u64 s[6:7], 0
	s_subb_u32 s6, s33, 0
	s_cmp_ge_u32 s6, s39
	v_readfirstlane_b32 s33, v3
	s_cselect_b32 s7, -1, 0
	s_cmp_ge_u32 s33, s38
	s_cselect_b32 s33, -1, 0
	s_cmp_eq_u32 s6, s39
	s_cselect_b32 s6, s33, s7
	s_add_u32 s7, s5, 1
	s_addc_u32 s33, s15, 0
	s_add_u32 s42, s5, 2
	s_addc_u32 s44, s15, 0
	s_cmp_lg_u32 s6, 0
	s_cselect_b32 s6, s42, s7
	s_cselect_b32 s7, s44, s33
	s_cmp_lg_u64 vcc, 0
	s_subb_u32 s27, s43, s27
	s_cmp_ge_u32 s27, s39
	v_readfirstlane_b32 s42, v1
	s_cselect_b32 s33, -1, 0
	s_cmp_ge_u32 s42, s38
	s_cselect_b32 s38, -1, 0
	s_cmp_eq_u32 s27, s39
	s_cselect_b32 s27, s38, s33
	s_cmp_lg_u32 s27, 0
	s_cselect_b32 s7, s7, s15
	s_cselect_b32 s6, s6, s5
	s_xor_b64 s[10:11], s[40:41], s[10:11]
	s_xor_b64 s[6:7], s[6:7], s[10:11]
	s_sub_u32 s10, s6, s10
	s_subb_u32 s11, s7, s11
	s_cbranch_execnz .LBB66_7
.LBB66_6:
	v_cvt_f32_u32_e32 v1, s8
	s_sub_i32 s5, 0, s8
	s_mov_b32 s11, 0
	v_rcp_iflag_f32_e32 v1, v1
	s_nop 0
	v_mul_f32_e32 v1, 0x4f7ffffe, v1
	v_cvt_u32_f32_e32 v1, v1
	s_nop 0
	v_readfirstlane_b32 s6, v1
	s_mul_i32 s5, s5, s6
	s_mul_hi_u32 s5, s6, s5
	s_add_i32 s6, s6, s5
	s_mul_hi_u32 s5, s34, s6
	s_mul_i32 s7, s5, s8
	s_sub_i32 s7, s34, s7
	s_add_i32 s6, s5, 1
	s_sub_i32 s10, s7, s8
	s_cmp_ge_u32 s7, s8
	s_cselect_b32 s5, s6, s5
	s_cselect_b32 s7, s10, s7
	s_add_i32 s6, s5, 1
	s_cmp_ge_u32 s7, s8
	s_cselect_b32 s10, s6, s5
.LBB66_7:
	s_mul_i32 s5, s10, s9
	s_mul_hi_u32 s6, s10, s8
	s_load_dwordx2 s[36:37], s[2:3], 0x78
	s_add_i32 s5, s6, s5
	s_mul_i32 s6, s11, s8
	s_add_i32 s5, s5, s6
	s_mul_i32 s6, s10, s8
	s_sub_u32 s15, s34, s6
	s_subb_u32 s5, s35, s5
	v_cmp_gt_i32_e32 vcc, s26, v2
	s_mul_hi_u32 s46, s10, s12
	s_mul_i32 s47, s11, s12
	s_mul_i32 s48, s10, s12
	s_mul_hi_u32 s33, s15, s13
	s_mul_i32 s5, s5, s13
	s_mul_i32 s11, s15, s13
	s_and_saveexec_b64 s[34:35], vcc
	s_cbranch_execz .LBB66_10
; %bb.8:
	s_load_dwordx2 s[0:1], s[0:1], 0x4
	v_bfe_u32 v1, v0, 10, 10
	s_ashr_i32 s6, s12, 31
	s_ashr_i32 s27, s26, 31
	s_load_dword s8, s[2:3], 0x8c
	s_waitcnt lgkmcnt(0)
	s_lshr_b32 s0, s0, 16
	s_mul_i32 s0, s0, s1
	v_mul_lo_u32 v3, s0, v2
	v_mad_u32_u24 v1, v1, s1, v3
	s_ashr_i32 s1, s13, 31
	s_mul_i32 s0, s10, s6
	s_mul_i32 s1, s15, s1
	s_add_i32 s0, s46, s0
	s_add_i32 s1, s33, s1
	;; [unrolled: 1-line block ×4, first 2 shown]
	s_add_u32 s6, s48, s11
	s_addc_u32 s7, s0, s1
	s_add_u32 s0, s6, s24
	s_addc_u32 s1, s7, s25
	s_ashr_i32 s9, s14, 31
	s_add_u32 s38, s0, s14
	s_addc_u32 s39, s1, s9
	s_and_b32 s50, s8, 0xffff
	s_lshl_b64 s[0:1], s[30:31], 2
	v_bfe_u32 v0, v0, 20, 10
	v_mov_b32_e32 v3, 0
	s_add_u32 s0, s28, s0
	v_add_lshl_u32 v10, v1, v0, 1
	v_lshlrev_b32_e32 v0, 2, v2
	v_mov_b32_e32 v1, v3
	s_addc_u32 s1, s29, s1
	v_lshl_add_u64 v[0:1], s[0:1], 0, v[0:1]
	s_mul_i32 s0, s17, s4
	s_mul_hi_u32 s1, s16, s4
	s_add_i32 s1, s1, s0
	s_mul_i32 s0, s16, s4
	s_lshl_b32 s40, s50, 2
	s_lshl_b64 s[28:29], s[26:27], 2
	s_lshl_b64 s[30:31], s[26:27], 1
	;; [unrolled: 1-line block ×3, first 2 shown]
	s_add_u32 s0, s20, s0
	v_lshlrev_b32_e32 v4, 1, v2
	v_mov_b32_e32 v5, v3
	s_addc_u32 s1, s21, s1
	s_lshl_b32 s16, s50, 1
	v_lshl_add_u64 v[4:5], s[0:1], 0, v[4:5]
	s_add_u32 s0, s6, s26
	s_load_dword s49, s[36:37], 0x0
	s_addc_u32 s1, s7, s27
	s_add_u32 s0, s0, s14
	s_addc_u32 s1, s1, s9
	s_mov_b32 s41, 0
	s_add_u32 s20, s24, s0
	v_add_u32_e32 v11, 0x800, v10
	s_mov_b32 s17, s41
	s_addc_u32 s21, s25, s1
	s_mov_b64 s[42:43], 0
	s_movk_i32 s27, 0x7fff
	v_mov_b32_e32 v12, 0x7fc00000
	v_mov_b32_e32 v13, 0x7fc0
	s_mov_b32 s51, 0x7f800000
	s_mov_b32 s52, 0x43700000
	v_mov_b32_e32 v14, 0xc3700000
	s_mov_b64 s[44:45], 0
.LBB66_9:                               ; =>This Inner Loop Header: Depth=1
	global_load_dword v15, v[0:1], off
	v_lshl_add_u64 v[8:9], v[0:1], 0, s[28:29]
	v_lshl_add_u64 v[6:7], v[4:5], 0, s[30:31]
	global_load_dword v23, v[8:9], off
	global_load_ushort v18, v[4:5], off
	global_load_ushort v20, v[6:7], off
	s_add_u32 s44, s44, s50
	s_addc_u32 s45, s45, 0
	v_lshl_add_u64 v[16:17], s[20:21], 0, v[2:3]
	s_add_u32 s20, s20, s50
	v_add_u32_e32 v19, s44, v2
	s_addc_u32 s21, s21, 0
	v_lshl_add_u64 v[8:9], s[38:39], 0, v[2:3]
	v_cmp_le_i32_e32 vcc, s26, v19
	s_add_u32 s38, s38, s50
	s_addc_u32 s39, s39, 0
	s_or_b64 s[42:43], vcc, s[42:43]
	v_mov_b32_e32 v24, 0
	v_mov_b32_e32 v25, 0
	v_lshl_add_u64 v[0:1], v[0:1], 0, s[40:41]
	s_waitcnt vmcnt(3)
	v_bfe_u32 v19, v15, 16, 1
	s_waitcnt vmcnt(2)
	v_bfe_u32 v21, v23, 16, 1
	v_add3_u32 v22, v15, v19, s27
	v_add3_u32 v26, v23, v21, s27
	v_and_b32_e32 v22, 0xffff0000, v22
	v_cmp_o_f32_e32 vcc, v15, v15
	s_waitcnt vmcnt(1)
	v_lshlrev_b32_e32 v19, 16, v18
	s_waitcnt vmcnt(0)
	v_lshlrev_b32_e32 v18, 16, v20
	v_and_b32_e32 v15, 0xffff0000, v26
	v_cndmask_b32_e32 v22, v12, v22, vcc
	v_cmp_o_f32_e32 vcc, v23, v23
	v_mov_b32_e32 v20, v19
	v_mov_b32_e32 v21, v18
	v_cndmask_b32_e32 v23, v12, v15, vcc
	v_pk_mul_f32 v[20:21], v[22:23], v[20:21]
	v_pk_mul_f32 v[18:19], v[22:23], v[18:19]
	v_bfe_u32 v15, v20, 16, 1
	v_bfe_u32 v22, v21, 16, 1
	v_bfe_u32 v23, v18, 16, 1
	v_bfe_u32 v26, v19, 16, 1
	v_add3_u32 v22, v21, v22, s27
	v_add3_u32 v15, v20, v15, s27
	v_add3_u32 v26, v19, v26, s27
	v_add3_u32 v23, v18, v23, s27
	v_and_b32_e32 v15, 0xffff0000, v15
	v_and_b32_e32 v22, 0xffff0000, v22
	v_cmp_o_f32_e32 vcc, v20, v20
	v_cmp_o_f32_e64 s[8:9], v21, v21
	v_and_b32_e32 v20, 0xffff0000, v23
	v_and_b32_e32 v23, 0xffff0000, v26
	v_cmp_o_f32_e64 s[0:1], v19, v19
	v_cmp_o_f32_e64 s[6:7], v18, v18
	v_cndmask_b32_e64 v18, v12, v22, s[8:9]
	v_cndmask_b32_e32 v15, v12, v15, vcc
	v_cndmask_b32_e64 v19, v12, v23, s[0:1]
	v_cndmask_b32_e64 v20, v12, v20, s[6:7]
	v_sub_f32_e32 v15, v15, v18
	v_add_f32_e32 v18, v20, v19
	v_bfe_u32 v19, v15, 16, 1
	v_bfe_u32 v20, v18, 16, 1
	v_add3_u32 v19, v15, v19, s27
	v_add3_u32 v20, v18, v20, s27
	v_lshrrev_b32_e32 v19, 16, v19
	v_cmp_o_f32_e64 s[0:1], v15, v15
	v_lshrrev_b32_e32 v20, 16, v20
	v_cmp_o_f32_e32 vcc, v18, v18
	v_cndmask_b32_e64 v15, v13, v19, s[0:1]
	s_nop 0
	v_cndmask_b32_e32 v18, v13, v20, vcc
	ds_write_b16 v11, v15
	ds_write_b16 v10, v18
	global_store_short v[4:5], v15, off
	ds_read_b32 v15, v11
	ds_read_b32 v19, v10
	v_lshl_add_u64 v[4:5], v[4:5], 0, s[16:17]
	global_store_short v[6:7], v18, off
	s_waitcnt lgkmcnt(0)
	v_div_scale_f32 v20, s[0:1], s49, s49, v15
	v_div_scale_f32 v22, s[0:1], s49, s49, v19
	v_rcp_f32_e32 v26, v20
	v_rcp_f32_e32 v27, v22
	v_div_scale_f32 v21, vcc, v15, s49, v15
	v_fma_f32 v28, -v20, v26, 1.0
	v_fma_f32 v29, -v22, v27, 1.0
	v_fmac_f32_e32 v26, v28, v26
	v_div_scale_f32 v23, s[0:1], v19, s49, v19
	v_fmac_f32_e32 v27, v29, v27
	v_mul_f32_e32 v28, v21, v26
	v_mul_f32_e32 v29, v23, v27
	v_fma_f32 v30, -v20, v28, v21
	v_fma_f32 v31, -v22, v29, v23
	v_fmac_f32_e32 v28, v30, v26
	v_fmac_f32_e32 v29, v31, v27
	v_fma_f32 v20, -v20, v28, v21
	v_fma_f32 v21, -v22, v29, v23
	v_div_fmas_f32 v20, v20, v26, v28
	s_mov_b64 vcc, s[0:1]
	v_div_fixup_f32 v15, v20, s49, v15
	v_div_fmas_f32 v20, v21, v27, v29
	v_med3_f32 v21, v15, s52, v14
	v_div_fixup_f32 v19, v20, s49, v19
	v_cmp_nlg_f32_e64 vcc, |v15|, s51
	v_med3_f32 v20, v19, s52, v14
	s_nop 0
	v_cndmask_b32_e32 v15, v21, v15, vcc
	v_cmp_nlg_f32_e64 vcc, |v19|, s51
	v_cvt_pk_fp8_f32 v24, v15, v15
	s_nop 0
	v_cndmask_b32_e32 v15, v20, v19, vcc
	v_cvt_pk_fp8_f32 v25, v15, v15
	global_store_byte v[8:9], v24, off
	global_store_byte v[16:17], v25, off
	s_andn2_b64 exec, exec, s[42:43]
	s_cbranch_execnz .LBB66_9
.LBB66_10:
	s_or_b64 exec, exec, s[34:35]
	v_cmp_gt_i32_e32 vcc, s14, v2
	s_and_saveexec_b64 s[0:1], vcc
	s_cbranch_execz .LBB66_13
; %bb.11:
	s_mul_i32 s0, s4, s19
	s_mul_hi_u32 s1, s4, s18
	s_add_i32 s1, s1, s0
	s_mul_i32 s0, s4, s18
	s_lshl_b64 s[0:1], s[0:1], 1
	s_add_u32 s0, s22, s0
	s_addc_u32 s1, s23, s1
	s_ashr_i32 s4, s12, 31
	s_mul_i32 s4, s10, s4
	s_add_i32 s4, s46, s4
	s_add_i32 s4, s4, s47
	s_add_u32 s6, s24, s48
	s_addc_u32 s4, s25, s4
	s_ashr_i32 s7, s13, 31
	s_mul_i32 s15, s15, s7
	s_add_i32 s7, s33, s15
	s_load_dword s8, s[2:3], 0x8c
	s_add_i32 s7, s7, s5
	s_add_u32 s2, s6, s11
	s_waitcnt lgkmcnt(0)
	s_load_dword s6, s[36:37], 0x0
	s_addc_u32 s3, s4, s7
	s_and_b32 s7, s8, 0xffff
	s_mov_b64 s[4:5], 0
	s_mov_b32 s8, 0x7f800000
	s_mov_b32 s9, 0x43700000
	v_mov_b32_e32 v0, 0xc3700000
.LBB66_12:                              ; =>This Inner Loop Header: Depth=1
	v_ashrrev_i32_e32 v3, 31, v2
	v_lshl_add_u64 v[4:5], v[2:3], 1, s[0:1]
	global_load_dword v1, v[4:5], off
	v_mov_b32_e32 v6, 0
	s_waitcnt vmcnt(0) lgkmcnt(0)
	v_div_scale_f32 v4, s[10:11], s6, s6, v1
	v_rcp_f32_e32 v5, v4
	v_div_scale_f32 v7, vcc, v1, s6, v1
	v_fma_f32 v8, -v4, v5, 1.0
	v_fmac_f32_e32 v5, v8, v5
	v_mul_f32_e32 v8, v7, v5
	v_fma_f32 v9, -v4, v8, v7
	v_fmac_f32_e32 v8, v9, v5
	v_fma_f32 v4, -v4, v8, v7
	v_div_fmas_f32 v4, v4, v5, v8
	v_div_fixup_f32 v1, v4, s6, v1
	v_med3_f32 v4, v1, s9, v0
	v_cmp_nlg_f32_e64 vcc, |v1|, s8
	s_nop 1
	v_cndmask_b32_e32 v1, v4, v1, vcc
	v_cvt_pk_fp8_f32 v6, v1, v1
	v_lshl_add_u64 v[4:5], s[2:3], 0, v[2:3]
	v_add_u32_e32 v2, s7, v2
	v_cmp_le_i32_e32 vcc, s14, v2
	s_or_b64 s[4:5], vcc, s[4:5]
	global_store_byte v[4:5], v6, off
	s_andn2_b64 exec, exec, s[4:5]
	s_cbranch_execnz .LBB66_12
.LBB66_13:
	s_endpgm
.LBB66_14:
                                        ; implicit-def: $sgpr10_sgpr11
	s_branch .LBB66_6
	.section	.rodata,"a",@progbits
	.p2align	6, 0x0
	.amdhsa_kernel _ZN4vllm38concat_and_cache_mla_rope_fused_kernelIN3c108BFloat16EfLb1EfhLNS_18Fp8KVCacheDataTypeE1EEEvPKlPT_S7_PKS6_PKT0_illlliPT3_S5_iiiiPKf
		.amdhsa_group_segment_fixed_size 4096
		.amdhsa_private_segment_fixed_size 0
		.amdhsa_kernarg_size 384
		.amdhsa_user_sgpr_count 4
		.amdhsa_user_sgpr_dispatch_ptr 1
		.amdhsa_user_sgpr_queue_ptr 0
		.amdhsa_user_sgpr_kernarg_segment_ptr 1
		.amdhsa_user_sgpr_dispatch_id 0
		.amdhsa_user_sgpr_kernarg_preload_length 0
		.amdhsa_user_sgpr_kernarg_preload_offset 0
		.amdhsa_user_sgpr_private_segment_size 0
		.amdhsa_uses_dynamic_stack 0
		.amdhsa_enable_private_segment 0
		.amdhsa_system_sgpr_workgroup_id_x 1
		.amdhsa_system_sgpr_workgroup_id_y 0
		.amdhsa_system_sgpr_workgroup_id_z 0
		.amdhsa_system_sgpr_workgroup_info 0
		.amdhsa_system_vgpr_workitem_id 2
		.amdhsa_next_free_vgpr 32
		.amdhsa_next_free_sgpr 53
		.amdhsa_accum_offset 32
		.amdhsa_reserve_vcc 1
		.amdhsa_float_round_mode_32 0
		.amdhsa_float_round_mode_16_64 0
		.amdhsa_float_denorm_mode_32 3
		.amdhsa_float_denorm_mode_16_64 3
		.amdhsa_dx10_clamp 1
		.amdhsa_ieee_mode 1
		.amdhsa_fp16_overflow 0
		.amdhsa_tg_split 0
		.amdhsa_exception_fp_ieee_invalid_op 0
		.amdhsa_exception_fp_denorm_src 0
		.amdhsa_exception_fp_ieee_div_zero 0
		.amdhsa_exception_fp_ieee_overflow 0
		.amdhsa_exception_fp_ieee_underflow 0
		.amdhsa_exception_fp_ieee_inexact 0
		.amdhsa_exception_int_div_zero 0
	.end_amdhsa_kernel
	.section	.text._ZN4vllm38concat_and_cache_mla_rope_fused_kernelIN3c108BFloat16EfLb1EfhLNS_18Fp8KVCacheDataTypeE1EEEvPKlPT_S7_PKS6_PKT0_illlliPT3_S5_iiiiPKf,"axG",@progbits,_ZN4vllm38concat_and_cache_mla_rope_fused_kernelIN3c108BFloat16EfLb1EfhLNS_18Fp8KVCacheDataTypeE1EEEvPKlPT_S7_PKS6_PKT0_illlliPT3_S5_iiiiPKf,comdat
.Lfunc_end66:
	.size	_ZN4vllm38concat_and_cache_mla_rope_fused_kernelIN3c108BFloat16EfLb1EfhLNS_18Fp8KVCacheDataTypeE1EEEvPKlPT_S7_PKS6_PKT0_illlliPT3_S5_iiiiPKf, .Lfunc_end66-_ZN4vllm38concat_and_cache_mla_rope_fused_kernelIN3c108BFloat16EfLb1EfhLNS_18Fp8KVCacheDataTypeE1EEEvPKlPT_S7_PKS6_PKT0_illlliPT3_S5_iiiiPKf
                                        ; -- End function
	.section	.AMDGPU.csdata,"",@progbits
; Kernel info:
; codeLenInByte = 3096
; NumSgprs: 59
; NumVgprs: 32
; NumAgprs: 0
; TotalNumVgprs: 32
; ScratchSize: 0
; MemoryBound: 0
; FloatMode: 240
; IeeeMode: 1
; LDSByteSize: 4096 bytes/workgroup (compile time only)
; SGPRBlocks: 7
; VGPRBlocks: 3
; NumSGPRsForWavesPerEU: 59
; NumVGPRsForWavesPerEU: 32
; AccumOffset: 32
; Occupancy: 8
; WaveLimiterHint : 1
; COMPUTE_PGM_RSRC2:SCRATCH_EN: 0
; COMPUTE_PGM_RSRC2:USER_SGPR: 4
; COMPUTE_PGM_RSRC2:TRAP_HANDLER: 0
; COMPUTE_PGM_RSRC2:TGID_X_EN: 1
; COMPUTE_PGM_RSRC2:TGID_Y_EN: 0
; COMPUTE_PGM_RSRC2:TGID_Z_EN: 0
; COMPUTE_PGM_RSRC2:TIDIG_COMP_CNT: 2
; COMPUTE_PGM_RSRC3_GFX90A:ACCUM_OFFSET: 7
; COMPUTE_PGM_RSRC3_GFX90A:TG_SPLIT: 0
	.section	.text._ZN4vllm38concat_and_cache_mla_rope_fused_kernelIN3c108BFloat16EfLb0EfhLNS_18Fp8KVCacheDataTypeE1EEEvPKlPT_S7_PKS6_PKT0_illlliPT3_S5_iiiiPKf,"axG",@progbits,_ZN4vllm38concat_and_cache_mla_rope_fused_kernelIN3c108BFloat16EfLb0EfhLNS_18Fp8KVCacheDataTypeE1EEEvPKlPT_S7_PKS6_PKT0_illlliPT3_S5_iiiiPKf,comdat
	.protected	_ZN4vllm38concat_and_cache_mla_rope_fused_kernelIN3c108BFloat16EfLb0EfhLNS_18Fp8KVCacheDataTypeE1EEEvPKlPT_S7_PKS6_PKT0_illlliPT3_S5_iiiiPKf ; -- Begin function _ZN4vllm38concat_and_cache_mla_rope_fused_kernelIN3c108BFloat16EfLb0EfhLNS_18Fp8KVCacheDataTypeE1EEEvPKlPT_S7_PKS6_PKT0_illlliPT3_S5_iiiiPKf
	.globl	_ZN4vllm38concat_and_cache_mla_rope_fused_kernelIN3c108BFloat16EfLb0EfhLNS_18Fp8KVCacheDataTypeE1EEEvPKlPT_S7_PKS6_PKT0_illlliPT3_S5_iiiiPKf
	.p2align	8
	.type	_ZN4vllm38concat_and_cache_mla_rope_fused_kernelIN3c108BFloat16EfLb0EfhLNS_18Fp8KVCacheDataTypeE1EEEvPKlPT_S7_PKS6_PKT0_illlliPT3_S5_iiiiPKf,@function
_ZN4vllm38concat_and_cache_mla_rope_fused_kernelIN3c108BFloat16EfLb0EfhLNS_18Fp8KVCacheDataTypeE1EEEvPKlPT_S7_PKS6_PKT0_illlliPT3_S5_iiiiPKf: ; @_ZN4vllm38concat_and_cache_mla_rope_fused_kernelIN3c108BFloat16EfLb0EfhLNS_18Fp8KVCacheDataTypeE1EEEvPKlPT_S7_PKS6_PKT0_illlliPT3_S5_iiiiPKf
; %bb.0:
	s_load_dwordx2 s[8:9], s[2:3], 0x60
	s_mov_b32 s5, 0
	s_lshl_b64 s[6:7], s[4:5], 3
	s_waitcnt lgkmcnt(0)
	s_add_u32 s8, s8, s6
	s_addc_u32 s9, s9, s7
	s_load_dwordx2 s[34:35], s[8:9], 0x0
	s_waitcnt lgkmcnt(0)
	v_cmp_lt_i64_e64 s[8:9], s[34:35], 0
	s_and_b64 vcc, exec, s[8:9]
	s_cbranch_vccnz .LBB67_13
; %bb.1:
	s_load_dword s5, s[2:3], 0x28
	s_load_dwordx2 s[8:9], s[2:3], 0x0
	s_load_dwordx2 s[28:29], s[2:3], 0x20
	s_load_dwordx4 s[16:19], s[2:3], 0x10
	v_and_b32_e32 v2, 0x3ff, v0
	s_waitcnt lgkmcnt(0)
	s_ashr_i32 s22, s5, 31
	s_add_u32 s6, s8, s6
	s_addc_u32 s7, s9, s7
	s_load_dwordx2 s[20:21], s[6:7], 0x0
	s_load_dwordx8 s[8:15], s[2:3], 0x30
	s_load_dwordx2 s[24:25], s[2:3], 0x58
	s_load_dword s23, s[2:3], 0x50
	v_lshlrev_b32_e32 v4, 1, v2
	s_waitcnt lgkmcnt(0)
	s_mul_i32 s6, s20, s22
	s_mul_hi_u32 s7, s20, s5
	s_add_i32 s6, s7, s6
	s_mul_i32 s7, s21, s5
	s_add_i32 s31, s6, s7
	s_lshr_b32 s6, s5, 31
	s_mul_i32 s30, s20, s5
	s_add_i32 s5, s5, s6
	s_ashr_i32 s26, s5, 1
	s_mul_i32 s5, s26, s23
	v_cmp_gt_i32_e32 vcc, s5, v2
	s_and_saveexec_b64 s[20:21], vcc
	s_cbranch_execz .LBB67_4
; %bb.2:
	s_lshl_b64 s[6:7], s[30:31], 2
	s_add_u32 s22, s28, s6
	s_addc_u32 s23, s29, s7
	s_load_dwordx2 s[6:7], s[2:3], 0x8
	s_load_dword s36, s[2:3], 0x8c
	s_mul_i32 s9, s4, s9
	s_mul_hi_u32 s33, s4, s8
	s_add_i32 s9, s33, s9
	s_mul_i32 s8, s4, s8
	s_ashr_i32 s27, s26, 31
	s_lshl_b64 s[8:9], s[8:9], 1
	s_waitcnt lgkmcnt(0)
	s_add_u32 s8, s6, s8
	s_addc_u32 s9, s7, s9
	s_abs_i32 s33, s26
	v_cvt_f32_u32_e32 v1, s33
	s_sub_i32 s6, 0, s33
	s_and_b32 s38, s36, 0xffff
	s_sub_i32 s39, 0, s26
	v_rcp_iflag_f32_e32 v1, v1
	s_lshl_b32 s41, s38, 1
	s_mov_b64 s[36:37], 0
	s_movk_i32 s42, 0x7fff
	v_mul_f32_e32 v1, 0x4f7ffffe, v1
	v_cvt_u32_f32_e32 v1, v1
	v_mov_b32_e32 v5, 0x7fc0
	s_mov_b32 s43, 0x5040100
	v_mov_b32_e32 v6, v4
	v_mul_lo_u32 v3, s6, v1
	v_mul_hi_u32 v3, v1, v3
	s_lshl_b32 s6, s26, 1
	v_add_u32_e32 v1, v1, v3
	s_sub_i32 s40, 0, s6
	v_mov_b32_e32 v3, 0x7fc00000
	v_mov_b32_e32 v8, v2
.LBB67_3:                               ; =>This Inner Loop Header: Depth=1
	v_sub_u32_e32 v9, 0, v8
	v_max_i32_e32 v9, v8, v9
	v_mul_hi_u32 v10, v9, v1
	v_mul_lo_u32 v11, v10, s33
	v_sub_u32_e32 v9, v9, v11
	v_add_u32_e32 v12, 1, v10
	v_cmp_le_u32_e32 vcc, s33, v9
	v_subrev_u32_e32 v11, s33, v9
	v_ashrrev_i32_e32 v7, 31, v8
	v_cndmask_b32_e32 v10, v10, v12, vcc
	v_cndmask_b32_e32 v9, v9, v11, vcc
	v_add_u32_e32 v11, 1, v10
	v_cmp_le_u32_e32 vcc, s33, v9
	v_xor_b32_e32 v7, s27, v7
	s_nop 0
	v_cndmask_b32_e32 v9, v10, v11, vcc
	v_xor_b32_e32 v9, v9, v7
	v_sub_u32_e32 v7, v9, v7
	v_mad_u64_u32 v[10:11], s[6:7], s39, v7, v[8:9]
	v_ashrrev_i32_e32 v9, 31, v7
	v_ashrrev_i32_e32 v11, 31, v10
	v_mul_lo_u32 v16, v7, s11
	v_mad_u64_u32 v[12:13], s[6:7], v7, s10, 0
	v_mad_u64_u32 v[14:15], s[6:7], s40, v7, v[6:7]
	v_mul_lo_u32 v7, v9, s10
	v_lshl_add_u64 v[10:11], v[10:11], 2, s[22:23]
	v_add3_u32 v13, v13, v16, v7
	v_lshl_add_u64 v[16:17], s[26:27], 2, v[10:11]
	global_load_dword v7, v[10:11], off
	global_load_dword v9, v[16:17], off
	v_ashrrev_i32_e32 v15, 31, v14
	v_lshl_add_u64 v[10:11], v[12:13], 1, s[8:9]
	v_lshl_add_u64 v[10:11], v[14:15], 1, v[10:11]
	global_load_dword v12, v[10:11], off
	v_add_u32_e32 v8, s38, v8
	v_cmp_le_i32_e32 vcc, s5, v8
	s_or_b64 s[36:37], vcc, s[36:37]
	v_add_u32_e32 v6, s41, v6
	s_waitcnt vmcnt(2)
	v_bfe_u32 v13, v7, 16, 1
	v_add3_u32 v13, v7, v13, s42
	s_waitcnt vmcnt(1)
	v_bfe_u32 v14, v9, 16, 1
	v_and_b32_e32 v15, 0xffff0000, v13
	v_add3_u32 v14, v9, v14, s42
	v_cmp_o_f32_e32 vcc, v7, v7
	s_waitcnt vmcnt(0)
	v_and_b32_e32 v13, 0xffff0000, v12
	v_lshlrev_b32_e32 v12, 16, v12
	v_and_b32_e32 v7, 0xffff0000, v14
	v_cndmask_b32_e32 v14, v3, v15, vcc
	v_cmp_o_f32_e32 vcc, v9, v9
	v_pk_mul_f32 v[14:15], v[14:15], v[12:13] op_sel_hi:[0,1]
	v_bfe_u32 v9, v15, 16, 1
	v_cndmask_b32_e32 v16, v3, v7, vcc
	v_bfe_u32 v7, v14, 16, 1
	v_pk_mul_f32 v[12:13], v[16:17], v[12:13] op_sel_hi:[0,1]
	v_add3_u32 v9, v15, v9, s42
	v_add3_u32 v7, v14, v7, s42
	v_bfe_u32 v16, v13, 16, 1
	v_bfe_u32 v17, v12, 16, 1
	v_and_b32_e32 v7, 0xffff0000, v7
	v_and_b32_e32 v9, 0xffff0000, v9
	v_add3_u32 v17, v12, v17, s42
	v_add3_u32 v16, v13, v16, s42
	v_cmp_o_f32_e32 vcc, v14, v14
	v_cmp_o_f32_e64 s[6:7], v15, v15
	v_and_b32_e32 v16, 0xffff0000, v16
	v_and_b32_e32 v17, 0xffff0000, v17
	v_cndmask_b32_e64 v15, v3, v9, s[6:7]
	v_cndmask_b32_e32 v14, v3, v7, vcc
	v_cmp_o_f32_e32 vcc, v13, v13
	v_cmp_o_f32_e64 s[6:7], v12, v12
	s_nop 0
	v_cndmask_b32_e32 v12, v3, v16, vcc
	v_cndmask_b32_e64 v13, v3, v17, s[6:7]
	v_pk_add_f32 v[16:17], v[14:15], v[12:13] neg_lo:[0,1] neg_hi:[0,1]
	v_pk_add_f32 v[12:13], v[14:15], v[12:13]
	v_bfe_u32 v7, v16, 16, 1
	v_bfe_u32 v9, v13, 16, 1
	v_add3_u32 v9, v13, v9, s42
	v_add3_u32 v7, v16, v7, s42
	v_lshrrev_b32_e32 v7, 16, v7
	v_lshrrev_b32_e32 v9, 16, v9
	v_cmp_o_f32_e32 vcc, v13, v13
	v_cmp_o_f32_e64 s[6:7], v16, v16
	s_nop 0
	v_cndmask_b32_e32 v9, v5, v9, vcc
	v_cndmask_b32_e64 v7, v5, v7, s[6:7]
	v_perm_b32 v7, v9, v7, s43
	global_store_dword v[10:11], v7, off
	s_andn2_b64 exec, exec, s[36:37]
	s_cbranch_execnz .LBB67_3
.LBB67_4:
	s_or_b64 exec, exec, s[20:21]
	s_load_dwordx4 s[20:23], s[2:3], 0x68
	s_waitcnt lgkmcnt(0)
	s_ashr_i32 s9, s23, 31
	s_mov_b32 s8, s23
	s_or_b64 s[6:7], s[34:35], s[8:9]
	s_mov_b32 s6, 0
	s_cmp_lg_u64 s[6:7], 0
	s_cbranch_scc0 .LBB67_14
; %bb.5:
	s_add_u32 s6, s8, s9
	s_mov_b32 s10, s9
	s_mov_b32 s11, s9
	s_addc_u32 s7, s9, s9
	s_xor_b64 s[38:39], s[6:7], s[10:11]
	v_cvt_f32_u32_e32 v1, s38
	v_cvt_f32_u32_e32 v3, s39
	s_sub_u32 s5, 0, s38
	s_subb_u32 s6, 0, s39
	v_fmamk_f32 v1, v3, 0x4f800000, v1
	v_rcp_f32_e32 v1, v1
	s_nop 0
	v_mul_f32_e32 v1, 0x5f7ffffc, v1
	v_mul_f32_e32 v3, 0x2f800000, v1
	v_trunc_f32_e32 v3, v3
	v_fmamk_f32 v1, v3, 0xcf800000, v1
	v_cvt_u32_f32_e32 v3, v3
	v_cvt_u32_f32_e32 v1, v1
	v_readfirstlane_b32 s7, v3
	v_readfirstlane_b32 s23, v1
	s_mul_i32 s27, s5, s7
	s_mul_hi_u32 s40, s5, s23
	s_mul_i32 s33, s6, s23
	s_add_i32 s27, s40, s27
	s_add_i32 s27, s27, s33
	s_mul_i32 s41, s5, s23
	s_mul_hi_u32 s33, s23, s27
	s_mul_i32 s40, s23, s27
	s_mul_hi_u32 s23, s23, s41
	s_add_u32 s23, s23, s40
	s_addc_u32 s33, 0, s33
	s_mul_hi_u32 s42, s7, s41
	s_mul_i32 s41, s7, s41
	s_add_u32 s23, s23, s41
	s_mul_hi_u32 s40, s7, s27
	s_addc_u32 s23, s33, s42
	s_addc_u32 s33, s40, 0
	s_mul_i32 s27, s7, s27
	s_add_u32 s23, s23, s27
	s_addc_u32 s27, 0, s33
	v_add_co_u32_e32 v1, vcc, s23, v1
	s_cmp_lg_u64 vcc, 0
	s_addc_u32 s7, s7, s27
	v_readfirstlane_b32 s27, v1
	s_mul_i32 s23, s5, s7
	s_mul_hi_u32 s33, s5, s27
	s_add_i32 s23, s33, s23
	s_mul_i32 s6, s6, s27
	s_add_i32 s23, s23, s6
	s_mul_i32 s5, s5, s27
	s_mul_hi_u32 s33, s7, s5
	s_mul_i32 s40, s7, s5
	s_mul_i32 s42, s27, s23
	s_mul_hi_u32 s5, s27, s5
	s_mul_hi_u32 s41, s27, s23
	s_add_u32 s5, s5, s42
	s_addc_u32 s27, 0, s41
	s_add_u32 s5, s5, s40
	s_mul_hi_u32 s6, s7, s23
	s_addc_u32 s5, s27, s33
	s_addc_u32 s6, s6, 0
	s_mul_i32 s23, s7, s23
	s_add_u32 s5, s5, s23
	s_addc_u32 s6, 0, s6
	v_add_co_u32_e32 v1, vcc, s5, v1
	s_cmp_lg_u64 vcc, 0
	s_addc_u32 s5, s7, s6
	s_ashr_i32 s40, s35, 31
	s_add_u32 s6, s34, s40
	s_mov_b32 s41, s40
	s_addc_u32 s7, s35, s40
	s_xor_b64 s[42:43], s[6:7], s[40:41]
	v_readfirstlane_b32 s23, v1
	s_mul_i32 s7, s42, s5
	s_mul_hi_u32 s27, s42, s23
	s_mul_hi_u32 s6, s42, s5
	s_add_u32 s7, s27, s7
	s_addc_u32 s6, 0, s6
	s_mul_hi_u32 s33, s43, s23
	s_mul_i32 s23, s43, s23
	s_add_u32 s7, s7, s23
	s_mul_hi_u32 s27, s43, s5
	s_addc_u32 s6, s6, s33
	s_addc_u32 s7, s27, 0
	s_mul_i32 s5, s43, s5
	s_add_u32 s5, s6, s5
	s_addc_u32 s23, 0, s7
	s_mul_i32 s6, s38, s23
	s_mul_hi_u32 s7, s38, s5
	s_add_i32 s6, s7, s6
	s_mul_i32 s7, s39, s5
	s_add_i32 s27, s6, s7
	s_mul_i32 s7, s38, s5
	v_mov_b32_e32 v1, s7
	s_sub_i32 s6, s43, s27
	v_sub_co_u32_e32 v1, vcc, s42, v1
	s_cmp_lg_u64 vcc, 0
	s_subb_u32 s33, s6, s39
	v_subrev_co_u32_e64 v3, s[6:7], s38, v1
	s_cmp_lg_u64 s[6:7], 0
	s_subb_u32 s6, s33, 0
	s_cmp_ge_u32 s6, s39
	v_readfirstlane_b32 s33, v3
	s_cselect_b32 s7, -1, 0
	s_cmp_ge_u32 s33, s38
	s_cselect_b32 s33, -1, 0
	s_cmp_eq_u32 s6, s39
	s_cselect_b32 s6, s33, s7
	s_add_u32 s7, s5, 1
	s_addc_u32 s33, s23, 0
	s_add_u32 s42, s5, 2
	s_addc_u32 s44, s23, 0
	s_cmp_lg_u32 s6, 0
	s_cselect_b32 s6, s42, s7
	s_cselect_b32 s7, s44, s33
	s_cmp_lg_u64 vcc, 0
	s_subb_u32 s27, s43, s27
	s_cmp_ge_u32 s27, s39
	v_readfirstlane_b32 s42, v1
	s_cselect_b32 s33, -1, 0
	s_cmp_ge_u32 s42, s38
	s_cselect_b32 s38, -1, 0
	s_cmp_eq_u32 s27, s39
	s_cselect_b32 s27, s38, s33
	s_cmp_lg_u32 s27, 0
	s_cselect_b32 s7, s7, s23
	s_cselect_b32 s6, s6, s5
	s_xor_b64 s[10:11], s[40:41], s[10:11]
	s_xor_b64 s[6:7], s[6:7], s[10:11]
	s_sub_u32 s10, s6, s10
	s_subb_u32 s11, s7, s11
	s_cbranch_execnz .LBB67_7
.LBB67_6:
	v_cvt_f32_u32_e32 v1, s8
	s_sub_i32 s5, 0, s8
	s_mov_b32 s11, 0
	v_rcp_iflag_f32_e32 v1, v1
	s_nop 0
	v_mul_f32_e32 v1, 0x4f7ffffe, v1
	v_cvt_u32_f32_e32 v1, v1
	s_nop 0
	v_readfirstlane_b32 s6, v1
	s_mul_i32 s5, s5, s6
	s_mul_hi_u32 s5, s6, s5
	s_add_i32 s6, s6, s5
	s_mul_hi_u32 s5, s34, s6
	s_mul_i32 s7, s5, s8
	s_sub_i32 s7, s34, s7
	s_add_i32 s6, s5, 1
	s_sub_i32 s10, s7, s8
	s_cmp_ge_u32 s7, s8
	s_cselect_b32 s5, s6, s5
	s_cselect_b32 s7, s10, s7
	s_add_i32 s6, s5, 1
	s_cmp_ge_u32 s7, s8
	s_cselect_b32 s10, s6, s5
.LBB67_7:
	s_mul_i32 s5, s10, s9
	s_mul_hi_u32 s6, s10, s8
	s_load_dwordx2 s[36:37], s[2:3], 0x78
	s_add_i32 s5, s6, s5
	s_mul_i32 s6, s11, s8
	s_add_i32 s5, s5, s6
	s_mul_i32 s6, s10, s8
	s_sub_u32 s23, s34, s6
	s_subb_u32 s5, s35, s5
	v_cmp_gt_i32_e32 vcc, s26, v2
	s_mul_hi_u32 s38, s10, s20
	s_mul_i32 s39, s11, s20
	s_mul_i32 s40, s10, s20
	s_mul_hi_u32 s33, s23, s21
	s_mul_i32 s5, s5, s21
	s_mul_i32 s11, s23, s21
	s_and_saveexec_b64 s[34:35], vcc
	s_cbranch_execz .LBB67_10
; %bb.8:
	s_load_dwordx2 s[0:1], s[0:1], 0x4
	v_bfe_u32 v1, v0, 10, 10
	s_ashr_i32 s6, s20, 31
	s_ashr_i32 s27, s26, 31
	;; [unrolled: 1-line block ×3, first 2 shown]
	s_waitcnt lgkmcnt(0)
	s_lshr_b32 s0, s0, 16
	s_mul_i32 s0, s0, s1
	v_mul_lo_u32 v3, s0, v2
	v_mad_u32_u24 v1, v1, s1, v3
	s_mul_i32 s0, s10, s6
	s_load_dword s1, s[2:3], 0x8c
	s_add_i32 s0, s38, s0
	s_add_i32 s6, s0, s39
	s_ashr_i32 s0, s21, 31
	s_mul_i32 s0, s23, s0
	s_add_i32 s0, s33, s0
	s_add_i32 s7, s0, s5
	s_waitcnt lgkmcnt(0)
	s_and_b32 s42, s1, 0xffff
	s_lshl_b64 s[0:1], s[30:31], 2
	s_add_u32 s0, s28, s0
	v_bfe_u32 v0, v0, 20, 10
	v_lshlrev_b32_e32 v10, 2, v2
	v_mov_b32_e32 v11, 0
	s_addc_u32 s1, s29, s1
	v_add_lshl_u32 v3, v1, v0, 1
	v_lshl_add_u64 v[0:1], s[0:1], 0, v[10:11]
	s_mul_i32 s0, s13, s4
	s_mul_hi_u32 s1, s12, s4
	s_add_i32 s1, s1, s0
	s_mul_i32 s0, s12, s4
	s_lshl_b32 s28, s42, 2
	s_lshl_b64 s[0:1], s[0:1], 1
	s_add_u32 s0, s16, s0
	s_addc_u32 s1, s17, s1
	v_lshl_add_u64 v[8:9], s[0:1], 0, v[10:11]
	s_add_u32 s0, s40, s11
	s_addc_u32 s1, s6, s7
	s_add_u32 s6, s24, s22
	s_load_dword s41, s[36:37], 0x0
	s_addc_u32 s7, s25, s8
	s_add_u32 s0, s6, s0
	v_mov_b32_e32 v5, v11
	s_addc_u32 s1, s7, s1
	v_lshl_add_u64 v[4:5], s[0:1], 0, v[4:5]
	v_add_u32_e32 v12, 0x800, v3
	s_mov_b32 s31, 0
	v_lshl_add_u64 v[6:7], s[26:27], 2, v[0:1]
	v_lshl_add_u64 v[4:5], v[4:5], 0, 1
	s_lshl_b32 s30, s42, 1
	s_mov_b64 s[12:13], 0
	s_movk_i32 s27, 0x7fff
	v_mov_b32_e32 v13, 0x7fc00000
	v_mov_b32_e32 v14, 0x7fc0
	s_mov_b32 s29, 0x5040100
	s_mov_b32 s43, 0x7f800000
	;; [unrolled: 1-line block ×3, first 2 shown]
	v_mov_b32_e32 v15, 0xc3700000
	s_mov_b64 s[16:17], 0
	v_mov_b32_e32 v16, v2
.LBB67_9:                               ; =>This Inner Loop Header: Depth=1
	v_lshl_add_u64 v[18:19], v[0:1], 0, s[16:17]
	v_lshl_add_u64 v[20:21], v[6:7], 0, s[16:17]
	;; [unrolled: 1-line block ×3, first 2 shown]
	global_load_dword v17, v[18:19], off
	global_load_dword v22, v[20:21], off
	;; [unrolled: 1-line block ×3, first 2 shown]
	v_add_u32_e32 v16, s42, v16
	s_add_u32 s16, s16, s28
	s_addc_u32 s17, s17, 0
	v_cmp_le_i32_e32 vcc, s26, v16
	s_or_b64 s[12:13], vcc, s[12:13]
	v_mov_b32_e32 v25, 0
	v_mov_b32_e32 v24, 0
	s_waitcnt vmcnt(2)
	v_bfe_u32 v20, v17, 16, 1
	s_waitcnt vmcnt(1)
	v_bfe_u32 v21, v22, 16, 1
	v_add3_u32 v20, v17, v20, s27
	v_add3_u32 v21, v22, v21, s27
	v_and_b32_e32 v20, 0xffff0000, v20
	v_and_b32_e32 v21, 0xffff0000, v21
	v_cmp_o_f32_e32 vcc, v22, v22
	v_cmp_o_f32_e64 s[0:1], v17, v17
	s_waitcnt vmcnt(0)
	v_and_b32_e32 v19, 0xffff0000, v23
	v_lshlrev_b32_e32 v18, 16, v23
	v_cndmask_b32_e64 v20, v13, v20, s[0:1]
	v_cndmask_b32_e32 v22, v13, v21, vcc
	v_pk_mul_f32 v[20:21], v[20:21], v[18:19] op_sel_hi:[0,1]
	v_pk_mul_f32 v[18:19], v[22:23], v[18:19] op_sel_hi:[0,1]
	v_bfe_u32 v17, v20, 16, 1
	v_bfe_u32 v22, v21, 16, 1
	;; [unrolled: 1-line block ×4, first 2 shown]
	v_add3_u32 v22, v21, v22, s27
	v_add3_u32 v17, v20, v17, s27
	;; [unrolled: 1-line block ×4, first 2 shown]
	v_and_b32_e32 v17, 0xffff0000, v17
	v_and_b32_e32 v22, 0xffff0000, v22
	;; [unrolled: 1-line block ×4, first 2 shown]
	v_cmp_o_f32_e32 vcc, v20, v20
	v_cmp_o_f32_e64 s[0:1], v18, v18
	v_cmp_o_f32_e64 s[6:7], v19, v19
	v_cmp_o_f32_e64 s[8:9], v21, v21
	v_cndmask_b32_e32 v18, v13, v17, vcc
	v_cndmask_b32_e64 v21, v13, v26, s[0:1]
	v_cndmask_b32_e64 v19, v13, v22, s[8:9]
	;; [unrolled: 1-line block ×3, first 2 shown]
	v_pk_add_f32 v[22:23], v[18:19], v[20:21] neg_lo:[0,1] neg_hi:[0,1]
	v_pk_add_f32 v[18:19], v[18:19], v[20:21]
	v_bfe_u32 v17, v22, 16, 1
	v_bfe_u32 v18, v19, 16, 1
	v_add3_u32 v17, v22, v17, s27
	v_add3_u32 v18, v19, v18, s27
	v_lshrrev_b32_e32 v17, 16, v17
	v_cmp_o_f32_e64 s[0:1], v22, v22
	v_lshrrev_b32_e32 v18, 16, v18
	v_cmp_o_f32_e32 vcc, v19, v19
	v_cndmask_b32_e64 v17, v14, v17, s[0:1]
	s_nop 0
	v_cndmask_b32_e32 v18, v14, v18, vcc
	ds_write_b16 v12, v17
	ds_write_b16 v3, v18
	v_perm_b32 v19, v18, v17, s29
	ds_read_b32 v17, v12
	ds_read_b32 v18, v3
	global_store_dword v[10:11], v19, off
	s_waitcnt lgkmcnt(0)
	v_div_scale_f32 v20, s[0:1], s41, s41, v17
	v_div_scale_f32 v22, s[0:1], s41, s41, v18
	v_rcp_f32_e32 v26, v20
	v_rcp_f32_e32 v27, v22
	v_div_scale_f32 v21, vcc, v17, s41, v17
	v_fma_f32 v28, -v20, v26, 1.0
	v_fma_f32 v29, -v22, v27, 1.0
	v_fmac_f32_e32 v26, v28, v26
	v_div_scale_f32 v23, s[0:1], v18, s41, v18
	v_fmac_f32_e32 v27, v29, v27
	v_mul_f32_e32 v28, v21, v26
	v_mul_f32_e32 v29, v23, v27
	v_fma_f32 v30, -v20, v28, v21
	v_fma_f32 v31, -v22, v29, v23
	v_fmac_f32_e32 v28, v30, v26
	v_fmac_f32_e32 v29, v31, v27
	v_fma_f32 v20, -v20, v28, v21
	v_fma_f32 v21, -v22, v29, v23
	v_div_fmas_f32 v20, v20, v26, v28
	s_mov_b64 vcc, s[0:1]
	v_div_fixup_f32 v17, v20, s41, v17
	v_div_fmas_f32 v20, v21, v27, v29
	v_med3_f32 v21, v17, s44, v15
	v_div_fixup_f32 v18, v20, s41, v18
	v_cmp_nlg_f32_e64 vcc, |v17|, s43
	v_med3_f32 v20, v18, s44, v15
	s_nop 0
	v_cndmask_b32_e32 v17, v21, v17, vcc
	v_cmp_nlg_f32_e64 vcc, |v18|, s43
	v_cvt_pk_fp8_f32 v24, v17, v17
	s_nop 0
	v_cndmask_b32_e32 v18, v20, v18, vcc
	v_cvt_pk_fp8_f32 v25, v18, v18
	v_lshlrev_b16_e32 v10, 8, v25
	v_or_b32_sdwa v10, v24, v10 dst_sel:DWORD dst_unused:UNUSED_PAD src0_sel:BYTE_0 src1_sel:DWORD
	global_store_short v[4:5], v10, off offset:-1
	v_lshl_add_u64 v[4:5], v[4:5], 0, s[30:31]
	s_andn2_b64 exec, exec, s[12:13]
	s_cbranch_execnz .LBB67_9
.LBB67_10:
	s_or_b64 exec, exec, s[34:35]
	v_cmp_gt_i32_e32 vcc, s22, v2
	s_and_saveexec_b64 s[0:1], vcc
	s_cbranch_execz .LBB67_13
; %bb.11:
	s_mul_i32 s0, s4, s15
	s_mul_hi_u32 s1, s4, s14
	s_add_i32 s1, s1, s0
	s_mul_i32 s0, s4, s14
	s_lshl_b64 s[0:1], s[0:1], 1
	s_add_u32 s0, s18, s0
	s_addc_u32 s1, s19, s1
	s_ashr_i32 s4, s20, 31
	s_mul_i32 s4, s10, s4
	s_add_i32 s4, s38, s4
	s_add_i32 s4, s4, s39
	s_add_u32 s6, s24, s40
	s_addc_u32 s4, s25, s4
	s_ashr_i32 s7, s21, 31
	s_mul_i32 s23, s23, s7
	s_add_i32 s7, s33, s23
	s_load_dword s8, s[2:3], 0x8c
	s_add_i32 s7, s7, s5
	s_add_u32 s2, s6, s11
	s_waitcnt lgkmcnt(0)
	s_load_dword s6, s[36:37], 0x0
	s_addc_u32 s3, s4, s7
	s_and_b32 s7, s8, 0xffff
	s_mov_b64 s[4:5], 0
	s_mov_b32 s8, 0x7f800000
	s_mov_b32 s9, 0x43700000
	v_mov_b32_e32 v0, 0xc3700000
.LBB67_12:                              ; =>This Inner Loop Header: Depth=1
	v_ashrrev_i32_e32 v3, 31, v2
	v_lshl_add_u64 v[4:5], v[2:3], 1, s[0:1]
	global_load_dword v1, v[4:5], off
	v_mov_b32_e32 v6, 0
	s_waitcnt vmcnt(0) lgkmcnt(0)
	v_div_scale_f32 v4, s[10:11], s6, s6, v1
	v_rcp_f32_e32 v5, v4
	v_div_scale_f32 v7, vcc, v1, s6, v1
	v_fma_f32 v8, -v4, v5, 1.0
	v_fmac_f32_e32 v5, v8, v5
	v_mul_f32_e32 v8, v7, v5
	v_fma_f32 v9, -v4, v8, v7
	v_fmac_f32_e32 v8, v9, v5
	v_fma_f32 v4, -v4, v8, v7
	v_div_fmas_f32 v4, v4, v5, v8
	v_div_fixup_f32 v1, v4, s6, v1
	v_med3_f32 v4, v1, s9, v0
	v_cmp_nlg_f32_e64 vcc, |v1|, s8
	s_nop 1
	v_cndmask_b32_e32 v1, v4, v1, vcc
	v_cvt_pk_fp8_f32 v6, v1, v1
	v_lshl_add_u64 v[4:5], s[2:3], 0, v[2:3]
	v_add_u32_e32 v2, s7, v2
	v_cmp_le_i32_e32 vcc, s22, v2
	s_or_b64 s[4:5], vcc, s[4:5]
	global_store_byte v[4:5], v6, off
	s_andn2_b64 exec, exec, s[4:5]
	s_cbranch_execnz .LBB67_12
.LBB67_13:
	s_endpgm
.LBB67_14:
                                        ; implicit-def: $sgpr10_sgpr11
	s_branch .LBB67_6
	.section	.rodata,"a",@progbits
	.p2align	6, 0x0
	.amdhsa_kernel _ZN4vllm38concat_and_cache_mla_rope_fused_kernelIN3c108BFloat16EfLb0EfhLNS_18Fp8KVCacheDataTypeE1EEEvPKlPT_S7_PKS6_PKT0_illlliPT3_S5_iiiiPKf
		.amdhsa_group_segment_fixed_size 4096
		.amdhsa_private_segment_fixed_size 0
		.amdhsa_kernarg_size 384
		.amdhsa_user_sgpr_count 4
		.amdhsa_user_sgpr_dispatch_ptr 1
		.amdhsa_user_sgpr_queue_ptr 0
		.amdhsa_user_sgpr_kernarg_segment_ptr 1
		.amdhsa_user_sgpr_dispatch_id 0
		.amdhsa_user_sgpr_kernarg_preload_length 0
		.amdhsa_user_sgpr_kernarg_preload_offset 0
		.amdhsa_user_sgpr_private_segment_size 0
		.amdhsa_uses_dynamic_stack 0
		.amdhsa_enable_private_segment 0
		.amdhsa_system_sgpr_workgroup_id_x 1
		.amdhsa_system_sgpr_workgroup_id_y 0
		.amdhsa_system_sgpr_workgroup_id_z 0
		.amdhsa_system_sgpr_workgroup_info 0
		.amdhsa_system_vgpr_workitem_id 2
		.amdhsa_next_free_vgpr 32
		.amdhsa_next_free_sgpr 45
		.amdhsa_accum_offset 32
		.amdhsa_reserve_vcc 1
		.amdhsa_float_round_mode_32 0
		.amdhsa_float_round_mode_16_64 0
		.amdhsa_float_denorm_mode_32 3
		.amdhsa_float_denorm_mode_16_64 3
		.amdhsa_dx10_clamp 1
		.amdhsa_ieee_mode 1
		.amdhsa_fp16_overflow 0
		.amdhsa_tg_split 0
		.amdhsa_exception_fp_ieee_invalid_op 0
		.amdhsa_exception_fp_denorm_src 0
		.amdhsa_exception_fp_ieee_div_zero 0
		.amdhsa_exception_fp_ieee_overflow 0
		.amdhsa_exception_fp_ieee_underflow 0
		.amdhsa_exception_fp_ieee_inexact 0
		.amdhsa_exception_int_div_zero 0
	.end_amdhsa_kernel
	.section	.text._ZN4vllm38concat_and_cache_mla_rope_fused_kernelIN3c108BFloat16EfLb0EfhLNS_18Fp8KVCacheDataTypeE1EEEvPKlPT_S7_PKS6_PKT0_illlliPT3_S5_iiiiPKf,"axG",@progbits,_ZN4vllm38concat_and_cache_mla_rope_fused_kernelIN3c108BFloat16EfLb0EfhLNS_18Fp8KVCacheDataTypeE1EEEvPKlPT_S7_PKS6_PKT0_illlliPT3_S5_iiiiPKf,comdat
.Lfunc_end67:
	.size	_ZN4vllm38concat_and_cache_mla_rope_fused_kernelIN3c108BFloat16EfLb0EfhLNS_18Fp8KVCacheDataTypeE1EEEvPKlPT_S7_PKS6_PKT0_illlliPT3_S5_iiiiPKf, .Lfunc_end67-_ZN4vllm38concat_and_cache_mla_rope_fused_kernelIN3c108BFloat16EfLb0EfhLNS_18Fp8KVCacheDataTypeE1EEEvPKlPT_S7_PKS6_PKT0_illlliPT3_S5_iiiiPKf
                                        ; -- End function
	.section	.AMDGPU.csdata,"",@progbits
; Kernel info:
; codeLenInByte = 3088
; NumSgprs: 51
; NumVgprs: 32
; NumAgprs: 0
; TotalNumVgprs: 32
; ScratchSize: 0
; MemoryBound: 0
; FloatMode: 240
; IeeeMode: 1
; LDSByteSize: 4096 bytes/workgroup (compile time only)
; SGPRBlocks: 6
; VGPRBlocks: 3
; NumSGPRsForWavesPerEU: 51
; NumVGPRsForWavesPerEU: 32
; AccumOffset: 32
; Occupancy: 8
; WaveLimiterHint : 1
; COMPUTE_PGM_RSRC2:SCRATCH_EN: 0
; COMPUTE_PGM_RSRC2:USER_SGPR: 4
; COMPUTE_PGM_RSRC2:TRAP_HANDLER: 0
; COMPUTE_PGM_RSRC2:TGID_X_EN: 1
; COMPUTE_PGM_RSRC2:TGID_Y_EN: 0
; COMPUTE_PGM_RSRC2:TGID_Z_EN: 0
; COMPUTE_PGM_RSRC2:TIDIG_COMP_CNT: 2
; COMPUTE_PGM_RSRC3_GFX90A:ACCUM_OFFSET: 7
; COMPUTE_PGM_RSRC3_GFX90A:TG_SPLIT: 0
	.section	.text._ZN4vllm38concat_and_cache_mla_rope_fused_kernelIN3c108BFloat16ENS1_4HalfELb1EfhLNS_18Fp8KVCacheDataTypeE1EEEvPKlPT_S8_PKS7_PKT0_illlliPT3_S6_iiiiPKf,"axG",@progbits,_ZN4vllm38concat_and_cache_mla_rope_fused_kernelIN3c108BFloat16ENS1_4HalfELb1EfhLNS_18Fp8KVCacheDataTypeE1EEEvPKlPT_S8_PKS7_PKT0_illlliPT3_S6_iiiiPKf,comdat
	.protected	_ZN4vllm38concat_and_cache_mla_rope_fused_kernelIN3c108BFloat16ENS1_4HalfELb1EfhLNS_18Fp8KVCacheDataTypeE1EEEvPKlPT_S8_PKS7_PKT0_illlliPT3_S6_iiiiPKf ; -- Begin function _ZN4vllm38concat_and_cache_mla_rope_fused_kernelIN3c108BFloat16ENS1_4HalfELb1EfhLNS_18Fp8KVCacheDataTypeE1EEEvPKlPT_S8_PKS7_PKT0_illlliPT3_S6_iiiiPKf
	.globl	_ZN4vllm38concat_and_cache_mla_rope_fused_kernelIN3c108BFloat16ENS1_4HalfELb1EfhLNS_18Fp8KVCacheDataTypeE1EEEvPKlPT_S8_PKS7_PKT0_illlliPT3_S6_iiiiPKf
	.p2align	8
	.type	_ZN4vllm38concat_and_cache_mla_rope_fused_kernelIN3c108BFloat16ENS1_4HalfELb1EfhLNS_18Fp8KVCacheDataTypeE1EEEvPKlPT_S8_PKS7_PKT0_illlliPT3_S6_iiiiPKf,@function
_ZN4vllm38concat_and_cache_mla_rope_fused_kernelIN3c108BFloat16ENS1_4HalfELb1EfhLNS_18Fp8KVCacheDataTypeE1EEEvPKlPT_S8_PKS7_PKT0_illlliPT3_S6_iiiiPKf: ; @_ZN4vllm38concat_and_cache_mla_rope_fused_kernelIN3c108BFloat16ENS1_4HalfELb1EfhLNS_18Fp8KVCacheDataTypeE1EEEvPKlPT_S8_PKS7_PKT0_illlliPT3_S6_iiiiPKf
; %bb.0:
	s_load_dwordx2 s[8:9], s[2:3], 0x60
	s_mov_b32 s5, 0
	s_lshl_b64 s[6:7], s[4:5], 3
	s_waitcnt lgkmcnt(0)
	s_add_u32 s8, s8, s6
	s_addc_u32 s9, s9, s7
	s_load_dwordx2 s[36:37], s[8:9], 0x0
	s_waitcnt lgkmcnt(0)
	v_cmp_lt_i64_e64 s[8:9], s[36:37], 0
	s_and_b64 vcc, exec, s[8:9]
	s_cbranch_vccnz .LBB68_13
; %bb.1:
	s_load_dword s5, s[2:3], 0x28
	s_load_dwordx2 s[8:9], s[2:3], 0x0
	s_load_dwordx2 s[30:31], s[2:3], 0x20
	s_load_dwordx4 s[20:23], s[2:3], 0x10
	v_and_b32_e32 v2, 0x3ff, v0
	s_waitcnt lgkmcnt(0)
	s_ashr_i32 s10, s5, 31
	s_add_u32 s6, s8, s6
	s_addc_u32 s7, s9, s7
	s_load_dwordx2 s[8:9], s[6:7], 0x0
	s_load_dwordx8 s[12:19], s[2:3], 0x30
	s_load_dwordx2 s[24:25], s[2:3], 0x58
	s_load_dword s11, s[2:3], 0x50
	s_waitcnt lgkmcnt(0)
	s_mul_i32 s6, s8, s10
	s_mul_hi_u32 s7, s8, s5
	s_add_i32 s6, s7, s6
	s_mul_i32 s7, s9, s5
	s_add_i32 s7, s6, s7
	s_mul_i32 s6, s8, s5
	s_lshl_b64 s[34:35], s[6:7], 1
	s_add_u32 s26, s30, s34
	s_addc_u32 s27, s31, s35
	s_lshr_b32 s6, s5, 31
	s_add_i32 s5, s5, s6
	s_ashr_i32 s28, s5, 1
	s_mul_i32 s5, s28, s11
	v_cmp_gt_i32_e32 vcc, s5, v2
	s_and_saveexec_b64 s[38:39], vcc
	s_cbranch_execz .LBB68_4
; %bb.2:
	s_load_dwordx2 s[6:7], s[2:3], 0x8
	s_load_dword s10, s[2:3], 0x8c
	s_mul_i32 s8, s4, s13
	s_mul_hi_u32 s9, s4, s12
	s_add_i32 s9, s9, s8
	s_mul_i32 s8, s4, s12
	s_ashr_i32 s29, s28, 31
	s_lshl_b64 s[8:9], s[8:9], 1
	s_waitcnt lgkmcnt(0)
	s_add_u32 s12, s6, s8
	s_addc_u32 s13, s7, s9
	s_abs_i32 s33, s28
	v_cvt_f32_u32_e32 v1, s33
	s_sub_i32 s6, 0, s33
	s_mov_b64 s[40:41], 0
	s_and_b32 s44, s10, 0xffff
	v_rcp_iflag_f32_e32 v1, v1
	s_sub_i32 s45, 0, s28
	s_lshl_b64 s[42:43], s[28:29], 1
	s_movk_i32 s46, 0x7fff
	v_mul_f32_e32 v1, 0x4f7ffffe, v1
	v_cvt_u32_f32_e32 v1, v1
	v_mov_b32_e32 v5, 0x7fc0
	v_mov_b32_e32 v4, v2
	v_mul_lo_u32 v3, s6, v1
	v_mul_hi_u32 v3, v1, v3
	v_add_u32_e32 v1, v1, v3
	v_mov_b32_e32 v3, 0x7fc00000
.LBB68_3:                               ; =>This Inner Loop Header: Depth=1
	v_sub_u32_e32 v7, 0, v4
	v_max_i32_e32 v7, v4, v7
	v_mul_hi_u32 v8, v7, v1
	v_mul_lo_u32 v9, v8, s33
	v_sub_u32_e32 v7, v7, v9
	v_add_u32_e32 v10, 1, v8
	v_cmp_le_u32_e32 vcc, s33, v7
	v_subrev_u32_e32 v9, s33, v7
	v_ashrrev_i32_e32 v6, 31, v4
	v_cndmask_b32_e32 v8, v8, v10, vcc
	v_cndmask_b32_e32 v7, v7, v9, vcc
	v_add_u32_e32 v9, 1, v8
	v_cmp_le_u32_e32 vcc, s33, v7
	v_xor_b32_e32 v6, s29, v6
	s_nop 0
	v_cndmask_b32_e32 v7, v8, v9, vcc
	v_xor_b32_e32 v7, v7, v6
	v_sub_u32_e32 v8, v7, v6
	v_mad_u64_u32 v[6:7], s[6:7], s45, v8, v[4:5]
	v_ashrrev_i32_e32 v10, 31, v8
	v_ashrrev_i32_e32 v7, 31, v6
	v_mul_lo_u32 v11, v8, s15
	v_mad_u64_u32 v[8:9], s[6:7], v8, s14, 0
	v_mul_lo_u32 v10, v10, s14
	v_lshlrev_b64 v[6:7], 1, v[6:7]
	v_add3_u32 v9, v9, v11, v10
	v_lshl_add_u64 v[10:11], s[26:27], 0, v[6:7]
	v_lshl_add_u64 v[12:13], v[10:11], 0, s[42:43]
	global_load_ushort v14, v[10:11], off
	global_load_ushort v15, v[12:13], off
	v_lshl_add_u64 v[8:9], v[8:9], 1, s[12:13]
	v_lshl_add_u64 v[6:7], v[8:9], 0, v[6:7]
	;; [unrolled: 1-line block ×3, first 2 shown]
	global_load_ushort v10, v[6:7], off
	global_load_ushort v12, v[8:9], off
	v_add_u32_e32 v4, s44, v4
	v_cmp_le_i32_e32 vcc, s5, v4
	s_or_b64 s[40:41], vcc, s[40:41]
	s_waitcnt vmcnt(3)
	v_cvt_f32_f16_e32 v16, v14
	s_waitcnt vmcnt(2)
	v_cvt_f32_f16_e32 v17, v15
	v_cmp_o_f16_e32 vcc, v14, v14
	v_bfe_u32 v18, v16, 16, 1
	v_bfe_u32 v19, v17, 16, 1
	v_add3_u32 v16, v16, v18, s46
	v_add3_u32 v17, v17, v19, s46
	v_and_b32_e32 v16, 0xffff0000, v16
	s_waitcnt vmcnt(1)
	v_lshlrev_b32_e32 v11, 16, v10
	s_waitcnt vmcnt(0)
	v_lshlrev_b32_e32 v10, 16, v12
	v_and_b32_e32 v17, 0xffff0000, v17
	v_cndmask_b32_e32 v14, v3, v16, vcc
	v_cmp_o_f16_e32 vcc, v15, v15
	v_mov_b32_e32 v12, v11
	v_mov_b32_e32 v13, v10
	v_cndmask_b32_e32 v15, v3, v17, vcc
	v_pk_mul_f32 v[12:13], v[14:15], v[12:13]
	v_pk_mul_f32 v[10:11], v[14:15], v[10:11]
	v_bfe_u32 v14, v12, 16, 1
	v_bfe_u32 v15, v13, 16, 1
	;; [unrolled: 1-line block ×4, first 2 shown]
	v_add3_u32 v15, v13, v15, s46
	v_add3_u32 v14, v12, v14, s46
	;; [unrolled: 1-line block ×4, first 2 shown]
	v_and_b32_e32 v14, 0xffff0000, v14
	v_and_b32_e32 v15, 0xffff0000, v15
	v_cmp_o_f32_e32 vcc, v12, v12
	v_cmp_o_f32_e64 s[10:11], v13, v13
	v_and_b32_e32 v12, 0xffff0000, v16
	v_and_b32_e32 v16, 0xffff0000, v17
	v_cmp_o_f32_e64 s[6:7], v11, v11
	v_cmp_o_f32_e64 s[8:9], v10, v10
	v_cndmask_b32_e64 v10, v3, v15, s[10:11]
	v_cndmask_b32_e32 v11, v3, v14, vcc
	v_cndmask_b32_e64 v13, v3, v16, s[6:7]
	v_cndmask_b32_e64 v12, v3, v12, s[8:9]
	v_sub_f32_e32 v10, v11, v10
	v_add_f32_e32 v11, v12, v13
	v_bfe_u32 v12, v10, 16, 1
	v_bfe_u32 v13, v11, 16, 1
	v_add3_u32 v12, v10, v12, s46
	v_add3_u32 v13, v11, v13, s46
	v_lshrrev_b32_e32 v12, 16, v12
	v_cmp_o_f32_e64 s[6:7], v10, v10
	v_lshrrev_b32_e32 v13, 16, v13
	v_cmp_o_f32_e32 vcc, v11, v11
	v_cndmask_b32_e64 v10, v5, v12, s[6:7]
	s_nop 0
	v_cndmask_b32_e32 v11, v5, v13, vcc
	global_store_short v[6:7], v10, off
	global_store_short v[8:9], v11, off
	s_andn2_b64 exec, exec, s[40:41]
	s_cbranch_execnz .LBB68_3
.LBB68_4:
	s_or_b64 exec, exec, s[38:39]
	s_load_dwordx4 s[12:15], s[2:3], 0x68
	s_waitcnt lgkmcnt(0)
	s_ashr_i32 s9, s15, 31
	s_mov_b32 s8, s15
	s_or_b64 s[6:7], s[36:37], s[8:9]
	s_mov_b32 s6, 0
	s_cmp_lg_u64 s[6:7], 0
	s_cbranch_scc0 .LBB68_14
; %bb.5:
	s_add_u32 s6, s8, s9
	s_mov_b32 s10, s9
	s_mov_b32 s11, s9
	s_addc_u32 s7, s9, s9
	s_xor_b64 s[40:41], s[6:7], s[10:11]
	v_cvt_f32_u32_e32 v1, s40
	v_cvt_f32_u32_e32 v3, s41
	s_sub_u32 s5, 0, s40
	s_subb_u32 s6, 0, s41
	v_fmamk_f32 v1, v3, 0x4f800000, v1
	v_rcp_f32_e32 v1, v1
	s_nop 0
	v_mul_f32_e32 v1, 0x5f7ffffc, v1
	v_mul_f32_e32 v3, 0x2f800000, v1
	v_trunc_f32_e32 v3, v3
	v_fmamk_f32 v1, v3, 0xcf800000, v1
	v_cvt_u32_f32_e32 v3, v3
	v_cvt_u32_f32_e32 v1, v1
	v_readfirstlane_b32 s7, v3
	v_readfirstlane_b32 s15, v1
	s_mul_i32 s29, s5, s7
	s_mul_hi_u32 s42, s5, s15
	s_mul_i32 s33, s6, s15
	s_add_i32 s29, s42, s29
	s_add_i32 s29, s29, s33
	s_mul_i32 s43, s5, s15
	s_mul_hi_u32 s33, s15, s29
	s_mul_i32 s42, s15, s29
	s_mul_hi_u32 s15, s15, s43
	s_add_u32 s15, s15, s42
	s_addc_u32 s33, 0, s33
	s_mul_hi_u32 s44, s7, s43
	s_mul_i32 s43, s7, s43
	s_add_u32 s15, s15, s43
	s_mul_hi_u32 s42, s7, s29
	s_addc_u32 s15, s33, s44
	s_addc_u32 s33, s42, 0
	s_mul_i32 s29, s7, s29
	s_add_u32 s15, s15, s29
	s_addc_u32 s29, 0, s33
	v_add_co_u32_e32 v1, vcc, s15, v1
	s_cmp_lg_u64 vcc, 0
	s_addc_u32 s7, s7, s29
	v_readfirstlane_b32 s29, v1
	s_mul_i32 s15, s5, s7
	s_mul_hi_u32 s33, s5, s29
	s_add_i32 s15, s33, s15
	s_mul_i32 s6, s6, s29
	s_add_i32 s15, s15, s6
	s_mul_i32 s5, s5, s29
	s_mul_hi_u32 s33, s7, s5
	s_mul_i32 s42, s7, s5
	s_mul_i32 s44, s29, s15
	s_mul_hi_u32 s5, s29, s5
	s_mul_hi_u32 s43, s29, s15
	s_add_u32 s5, s5, s44
	s_addc_u32 s29, 0, s43
	s_add_u32 s5, s5, s42
	s_mul_hi_u32 s6, s7, s15
	s_addc_u32 s5, s29, s33
	s_addc_u32 s6, s6, 0
	s_mul_i32 s15, s7, s15
	s_add_u32 s5, s5, s15
	s_addc_u32 s6, 0, s6
	v_add_co_u32_e32 v1, vcc, s5, v1
	s_cmp_lg_u64 vcc, 0
	s_addc_u32 s5, s7, s6
	s_ashr_i32 s42, s37, 31
	s_add_u32 s6, s36, s42
	s_mov_b32 s43, s42
	s_addc_u32 s7, s37, s42
	s_xor_b64 s[44:45], s[6:7], s[42:43]
	v_readfirstlane_b32 s15, v1
	s_mul_i32 s7, s44, s5
	s_mul_hi_u32 s29, s44, s15
	s_mul_hi_u32 s6, s44, s5
	s_add_u32 s7, s29, s7
	s_addc_u32 s6, 0, s6
	s_mul_hi_u32 s33, s45, s15
	s_mul_i32 s15, s45, s15
	s_add_u32 s7, s7, s15
	s_mul_hi_u32 s29, s45, s5
	s_addc_u32 s6, s6, s33
	s_addc_u32 s7, s29, 0
	s_mul_i32 s5, s45, s5
	s_add_u32 s5, s6, s5
	s_addc_u32 s15, 0, s7
	s_mul_i32 s6, s40, s15
	s_mul_hi_u32 s7, s40, s5
	s_add_i32 s6, s7, s6
	s_mul_i32 s7, s41, s5
	s_add_i32 s29, s6, s7
	s_mul_i32 s7, s40, s5
	v_mov_b32_e32 v1, s7
	s_sub_i32 s6, s45, s29
	v_sub_co_u32_e32 v1, vcc, s44, v1
	s_cmp_lg_u64 vcc, 0
	s_subb_u32 s33, s6, s41
	v_subrev_co_u32_e64 v3, s[6:7], s40, v1
	s_cmp_lg_u64 s[6:7], 0
	s_subb_u32 s6, s33, 0
	s_cmp_ge_u32 s6, s41
	v_readfirstlane_b32 s33, v3
	s_cselect_b32 s7, -1, 0
	s_cmp_ge_u32 s33, s40
	s_cselect_b32 s33, -1, 0
	s_cmp_eq_u32 s6, s41
	s_cselect_b32 s6, s33, s7
	s_add_u32 s7, s5, 1
	s_addc_u32 s33, s15, 0
	s_add_u32 s44, s5, 2
	s_addc_u32 s46, s15, 0
	s_cmp_lg_u32 s6, 0
	s_cselect_b32 s6, s44, s7
	s_cselect_b32 s7, s46, s33
	s_cmp_lg_u64 vcc, 0
	s_subb_u32 s29, s45, s29
	s_cmp_ge_u32 s29, s41
	v_readfirstlane_b32 s44, v1
	s_cselect_b32 s33, -1, 0
	s_cmp_ge_u32 s44, s40
	s_cselect_b32 s40, -1, 0
	s_cmp_eq_u32 s29, s41
	s_cselect_b32 s29, s40, s33
	s_cmp_lg_u32 s29, 0
	s_cselect_b32 s7, s7, s15
	s_cselect_b32 s6, s6, s5
	s_xor_b64 s[10:11], s[42:43], s[10:11]
	s_xor_b64 s[6:7], s[6:7], s[10:11]
	s_sub_u32 s10, s6, s10
	s_subb_u32 s11, s7, s11
	s_cbranch_execnz .LBB68_7
.LBB68_6:
	v_cvt_f32_u32_e32 v1, s8
	s_sub_i32 s5, 0, s8
	s_mov_b32 s11, 0
	v_rcp_iflag_f32_e32 v1, v1
	s_nop 0
	v_mul_f32_e32 v1, 0x4f7ffffe, v1
	v_cvt_u32_f32_e32 v1, v1
	s_nop 0
	v_readfirstlane_b32 s6, v1
	s_mul_i32 s5, s5, s6
	s_mul_hi_u32 s5, s6, s5
	s_add_i32 s6, s6, s5
	s_mul_hi_u32 s5, s36, s6
	s_mul_i32 s7, s5, s8
	s_sub_i32 s7, s36, s7
	s_add_i32 s6, s5, 1
	s_sub_i32 s10, s7, s8
	s_cmp_ge_u32 s7, s8
	s_cselect_b32 s5, s6, s5
	s_cselect_b32 s7, s10, s7
	s_add_i32 s6, s5, 1
	s_cmp_ge_u32 s7, s8
	s_cselect_b32 s10, s6, s5
.LBB68_7:
	s_mul_i32 s5, s10, s9
	s_mul_hi_u32 s6, s10, s8
	s_load_dwordx2 s[38:39], s[2:3], 0x78
	s_add_i32 s5, s6, s5
	s_mul_i32 s6, s11, s8
	s_add_i32 s5, s5, s6
	s_mul_i32 s6, s10, s8
	s_sub_u32 s15, s36, s6
	s_subb_u32 s5, s37, s5
	v_cmp_gt_i32_e32 vcc, s28, v2
	s_mul_hi_u32 s42, s10, s12
	s_mul_i32 s43, s11, s12
	s_mul_i32 s44, s10, s12
	s_mul_hi_u32 s33, s15, s13
	s_mul_i32 s5, s5, s13
	s_mul_i32 s11, s15, s13
	s_and_saveexec_b64 s[36:37], vcc
	s_cbranch_execz .LBB68_10
; %bb.8:
	s_load_dwordx2 s[0:1], s[0:1], 0x4
	v_bfe_u32 v1, v0, 10, 10
	s_mul_i32 s6, s4, s17
	s_ashr_i32 s29, s28, 31
	s_load_dword s7, s[2:3], 0x8c
	s_waitcnt lgkmcnt(0)
	s_lshr_b32 s0, s0, 16
	s_mul_i32 s0, s0, s1
	v_mul_lo_u32 v3, s0, v2
	s_mul_hi_u32 s0, s4, s16
	v_mad_u32_u24 v1, v1, s1, v3
	s_add_i32 s1, s0, s6
	s_mul_i32 s0, s4, s16
	s_lshl_b64 s[0:1], s[0:1], 1
	s_add_u32 s16, s20, s0
	s_addc_u32 s17, s21, s1
	s_ashr_i32 s6, s12, 31
	s_mul_i32 s6, s10, s6
	s_add_i32 s6, s42, s6
	s_add_i32 s8, s6, s43
	s_ashr_i32 s6, s13, 31
	s_mul_i32 s6, s15, s6
	s_add_i32 s6, s33, s6
	s_and_b32 s40, s7, 0xffff
	s_add_i32 s9, s6, s5
	s_ashr_i32 s47, s14, 31
	s_lshl_b32 s46, s40, 1
	s_lshl_b64 s[6:7], s[28:29], 1
	s_add_u32 s34, s34, s6
	s_addc_u32 s35, s35, s7
	s_add_u32 s30, s30, s34
	s_addc_u32 s31, s31, s35
	;; [unrolled: 2-line block ×5, first 2 shown]
	s_load_dword s45, s[38:39], 0x0
	s_add_u32 s0, s0, s14
	s_addc_u32 s1, s1, s47
	v_bfe_u32 v0, v0, 20, 10
	s_add_u32 s0, s24, s0
	v_add_lshl_u32 v10, v1, v0, 1
	v_mov_b32_e32 v3, 0
	s_addc_u32 s1, s25, s1
	v_add_u32_e32 v11, 0x800, v10
	s_mov_b32 s41, 0
	v_lshlrev_b32_e32 v0, 1, v2
	v_mov_b32_e32 v1, v3
	v_lshl_add_u64 v[4:5], s[0:1], 0, v[2:3]
	s_mov_b64 s[34:35], 0
	s_movk_i32 s47, 0x7fff
	v_mov_b32_e32 v3, 0x7fc00000
	v_mov_b32_e32 v12, 0x7fc0
	s_mov_b32 s48, 0x7f800000
	s_mov_b32 s49, 0x43700000
	v_mov_b32_e32 v13, 0xc3700000
	v_mov_b32_e32 v14, v2
.LBB68_9:                               ; =>This Inner Loop Header: Depth=1
	v_lshl_add_u64 v[18:19], s[30:31], 0, v[0:1]
	v_lshl_add_u64 v[16:17], s[26:27], 0, v[0:1]
	;; [unrolled: 1-line block ×4, first 2 shown]
	global_load_ushort v15, v[18:19], off
	global_load_ushort v22, v[16:17], off
	;; [unrolled: 1-line block ×4, first 2 shown]
	s_add_u32 s26, s26, s46
	s_addc_u32 s27, s27, 0
	s_add_u32 s30, s30, s46
	s_addc_u32 s31, s31, 0
	;; [unrolled: 2-line block ×3, first 2 shown]
	v_add_u32_e32 v14, s40, v14
	s_add_u32 s16, s16, s46
	v_cmp_le_i32_e32 vcc, s28, v14
	s_addc_u32 s17, s17, 0
	s_or_b64 s[34:35], vcc, s[34:35]
	v_mov_b32_e32 v24, 0
	v_mov_b32_e32 v25, 0
	v_lshl_add_u64 v[16:17], v[4:5], 0, s[28:29]
	s_waitcnt vmcnt(3)
	v_cvt_f32_f16_e32 v23, v15
	s_waitcnt vmcnt(2)
	v_cvt_f32_f16_e32 v26, v22
	s_waitcnt vmcnt(1)
	v_lshlrev_b32_e32 v19, 16, v20
	s_waitcnt vmcnt(0)
	v_lshlrev_b32_e32 v18, 16, v21
	v_bfe_u32 v28, v23, 16, 1
	v_bfe_u32 v27, v26, 16, 1
	v_add3_u32 v23, v23, v28, s47
	v_add3_u32 v26, v26, v27, s47
	v_and_b32_e32 v26, 0xffff0000, v26
	v_and_b32_e32 v23, 0xffff0000, v23
	v_cmp_o_f16_e32 vcc, v22, v22
	v_cmp_o_f16_e64 s[0:1], v15, v15
	v_mov_b32_e32 v20, v19
	v_mov_b32_e32 v21, v18
	v_cndmask_b32_e64 v23, v3, v23, s[0:1]
	v_cndmask_b32_e32 v22, v3, v26, vcc
	v_pk_mul_f32 v[20:21], v[22:23], v[20:21]
	v_pk_mul_f32 v[18:19], v[22:23], v[18:19]
	v_bfe_u32 v15, v20, 16, 1
	v_bfe_u32 v22, v21, 16, 1
	;; [unrolled: 1-line block ×4, first 2 shown]
	v_add3_u32 v22, v21, v22, s47
	v_add3_u32 v15, v20, v15, s47
	;; [unrolled: 1-line block ×4, first 2 shown]
	v_and_b32_e32 v15, 0xffff0000, v15
	v_and_b32_e32 v22, 0xffff0000, v22
	v_cmp_o_f32_e32 vcc, v20, v20
	v_cmp_o_f32_e64 s[8:9], v21, v21
	v_and_b32_e32 v20, 0xffff0000, v23
	v_and_b32_e32 v23, 0xffff0000, v26
	v_cmp_o_f32_e64 s[0:1], v19, v19
	v_cmp_o_f32_e64 s[6:7], v18, v18
	v_cndmask_b32_e64 v18, v3, v22, s[8:9]
	v_cndmask_b32_e32 v15, v3, v15, vcc
	v_cndmask_b32_e64 v19, v3, v23, s[0:1]
	v_cndmask_b32_e64 v20, v3, v20, s[6:7]
	v_sub_f32_e32 v15, v15, v18
	v_add_f32_e32 v18, v20, v19
	v_bfe_u32 v19, v15, 16, 1
	v_bfe_u32 v20, v18, 16, 1
	v_add3_u32 v19, v15, v19, s47
	v_add3_u32 v20, v18, v20, s47
	v_lshrrev_b32_e32 v19, 16, v19
	v_cmp_o_f32_e64 s[0:1], v15, v15
	v_lshrrev_b32_e32 v20, 16, v20
	v_cmp_o_f32_e32 vcc, v18, v18
	v_cndmask_b32_e64 v15, v12, v19, s[0:1]
	s_nop 0
	v_cndmask_b32_e32 v18, v12, v20, vcc
	ds_write_b16 v11, v15
	ds_write_b16 v10, v18
	global_store_short v[8:9], v15, off
	ds_read_b32 v8, v11
	ds_read_b32 v9, v10
	s_waitcnt lgkmcnt(0)
	v_div_scale_f32 v15, s[0:1], s45, s45, v8
	v_div_scale_f32 v20, s[0:1], s45, s45, v9
	v_rcp_f32_e32 v22, v15
	v_rcp_f32_e32 v23, v20
	v_div_scale_f32 v19, vcc, v8, s45, v8
	v_fma_f32 v26, -v15, v22, 1.0
	v_fma_f32 v27, -v20, v23, 1.0
	v_fmac_f32_e32 v22, v26, v22
	v_div_scale_f32 v21, s[0:1], v9, s45, v9
	v_fmac_f32_e32 v23, v27, v23
	v_mul_f32_e32 v26, v19, v22
	v_mul_f32_e32 v27, v21, v23
	v_fma_f32 v28, -v15, v26, v19
	v_fma_f32 v29, -v20, v27, v21
	v_fmac_f32_e32 v26, v28, v22
	v_fmac_f32_e32 v27, v29, v23
	v_fma_f32 v15, -v15, v26, v19
	v_fma_f32 v19, -v20, v27, v21
	v_div_fmas_f32 v15, v15, v22, v26
	s_mov_b64 vcc, s[0:1]
	v_div_fixup_f32 v8, v15, s45, v8
	v_div_fmas_f32 v15, v19, v23, v27
	v_med3_f32 v19, v8, s49, v13
	v_div_fixup_f32 v9, v15, s45, v9
	v_cmp_nlg_f32_e64 vcc, |v8|, s48
	v_med3_f32 v15, v9, s49, v13
	s_nop 0
	v_cndmask_b32_e32 v8, v19, v8, vcc
	v_cmp_nlg_f32_e64 vcc, |v9|, s48
	v_cvt_pk_fp8_f32 v24, v8, v8
	global_store_short v[6:7], v18, off
	global_store_byte v[4:5], v24, off
	v_cndmask_b32_e32 v8, v15, v9, vcc
	v_cvt_pk_fp8_f32 v25, v8, v8
	v_lshl_add_u64 v[4:5], v[4:5], 0, s[40:41]
	global_store_byte v[16:17], v25, off
	s_andn2_b64 exec, exec, s[34:35]
	s_cbranch_execnz .LBB68_9
.LBB68_10:
	s_or_b64 exec, exec, s[36:37]
	v_cmp_gt_i32_e32 vcc, s14, v2
	s_and_saveexec_b64 s[0:1], vcc
	s_cbranch_execz .LBB68_13
; %bb.11:
	s_mul_i32 s0, s4, s19
	s_mul_hi_u32 s1, s4, s18
	s_add_i32 s1, s1, s0
	s_mul_i32 s0, s4, s18
	s_lshl_b64 s[0:1], s[0:1], 1
	s_add_u32 s0, s22, s0
	s_addc_u32 s1, s23, s1
	s_ashr_i32 s4, s12, 31
	s_mul_i32 s4, s10, s4
	s_add_i32 s4, s42, s4
	s_add_i32 s4, s4, s43
	s_add_u32 s6, s24, s44
	s_addc_u32 s4, s25, s4
	s_ashr_i32 s7, s13, 31
	s_mul_i32 s15, s15, s7
	s_add_i32 s7, s33, s15
	s_load_dword s8, s[2:3], 0x8c
	s_add_i32 s7, s7, s5
	s_add_u32 s2, s6, s11
	s_waitcnt lgkmcnt(0)
	s_load_dword s6, s[38:39], 0x0
	s_addc_u32 s3, s4, s7
	s_and_b32 s7, s8, 0xffff
	s_mov_b64 s[4:5], 0
	s_mov_b32 s8, 0x7f800000
	s_mov_b32 s9, 0x43700000
	v_mov_b32_e32 v0, 0xc3700000
.LBB68_12:                              ; =>This Inner Loop Header: Depth=1
	v_ashrrev_i32_e32 v3, 31, v2
	v_lshl_add_u64 v[4:5], v[2:3], 1, s[0:1]
	global_load_dword v1, v[4:5], off
	v_mov_b32_e32 v6, 0
	s_waitcnt vmcnt(0) lgkmcnt(0)
	v_div_scale_f32 v4, s[10:11], s6, s6, v1
	v_rcp_f32_e32 v5, v4
	v_div_scale_f32 v7, vcc, v1, s6, v1
	v_fma_f32 v8, -v4, v5, 1.0
	v_fmac_f32_e32 v5, v8, v5
	v_mul_f32_e32 v8, v7, v5
	v_fma_f32 v9, -v4, v8, v7
	v_fmac_f32_e32 v8, v9, v5
	v_fma_f32 v4, -v4, v8, v7
	v_div_fmas_f32 v4, v4, v5, v8
	v_div_fixup_f32 v1, v4, s6, v1
	v_med3_f32 v4, v1, s9, v0
	v_cmp_nlg_f32_e64 vcc, |v1|, s8
	s_nop 1
	v_cndmask_b32_e32 v1, v4, v1, vcc
	v_cvt_pk_fp8_f32 v6, v1, v1
	v_lshl_add_u64 v[4:5], s[2:3], 0, v[2:3]
	v_add_u32_e32 v2, s7, v2
	v_cmp_le_i32_e32 vcc, s14, v2
	s_or_b64 s[4:5], vcc, s[4:5]
	global_store_byte v[4:5], v6, off
	s_andn2_b64 exec, exec, s[4:5]
	s_cbranch_execnz .LBB68_12
.LBB68_13:
	s_endpgm
.LBB68_14:
                                        ; implicit-def: $sgpr10_sgpr11
	s_branch .LBB68_6
	.section	.rodata,"a",@progbits
	.p2align	6, 0x0
	.amdhsa_kernel _ZN4vllm38concat_and_cache_mla_rope_fused_kernelIN3c108BFloat16ENS1_4HalfELb1EfhLNS_18Fp8KVCacheDataTypeE1EEEvPKlPT_S8_PKS7_PKT0_illlliPT3_S6_iiiiPKf
		.amdhsa_group_segment_fixed_size 4096
		.amdhsa_private_segment_fixed_size 0
		.amdhsa_kernarg_size 384
		.amdhsa_user_sgpr_count 4
		.amdhsa_user_sgpr_dispatch_ptr 1
		.amdhsa_user_sgpr_queue_ptr 0
		.amdhsa_user_sgpr_kernarg_segment_ptr 1
		.amdhsa_user_sgpr_dispatch_id 0
		.amdhsa_user_sgpr_kernarg_preload_length 0
		.amdhsa_user_sgpr_kernarg_preload_offset 0
		.amdhsa_user_sgpr_private_segment_size 0
		.amdhsa_uses_dynamic_stack 0
		.amdhsa_enable_private_segment 0
		.amdhsa_system_sgpr_workgroup_id_x 1
		.amdhsa_system_sgpr_workgroup_id_y 0
		.amdhsa_system_sgpr_workgroup_id_z 0
		.amdhsa_system_sgpr_workgroup_info 0
		.amdhsa_system_vgpr_workitem_id 2
		.amdhsa_next_free_vgpr 30
		.amdhsa_next_free_sgpr 50
		.amdhsa_accum_offset 32
		.amdhsa_reserve_vcc 1
		.amdhsa_float_round_mode_32 0
		.amdhsa_float_round_mode_16_64 0
		.amdhsa_float_denorm_mode_32 3
		.amdhsa_float_denorm_mode_16_64 3
		.amdhsa_dx10_clamp 1
		.amdhsa_ieee_mode 1
		.amdhsa_fp16_overflow 0
		.amdhsa_tg_split 0
		.amdhsa_exception_fp_ieee_invalid_op 0
		.amdhsa_exception_fp_denorm_src 0
		.amdhsa_exception_fp_ieee_div_zero 0
		.amdhsa_exception_fp_ieee_overflow 0
		.amdhsa_exception_fp_ieee_underflow 0
		.amdhsa_exception_fp_ieee_inexact 0
		.amdhsa_exception_int_div_zero 0
	.end_amdhsa_kernel
	.section	.text._ZN4vllm38concat_and_cache_mla_rope_fused_kernelIN3c108BFloat16ENS1_4HalfELb1EfhLNS_18Fp8KVCacheDataTypeE1EEEvPKlPT_S8_PKS7_PKT0_illlliPT3_S6_iiiiPKf,"axG",@progbits,_ZN4vllm38concat_and_cache_mla_rope_fused_kernelIN3c108BFloat16ENS1_4HalfELb1EfhLNS_18Fp8KVCacheDataTypeE1EEEvPKlPT_S8_PKS7_PKT0_illlliPT3_S6_iiiiPKf,comdat
.Lfunc_end68:
	.size	_ZN4vllm38concat_and_cache_mla_rope_fused_kernelIN3c108BFloat16ENS1_4HalfELb1EfhLNS_18Fp8KVCacheDataTypeE1EEEvPKlPT_S8_PKS7_PKT0_illlliPT3_S6_iiiiPKf, .Lfunc_end68-_ZN4vllm38concat_and_cache_mla_rope_fused_kernelIN3c108BFloat16ENS1_4HalfELb1EfhLNS_18Fp8KVCacheDataTypeE1EEEvPKlPT_S8_PKS7_PKT0_illlliPT3_S6_iiiiPKf
                                        ; -- End function
	.section	.AMDGPU.csdata,"",@progbits
; Kernel info:
; codeLenInByte = 3104
; NumSgprs: 56
; NumVgprs: 30
; NumAgprs: 0
; TotalNumVgprs: 30
; ScratchSize: 0
; MemoryBound: 0
; FloatMode: 240
; IeeeMode: 1
; LDSByteSize: 4096 bytes/workgroup (compile time only)
; SGPRBlocks: 6
; VGPRBlocks: 3
; NumSGPRsForWavesPerEU: 56
; NumVGPRsForWavesPerEU: 30
; AccumOffset: 32
; Occupancy: 8
; WaveLimiterHint : 1
; COMPUTE_PGM_RSRC2:SCRATCH_EN: 0
; COMPUTE_PGM_RSRC2:USER_SGPR: 4
; COMPUTE_PGM_RSRC2:TRAP_HANDLER: 0
; COMPUTE_PGM_RSRC2:TGID_X_EN: 1
; COMPUTE_PGM_RSRC2:TGID_Y_EN: 0
; COMPUTE_PGM_RSRC2:TGID_Z_EN: 0
; COMPUTE_PGM_RSRC2:TIDIG_COMP_CNT: 2
; COMPUTE_PGM_RSRC3_GFX90A:ACCUM_OFFSET: 7
; COMPUTE_PGM_RSRC3_GFX90A:TG_SPLIT: 0
	.section	.text._ZN4vllm38concat_and_cache_mla_rope_fused_kernelIN3c108BFloat16ENS1_4HalfELb0EfhLNS_18Fp8KVCacheDataTypeE1EEEvPKlPT_S8_PKS7_PKT0_illlliPT3_S6_iiiiPKf,"axG",@progbits,_ZN4vllm38concat_and_cache_mla_rope_fused_kernelIN3c108BFloat16ENS1_4HalfELb0EfhLNS_18Fp8KVCacheDataTypeE1EEEvPKlPT_S8_PKS7_PKT0_illlliPT3_S6_iiiiPKf,comdat
	.protected	_ZN4vllm38concat_and_cache_mla_rope_fused_kernelIN3c108BFloat16ENS1_4HalfELb0EfhLNS_18Fp8KVCacheDataTypeE1EEEvPKlPT_S8_PKS7_PKT0_illlliPT3_S6_iiiiPKf ; -- Begin function _ZN4vllm38concat_and_cache_mla_rope_fused_kernelIN3c108BFloat16ENS1_4HalfELb0EfhLNS_18Fp8KVCacheDataTypeE1EEEvPKlPT_S8_PKS7_PKT0_illlliPT3_S6_iiiiPKf
	.globl	_ZN4vllm38concat_and_cache_mla_rope_fused_kernelIN3c108BFloat16ENS1_4HalfELb0EfhLNS_18Fp8KVCacheDataTypeE1EEEvPKlPT_S8_PKS7_PKT0_illlliPT3_S6_iiiiPKf
	.p2align	8
	.type	_ZN4vllm38concat_and_cache_mla_rope_fused_kernelIN3c108BFloat16ENS1_4HalfELb0EfhLNS_18Fp8KVCacheDataTypeE1EEEvPKlPT_S8_PKS7_PKT0_illlliPT3_S6_iiiiPKf,@function
_ZN4vllm38concat_and_cache_mla_rope_fused_kernelIN3c108BFloat16ENS1_4HalfELb0EfhLNS_18Fp8KVCacheDataTypeE1EEEvPKlPT_S8_PKS7_PKT0_illlliPT3_S6_iiiiPKf: ; @_ZN4vllm38concat_and_cache_mla_rope_fused_kernelIN3c108BFloat16ENS1_4HalfELb0EfhLNS_18Fp8KVCacheDataTypeE1EEEvPKlPT_S8_PKS7_PKT0_illlliPT3_S6_iiiiPKf
; %bb.0:
	s_load_dwordx2 s[8:9], s[2:3], 0x60
	s_mov_b32 s5, 0
	s_lshl_b64 s[6:7], s[4:5], 3
	s_waitcnt lgkmcnt(0)
	s_add_u32 s8, s8, s6
	s_addc_u32 s9, s9, s7
	s_load_dwordx2 s[34:35], s[8:9], 0x0
	s_waitcnt lgkmcnt(0)
	v_cmp_lt_i64_e64 s[8:9], s[34:35], 0
	s_and_b64 vcc, exec, s[8:9]
	s_cbranch_vccnz .LBB69_13
; %bb.1:
	s_load_dword s5, s[2:3], 0x28
	s_load_dwordx2 s[8:9], s[2:3], 0x0
	s_load_dwordx2 s[28:29], s[2:3], 0x20
	s_load_dwordx4 s[16:19], s[2:3], 0x10
	v_and_b32_e32 v2, 0x3ff, v0
	s_waitcnt lgkmcnt(0)
	s_ashr_i32 s22, s5, 31
	s_add_u32 s6, s8, s6
	s_addc_u32 s7, s9, s7
	s_load_dwordx2 s[20:21], s[6:7], 0x0
	s_load_dwordx8 s[8:15], s[2:3], 0x30
	s_load_dwordx2 s[24:25], s[2:3], 0x58
	s_load_dword s23, s[2:3], 0x50
	v_lshlrev_b32_e32 v4, 1, v2
	s_waitcnt lgkmcnt(0)
	s_mul_i32 s6, s20, s22
	s_mul_hi_u32 s7, s20, s5
	s_add_i32 s6, s7, s6
	s_mul_i32 s7, s21, s5
	s_add_i32 s31, s6, s7
	s_lshr_b32 s6, s5, 31
	s_mul_i32 s30, s20, s5
	s_add_i32 s5, s5, s6
	s_ashr_i32 s26, s5, 1
	s_mul_i32 s5, s26, s23
	v_cmp_gt_i32_e32 vcc, s5, v2
	s_and_saveexec_b64 s[20:21], vcc
	s_cbranch_execz .LBB69_4
; %bb.2:
	s_lshl_b64 s[6:7], s[30:31], 1
	s_add_u32 s22, s28, s6
	s_addc_u32 s23, s29, s7
	s_load_dwordx2 s[6:7], s[2:3], 0x8
	s_load_dword s36, s[2:3], 0x8c
	s_mul_i32 s9, s4, s9
	s_mul_hi_u32 s33, s4, s8
	s_add_i32 s9, s33, s9
	s_mul_i32 s8, s4, s8
	s_ashr_i32 s27, s26, 31
	s_lshl_b64 s[8:9], s[8:9], 1
	s_waitcnt lgkmcnt(0)
	s_add_u32 s8, s6, s8
	s_addc_u32 s9, s7, s9
	s_abs_i32 s33, s26
	v_cvt_f32_u32_e32 v1, s33
	s_sub_i32 s6, 0, s33
	s_and_b32 s38, s36, 0xffff
	s_sub_i32 s39, 0, s26
	v_rcp_iflag_f32_e32 v1, v1
	s_lshl_b32 s41, s38, 1
	s_mov_b64 s[36:37], 0
	s_movk_i32 s42, 0x7fff
	v_mul_f32_e32 v1, 0x4f7ffffe, v1
	v_cvt_u32_f32_e32 v1, v1
	v_mov_b32_e32 v5, 0x7fc0
	s_mov_b32 s43, 0x5040100
	v_mov_b32_e32 v6, v4
	v_mul_lo_u32 v3, s6, v1
	v_mul_hi_u32 v3, v1, v3
	s_lshl_b32 s6, s26, 1
	v_add_u32_e32 v1, v1, v3
	s_sub_i32 s40, 0, s6
	v_mov_b32_e32 v3, 0x7fc00000
	v_mov_b32_e32 v8, v2
.LBB69_3:                               ; =>This Inner Loop Header: Depth=1
	v_sub_u32_e32 v9, 0, v8
	v_max_i32_e32 v9, v8, v9
	v_mul_hi_u32 v10, v9, v1
	v_mul_lo_u32 v11, v10, s33
	v_sub_u32_e32 v9, v9, v11
	v_add_u32_e32 v12, 1, v10
	v_cmp_le_u32_e32 vcc, s33, v9
	v_subrev_u32_e32 v11, s33, v9
	v_ashrrev_i32_e32 v7, 31, v8
	v_cndmask_b32_e32 v10, v10, v12, vcc
	v_cndmask_b32_e32 v9, v9, v11, vcc
	v_add_u32_e32 v11, 1, v10
	v_cmp_le_u32_e32 vcc, s33, v9
	v_xor_b32_e32 v7, s27, v7
	s_nop 0
	v_cndmask_b32_e32 v9, v10, v11, vcc
	v_xor_b32_e32 v9, v9, v7
	v_sub_u32_e32 v7, v9, v7
	v_mad_u64_u32 v[10:11], s[6:7], s39, v7, v[8:9]
	v_ashrrev_i32_e32 v9, 31, v7
	v_ashrrev_i32_e32 v11, 31, v10
	v_mul_lo_u32 v16, v7, s11
	v_mad_u64_u32 v[12:13], s[6:7], v7, s10, 0
	v_mad_u64_u32 v[14:15], s[6:7], s40, v7, v[6:7]
	v_mul_lo_u32 v7, v9, s10
	v_lshl_add_u64 v[10:11], v[10:11], 1, s[22:23]
	v_add3_u32 v13, v13, v16, v7
	v_lshl_add_u64 v[16:17], s[26:27], 1, v[10:11]
	global_load_ushort v7, v[10:11], off
	global_load_ushort v9, v[16:17], off
	v_ashrrev_i32_e32 v15, 31, v14
	v_lshl_add_u64 v[12:13], v[12:13], 1, s[8:9]
	v_lshl_add_u64 v[10:11], v[14:15], 1, v[12:13]
	global_load_dword v12, v[10:11], off
	v_add_u32_e32 v8, s38, v8
	v_cmp_le_i32_e32 vcc, s5, v8
	s_or_b64 s[36:37], vcc, s[36:37]
	v_add_u32_e32 v6, s41, v6
	s_waitcnt vmcnt(2)
	v_cvt_f32_f16_e32 v14, v7
	s_waitcnt vmcnt(1)
	v_cvt_f32_f16_e32 v15, v9
	v_cmp_o_f16_e32 vcc, v7, v7
	v_bfe_u32 v16, v14, 16, 1
	v_add3_u32 v14, v14, v16, s42
	v_bfe_u32 v16, v15, 16, 1
	v_and_b32_e32 v14, 0xffff0000, v14
	v_add3_u32 v15, v15, v16, s42
	s_waitcnt vmcnt(0)
	v_and_b32_e32 v13, 0xffff0000, v12
	v_lshlrev_b32_e32 v12, 16, v12
	v_and_b32_e32 v7, 0xffff0000, v15
	v_cndmask_b32_e32 v14, v3, v14, vcc
	v_cmp_o_f16_e32 vcc, v9, v9
	v_pk_mul_f32 v[14:15], v[14:15], v[12:13] op_sel_hi:[0,1]
	v_bfe_u32 v9, v15, 16, 1
	v_cndmask_b32_e32 v16, v3, v7, vcc
	v_bfe_u32 v7, v14, 16, 1
	v_pk_mul_f32 v[12:13], v[16:17], v[12:13] op_sel_hi:[0,1]
	v_add3_u32 v9, v15, v9, s42
	v_add3_u32 v7, v14, v7, s42
	v_bfe_u32 v16, v13, 16, 1
	v_bfe_u32 v17, v12, 16, 1
	v_and_b32_e32 v7, 0xffff0000, v7
	v_and_b32_e32 v9, 0xffff0000, v9
	v_add3_u32 v17, v12, v17, s42
	v_add3_u32 v16, v13, v16, s42
	v_cmp_o_f32_e32 vcc, v14, v14
	v_cmp_o_f32_e64 s[6:7], v15, v15
	v_and_b32_e32 v16, 0xffff0000, v16
	v_and_b32_e32 v17, 0xffff0000, v17
	v_cndmask_b32_e64 v15, v3, v9, s[6:7]
	v_cndmask_b32_e32 v14, v3, v7, vcc
	v_cmp_o_f32_e32 vcc, v13, v13
	v_cmp_o_f32_e64 s[6:7], v12, v12
	s_nop 0
	v_cndmask_b32_e32 v12, v3, v16, vcc
	v_cndmask_b32_e64 v13, v3, v17, s[6:7]
	v_pk_add_f32 v[16:17], v[14:15], v[12:13] neg_lo:[0,1] neg_hi:[0,1]
	v_pk_add_f32 v[12:13], v[14:15], v[12:13]
	v_bfe_u32 v7, v16, 16, 1
	v_bfe_u32 v9, v13, 16, 1
	v_add3_u32 v9, v13, v9, s42
	v_add3_u32 v7, v16, v7, s42
	v_lshrrev_b32_e32 v7, 16, v7
	v_lshrrev_b32_e32 v9, 16, v9
	v_cmp_o_f32_e32 vcc, v13, v13
	v_cmp_o_f32_e64 s[6:7], v16, v16
	s_nop 0
	v_cndmask_b32_e32 v9, v5, v9, vcc
	v_cndmask_b32_e64 v7, v5, v7, s[6:7]
	v_perm_b32 v7, v9, v7, s43
	global_store_dword v[10:11], v7, off
	s_andn2_b64 exec, exec, s[36:37]
	s_cbranch_execnz .LBB69_3
.LBB69_4:
	s_or_b64 exec, exec, s[20:21]
	s_load_dwordx4 s[20:23], s[2:3], 0x68
	s_waitcnt lgkmcnt(0)
	s_ashr_i32 s9, s23, 31
	s_mov_b32 s8, s23
	s_or_b64 s[6:7], s[34:35], s[8:9]
	s_mov_b32 s6, 0
	s_cmp_lg_u64 s[6:7], 0
	s_cbranch_scc0 .LBB69_14
; %bb.5:
	s_add_u32 s6, s8, s9
	s_mov_b32 s10, s9
	s_mov_b32 s11, s9
	s_addc_u32 s7, s9, s9
	s_xor_b64 s[38:39], s[6:7], s[10:11]
	v_cvt_f32_u32_e32 v1, s38
	v_cvt_f32_u32_e32 v3, s39
	s_sub_u32 s5, 0, s38
	s_subb_u32 s6, 0, s39
	v_fmamk_f32 v1, v3, 0x4f800000, v1
	v_rcp_f32_e32 v1, v1
	s_nop 0
	v_mul_f32_e32 v1, 0x5f7ffffc, v1
	v_mul_f32_e32 v3, 0x2f800000, v1
	v_trunc_f32_e32 v3, v3
	v_fmamk_f32 v1, v3, 0xcf800000, v1
	v_cvt_u32_f32_e32 v3, v3
	v_cvt_u32_f32_e32 v1, v1
	v_readfirstlane_b32 s7, v3
	v_readfirstlane_b32 s23, v1
	s_mul_i32 s27, s5, s7
	s_mul_hi_u32 s40, s5, s23
	s_mul_i32 s33, s6, s23
	s_add_i32 s27, s40, s27
	s_add_i32 s27, s27, s33
	s_mul_i32 s41, s5, s23
	s_mul_hi_u32 s33, s23, s27
	s_mul_i32 s40, s23, s27
	s_mul_hi_u32 s23, s23, s41
	s_add_u32 s23, s23, s40
	s_addc_u32 s33, 0, s33
	s_mul_hi_u32 s42, s7, s41
	s_mul_i32 s41, s7, s41
	s_add_u32 s23, s23, s41
	s_mul_hi_u32 s40, s7, s27
	s_addc_u32 s23, s33, s42
	s_addc_u32 s33, s40, 0
	s_mul_i32 s27, s7, s27
	s_add_u32 s23, s23, s27
	s_addc_u32 s27, 0, s33
	v_add_co_u32_e32 v1, vcc, s23, v1
	s_cmp_lg_u64 vcc, 0
	s_addc_u32 s7, s7, s27
	v_readfirstlane_b32 s27, v1
	s_mul_i32 s23, s5, s7
	s_mul_hi_u32 s33, s5, s27
	s_add_i32 s23, s33, s23
	s_mul_i32 s6, s6, s27
	s_add_i32 s23, s23, s6
	s_mul_i32 s5, s5, s27
	s_mul_hi_u32 s33, s7, s5
	s_mul_i32 s40, s7, s5
	s_mul_i32 s42, s27, s23
	s_mul_hi_u32 s5, s27, s5
	s_mul_hi_u32 s41, s27, s23
	s_add_u32 s5, s5, s42
	s_addc_u32 s27, 0, s41
	s_add_u32 s5, s5, s40
	s_mul_hi_u32 s6, s7, s23
	s_addc_u32 s5, s27, s33
	s_addc_u32 s6, s6, 0
	s_mul_i32 s23, s7, s23
	s_add_u32 s5, s5, s23
	s_addc_u32 s6, 0, s6
	v_add_co_u32_e32 v1, vcc, s5, v1
	s_cmp_lg_u64 vcc, 0
	s_addc_u32 s5, s7, s6
	s_ashr_i32 s40, s35, 31
	s_add_u32 s6, s34, s40
	s_mov_b32 s41, s40
	s_addc_u32 s7, s35, s40
	s_xor_b64 s[42:43], s[6:7], s[40:41]
	v_readfirstlane_b32 s23, v1
	s_mul_i32 s7, s42, s5
	s_mul_hi_u32 s27, s42, s23
	s_mul_hi_u32 s6, s42, s5
	s_add_u32 s7, s27, s7
	s_addc_u32 s6, 0, s6
	s_mul_hi_u32 s33, s43, s23
	s_mul_i32 s23, s43, s23
	s_add_u32 s7, s7, s23
	s_mul_hi_u32 s27, s43, s5
	s_addc_u32 s6, s6, s33
	s_addc_u32 s7, s27, 0
	s_mul_i32 s5, s43, s5
	s_add_u32 s5, s6, s5
	s_addc_u32 s23, 0, s7
	s_mul_i32 s6, s38, s23
	s_mul_hi_u32 s7, s38, s5
	s_add_i32 s6, s7, s6
	s_mul_i32 s7, s39, s5
	s_add_i32 s27, s6, s7
	s_mul_i32 s7, s38, s5
	v_mov_b32_e32 v1, s7
	s_sub_i32 s6, s43, s27
	v_sub_co_u32_e32 v1, vcc, s42, v1
	s_cmp_lg_u64 vcc, 0
	s_subb_u32 s33, s6, s39
	v_subrev_co_u32_e64 v3, s[6:7], s38, v1
	s_cmp_lg_u64 s[6:7], 0
	s_subb_u32 s6, s33, 0
	s_cmp_ge_u32 s6, s39
	v_readfirstlane_b32 s33, v3
	s_cselect_b32 s7, -1, 0
	s_cmp_ge_u32 s33, s38
	s_cselect_b32 s33, -1, 0
	s_cmp_eq_u32 s6, s39
	s_cselect_b32 s6, s33, s7
	s_add_u32 s7, s5, 1
	s_addc_u32 s33, s23, 0
	s_add_u32 s42, s5, 2
	s_addc_u32 s44, s23, 0
	s_cmp_lg_u32 s6, 0
	s_cselect_b32 s6, s42, s7
	s_cselect_b32 s7, s44, s33
	s_cmp_lg_u64 vcc, 0
	s_subb_u32 s27, s43, s27
	s_cmp_ge_u32 s27, s39
	v_readfirstlane_b32 s42, v1
	s_cselect_b32 s33, -1, 0
	s_cmp_ge_u32 s42, s38
	s_cselect_b32 s38, -1, 0
	s_cmp_eq_u32 s27, s39
	s_cselect_b32 s27, s38, s33
	s_cmp_lg_u32 s27, 0
	s_cselect_b32 s7, s7, s23
	s_cselect_b32 s6, s6, s5
	s_xor_b64 s[10:11], s[40:41], s[10:11]
	s_xor_b64 s[6:7], s[6:7], s[10:11]
	s_sub_u32 s10, s6, s10
	s_subb_u32 s11, s7, s11
	s_cbranch_execnz .LBB69_7
.LBB69_6:
	v_cvt_f32_u32_e32 v1, s8
	s_sub_i32 s5, 0, s8
	s_mov_b32 s11, 0
	v_rcp_iflag_f32_e32 v1, v1
	s_nop 0
	v_mul_f32_e32 v1, 0x4f7ffffe, v1
	v_cvt_u32_f32_e32 v1, v1
	s_nop 0
	v_readfirstlane_b32 s6, v1
	s_mul_i32 s5, s5, s6
	s_mul_hi_u32 s5, s6, s5
	s_add_i32 s6, s6, s5
	s_mul_hi_u32 s5, s34, s6
	s_mul_i32 s7, s5, s8
	s_sub_i32 s7, s34, s7
	s_add_i32 s6, s5, 1
	s_sub_i32 s10, s7, s8
	s_cmp_ge_u32 s7, s8
	s_cselect_b32 s5, s6, s5
	s_cselect_b32 s7, s10, s7
	s_add_i32 s6, s5, 1
	s_cmp_ge_u32 s7, s8
	s_cselect_b32 s10, s6, s5
.LBB69_7:
	s_mul_i32 s5, s10, s9
	s_mul_hi_u32 s6, s10, s8
	s_load_dwordx2 s[36:37], s[2:3], 0x78
	s_add_i32 s5, s6, s5
	s_mul_i32 s6, s11, s8
	s_add_i32 s5, s5, s6
	s_mul_i32 s6, s10, s8
	s_sub_u32 s23, s34, s6
	s_subb_u32 s5, s35, s5
	v_cmp_gt_i32_e32 vcc, s26, v2
	s_mul_hi_u32 s38, s10, s20
	s_mul_i32 s39, s11, s20
	s_mul_i32 s40, s10, s20
	s_mul_hi_u32 s33, s23, s21
	s_mul_i32 s5, s5, s21
	s_mul_i32 s11, s23, s21
	s_and_saveexec_b64 s[34:35], vcc
	s_cbranch_execz .LBB69_10
; %bb.8:
	s_load_dwordx2 s[0:1], s[0:1], 0x4
	v_bfe_u32 v1, v0, 10, 10
	s_ashr_i32 s6, s20, 31
	s_ashr_i32 s27, s26, 31
	;; [unrolled: 1-line block ×3, first 2 shown]
	s_waitcnt lgkmcnt(0)
	s_lshr_b32 s0, s0, 16
	s_mul_i32 s0, s0, s1
	v_mul_lo_u32 v3, s0, v2
	v_mad_u32_u24 v1, v1, s1, v3
	s_mul_i32 s0, s10, s6
	s_load_dword s1, s[2:3], 0x8c
	s_add_i32 s0, s38, s0
	s_add_i32 s6, s0, s39
	s_ashr_i32 s0, s21, 31
	s_mul_i32 s0, s23, s0
	s_add_i32 s0, s33, s0
	s_add_i32 s7, s0, s5
	s_waitcnt lgkmcnt(0)
	s_and_b32 s42, s1, 0xffff
	s_lshl_b64 s[0:1], s[30:31], 1
	s_add_u32 s0, s28, s0
	v_bfe_u32 v0, v0, 20, 10
	v_mov_b32_e32 v5, 0
	s_addc_u32 s1, s29, s1
	v_add_lshl_u32 v3, v1, v0, 1
	v_lshl_add_u64 v[0:1], s[0:1], 0, v[4:5]
	s_mul_i32 s0, s13, s4
	s_mul_hi_u32 s1, s12, s4
	s_add_i32 s1, s1, s0
	s_mul_i32 s0, s12, s4
	s_lshl_b32 s28, s42, 1
	s_lshl_b64 s[0:1], s[0:1], 1
	s_add_u32 s0, s16, s0
	v_lshlrev_b32_e32 v8, 2, v2
	v_mov_b32_e32 v9, v5
	s_addc_u32 s1, s17, s1
	s_lshl_b32 s30, s42, 2
	v_lshl_add_u64 v[8:9], s[0:1], 0, v[8:9]
	s_add_u32 s0, s40, s11
	s_addc_u32 s1, s6, s7
	s_load_dword s41, s[36:37], 0x0
	s_add_u32 s6, s24, s22
	s_addc_u32 s7, s25, s8
	s_add_u32 s0, s6, s0
	s_addc_u32 s1, s7, s1
	v_add_u32_e32 v10, 0x800, v3
	s_mov_b32 s31, 0
	v_lshl_add_u64 v[6:7], s[26:27], 1, v[0:1]
	v_lshl_add_u64 v[4:5], s[0:1], 0, v[4:5]
	s_mov_b64 s[12:13], 0
	s_movk_i32 s27, 0x7fff
	v_mov_b32_e32 v11, 0x7fc00000
	v_mov_b32_e32 v12, 0x7fc0
	s_mov_b32 s29, 0x5040100
	s_mov_b32 s43, 0x7f800000
	;; [unrolled: 1-line block ×3, first 2 shown]
	v_mov_b32_e32 v13, 0xc3700000
	s_mov_b64 s[16:17], 0
	v_mov_b32_e32 v14, v2
.LBB69_9:                               ; =>This Inner Loop Header: Depth=1
	v_lshl_add_u64 v[16:17], v[0:1], 0, s[16:17]
	v_lshl_add_u64 v[18:19], v[6:7], 0, s[16:17]
	global_load_ushort v15, v[16:17], off
	global_load_ushort v20, v[18:19], off
	global_load_dword v21, v[8:9], off
	v_lshl_add_u64 v[16:17], v[4:5], 0, s[16:17]
	v_add_u32_e32 v14, s42, v14
	s_add_u32 s16, s16, s28
	s_addc_u32 s17, s17, 0
	v_cmp_le_i32_e32 vcc, s26, v14
	s_or_b64 s[12:13], vcc, s[12:13]
	v_mov_b32_e32 v25, 0
	v_mov_b32_e32 v24, 0
	s_waitcnt vmcnt(2)
	v_cmp_o_f16_e64 s[0:1], v15, v15
	s_waitcnt vmcnt(1)
	v_cvt_f32_f16_e32 v22, v20
	s_waitcnt vmcnt(0)
	v_and_b32_e32 v19, 0xffff0000, v21
	v_lshlrev_b32_e32 v18, 16, v21
	v_cvt_f32_f16_e32 v21, v15
	v_bfe_u32 v26, v22, 16, 1
	v_add3_u32 v22, v22, v26, s27
	v_and_b32_e32 v22, 0xffff0000, v22
	v_bfe_u32 v23, v21, 16, 1
	v_add3_u32 v21, v21, v23, s27
	v_and_b32_e32 v21, 0xffff0000, v21
	v_cmp_o_f16_e32 vcc, v20, v20
	v_cndmask_b32_e64 v20, v11, v21, s[0:1]
	v_pk_mul_f32 v[20:21], v[20:21], v[18:19] op_sel_hi:[0,1]
	v_cndmask_b32_e32 v22, v11, v22, vcc
	v_pk_mul_f32 v[18:19], v[22:23], v[18:19] op_sel_hi:[0,1]
	v_bfe_u32 v15, v20, 16, 1
	v_bfe_u32 v22, v21, 16, 1
	;; [unrolled: 1-line block ×4, first 2 shown]
	v_add3_u32 v22, v21, v22, s27
	v_add3_u32 v15, v20, v15, s27
	;; [unrolled: 1-line block ×4, first 2 shown]
	v_and_b32_e32 v15, 0xffff0000, v15
	v_and_b32_e32 v22, 0xffff0000, v22
	;; [unrolled: 1-line block ×4, first 2 shown]
	v_cmp_o_f32_e32 vcc, v20, v20
	v_cmp_o_f32_e64 s[0:1], v18, v18
	v_cmp_o_f32_e64 s[6:7], v19, v19
	v_cmp_o_f32_e64 s[8:9], v21, v21
	v_cndmask_b32_e32 v18, v11, v15, vcc
	v_cndmask_b32_e64 v21, v11, v26, s[0:1]
	v_cndmask_b32_e64 v19, v11, v22, s[8:9]
	;; [unrolled: 1-line block ×3, first 2 shown]
	v_pk_add_f32 v[22:23], v[18:19], v[20:21] neg_lo:[0,1] neg_hi:[0,1]
	v_pk_add_f32 v[18:19], v[18:19], v[20:21]
	v_bfe_u32 v15, v22, 16, 1
	v_bfe_u32 v18, v19, 16, 1
	v_add3_u32 v15, v22, v15, s27
	v_add3_u32 v18, v19, v18, s27
	v_lshrrev_b32_e32 v15, 16, v15
	v_cmp_o_f32_e64 s[0:1], v22, v22
	v_lshrrev_b32_e32 v18, 16, v18
	v_cmp_o_f32_e32 vcc, v19, v19
	v_cndmask_b32_e64 v15, v12, v15, s[0:1]
	s_nop 0
	v_cndmask_b32_e32 v18, v12, v18, vcc
	ds_write_b16 v10, v15
	ds_write_b16 v3, v18
	v_perm_b32 v19, v18, v15, s29
	ds_read_b32 v15, v10
	ds_read_b32 v18, v3
	global_store_dword v[8:9], v19, off
	v_lshl_add_u64 v[8:9], v[8:9], 0, s[30:31]
	s_waitcnt lgkmcnt(0)
	v_div_scale_f32 v20, s[0:1], s41, s41, v15
	v_div_scale_f32 v22, s[0:1], s41, s41, v18
	v_rcp_f32_e32 v26, v20
	v_rcp_f32_e32 v27, v22
	v_div_scale_f32 v21, vcc, v15, s41, v15
	v_fma_f32 v28, -v20, v26, 1.0
	v_fma_f32 v29, -v22, v27, 1.0
	v_fmac_f32_e32 v26, v28, v26
	v_div_scale_f32 v23, s[0:1], v18, s41, v18
	v_fmac_f32_e32 v27, v29, v27
	v_mul_f32_e32 v28, v21, v26
	v_mul_f32_e32 v29, v23, v27
	v_fma_f32 v30, -v20, v28, v21
	v_fma_f32 v31, -v22, v29, v23
	v_fmac_f32_e32 v28, v30, v26
	v_fmac_f32_e32 v29, v31, v27
	v_fma_f32 v20, -v20, v28, v21
	v_fma_f32 v21, -v22, v29, v23
	v_div_fmas_f32 v20, v20, v26, v28
	s_mov_b64 vcc, s[0:1]
	v_div_fixup_f32 v15, v20, s41, v15
	v_div_fmas_f32 v20, v21, v27, v29
	v_med3_f32 v21, v15, s44, v13
	v_div_fixup_f32 v18, v20, s41, v18
	v_cmp_nlg_f32_e64 vcc, |v15|, s43
	v_med3_f32 v20, v18, s44, v13
	s_nop 0
	v_cndmask_b32_e32 v15, v21, v15, vcc
	v_cmp_nlg_f32_e64 vcc, |v18|, s43
	v_cvt_pk_fp8_f32 v24, v15, v15
	s_nop 0
	v_cndmask_b32_e32 v18, v20, v18, vcc
	v_cvt_pk_fp8_f32 v25, v18, v18
	v_lshlrev_b16_e32 v15, 8, v25
	v_or_b32_sdwa v15, v24, v15 dst_sel:DWORD dst_unused:UNUSED_PAD src0_sel:BYTE_0 src1_sel:DWORD
	global_store_short v[16:17], v15, off
	s_andn2_b64 exec, exec, s[12:13]
	s_cbranch_execnz .LBB69_9
.LBB69_10:
	s_or_b64 exec, exec, s[34:35]
	v_cmp_gt_i32_e32 vcc, s22, v2
	s_and_saveexec_b64 s[0:1], vcc
	s_cbranch_execz .LBB69_13
; %bb.11:
	s_mul_i32 s0, s4, s15
	s_mul_hi_u32 s1, s4, s14
	s_add_i32 s1, s1, s0
	s_mul_i32 s0, s4, s14
	s_lshl_b64 s[0:1], s[0:1], 1
	s_add_u32 s0, s18, s0
	s_addc_u32 s1, s19, s1
	s_ashr_i32 s4, s20, 31
	s_mul_i32 s4, s10, s4
	s_add_i32 s4, s38, s4
	s_add_i32 s4, s4, s39
	s_add_u32 s6, s24, s40
	s_addc_u32 s4, s25, s4
	s_ashr_i32 s7, s21, 31
	s_mul_i32 s23, s23, s7
	s_add_i32 s7, s33, s23
	s_load_dword s8, s[2:3], 0x8c
	s_add_i32 s7, s7, s5
	s_add_u32 s2, s6, s11
	s_waitcnt lgkmcnt(0)
	s_load_dword s6, s[36:37], 0x0
	s_addc_u32 s3, s4, s7
	s_and_b32 s7, s8, 0xffff
	s_mov_b64 s[4:5], 0
	s_mov_b32 s8, 0x7f800000
	s_mov_b32 s9, 0x43700000
	v_mov_b32_e32 v0, 0xc3700000
.LBB69_12:                              ; =>This Inner Loop Header: Depth=1
	v_ashrrev_i32_e32 v3, 31, v2
	v_lshl_add_u64 v[4:5], v[2:3], 1, s[0:1]
	global_load_dword v1, v[4:5], off
	v_mov_b32_e32 v6, 0
	s_waitcnt vmcnt(0) lgkmcnt(0)
	v_div_scale_f32 v4, s[10:11], s6, s6, v1
	v_rcp_f32_e32 v5, v4
	v_div_scale_f32 v7, vcc, v1, s6, v1
	v_fma_f32 v8, -v4, v5, 1.0
	v_fmac_f32_e32 v5, v8, v5
	v_mul_f32_e32 v8, v7, v5
	v_fma_f32 v9, -v4, v8, v7
	v_fmac_f32_e32 v8, v9, v5
	v_fma_f32 v4, -v4, v8, v7
	v_div_fmas_f32 v4, v4, v5, v8
	v_div_fixup_f32 v1, v4, s6, v1
	v_med3_f32 v4, v1, s9, v0
	v_cmp_nlg_f32_e64 vcc, |v1|, s8
	s_nop 1
	v_cndmask_b32_e32 v1, v4, v1, vcc
	v_cvt_pk_fp8_f32 v6, v1, v1
	v_lshl_add_u64 v[4:5], s[2:3], 0, v[2:3]
	v_add_u32_e32 v2, s7, v2
	v_cmp_le_i32_e32 vcc, s22, v2
	s_or_b64 s[4:5], vcc, s[4:5]
	global_store_byte v[4:5], v6, off
	s_andn2_b64 exec, exec, s[4:5]
	s_cbranch_execnz .LBB69_12
.LBB69_13:
	s_endpgm
.LBB69_14:
                                        ; implicit-def: $sgpr10_sgpr11
	s_branch .LBB69_6
	.section	.rodata,"a",@progbits
	.p2align	6, 0x0
	.amdhsa_kernel _ZN4vllm38concat_and_cache_mla_rope_fused_kernelIN3c108BFloat16ENS1_4HalfELb0EfhLNS_18Fp8KVCacheDataTypeE1EEEvPKlPT_S8_PKS7_PKT0_illlliPT3_S6_iiiiPKf
		.amdhsa_group_segment_fixed_size 4096
		.amdhsa_private_segment_fixed_size 0
		.amdhsa_kernarg_size 384
		.amdhsa_user_sgpr_count 4
		.amdhsa_user_sgpr_dispatch_ptr 1
		.amdhsa_user_sgpr_queue_ptr 0
		.amdhsa_user_sgpr_kernarg_segment_ptr 1
		.amdhsa_user_sgpr_dispatch_id 0
		.amdhsa_user_sgpr_kernarg_preload_length 0
		.amdhsa_user_sgpr_kernarg_preload_offset 0
		.amdhsa_user_sgpr_private_segment_size 0
		.amdhsa_uses_dynamic_stack 0
		.amdhsa_enable_private_segment 0
		.amdhsa_system_sgpr_workgroup_id_x 1
		.amdhsa_system_sgpr_workgroup_id_y 0
		.amdhsa_system_sgpr_workgroup_id_z 0
		.amdhsa_system_sgpr_workgroup_info 0
		.amdhsa_system_vgpr_workitem_id 2
		.amdhsa_next_free_vgpr 32
		.amdhsa_next_free_sgpr 45
		.amdhsa_accum_offset 32
		.amdhsa_reserve_vcc 1
		.amdhsa_float_round_mode_32 0
		.amdhsa_float_round_mode_16_64 0
		.amdhsa_float_denorm_mode_32 3
		.amdhsa_float_denorm_mode_16_64 3
		.amdhsa_dx10_clamp 1
		.amdhsa_ieee_mode 1
		.amdhsa_fp16_overflow 0
		.amdhsa_tg_split 0
		.amdhsa_exception_fp_ieee_invalid_op 0
		.amdhsa_exception_fp_denorm_src 0
		.amdhsa_exception_fp_ieee_div_zero 0
		.amdhsa_exception_fp_ieee_overflow 0
		.amdhsa_exception_fp_ieee_underflow 0
		.amdhsa_exception_fp_ieee_inexact 0
		.amdhsa_exception_int_div_zero 0
	.end_amdhsa_kernel
	.section	.text._ZN4vllm38concat_and_cache_mla_rope_fused_kernelIN3c108BFloat16ENS1_4HalfELb0EfhLNS_18Fp8KVCacheDataTypeE1EEEvPKlPT_S8_PKS7_PKT0_illlliPT3_S6_iiiiPKf,"axG",@progbits,_ZN4vllm38concat_and_cache_mla_rope_fused_kernelIN3c108BFloat16ENS1_4HalfELb0EfhLNS_18Fp8KVCacheDataTypeE1EEEvPKlPT_S8_PKS7_PKT0_illlliPT3_S6_iiiiPKf,comdat
.Lfunc_end69:
	.size	_ZN4vllm38concat_and_cache_mla_rope_fused_kernelIN3c108BFloat16ENS1_4HalfELb0EfhLNS_18Fp8KVCacheDataTypeE1EEEvPKlPT_S8_PKS7_PKT0_illlliPT3_S6_iiiiPKf, .Lfunc_end69-_ZN4vllm38concat_and_cache_mla_rope_fused_kernelIN3c108BFloat16ENS1_4HalfELb0EfhLNS_18Fp8KVCacheDataTypeE1EEEvPKlPT_S8_PKS7_PKT0_illlliPT3_S6_iiiiPKf
                                        ; -- End function
	.section	.AMDGPU.csdata,"",@progbits
; Kernel info:
; codeLenInByte = 3096
; NumSgprs: 51
; NumVgprs: 32
; NumAgprs: 0
; TotalNumVgprs: 32
; ScratchSize: 0
; MemoryBound: 0
; FloatMode: 240
; IeeeMode: 1
; LDSByteSize: 4096 bytes/workgroup (compile time only)
; SGPRBlocks: 6
; VGPRBlocks: 3
; NumSGPRsForWavesPerEU: 51
; NumVGPRsForWavesPerEU: 32
; AccumOffset: 32
; Occupancy: 8
; WaveLimiterHint : 1
; COMPUTE_PGM_RSRC2:SCRATCH_EN: 0
; COMPUTE_PGM_RSRC2:USER_SGPR: 4
; COMPUTE_PGM_RSRC2:TRAP_HANDLER: 0
; COMPUTE_PGM_RSRC2:TGID_X_EN: 1
; COMPUTE_PGM_RSRC2:TGID_Y_EN: 0
; COMPUTE_PGM_RSRC2:TGID_Z_EN: 0
; COMPUTE_PGM_RSRC2:TIDIG_COMP_CNT: 2
; COMPUTE_PGM_RSRC3_GFX90A:ACCUM_OFFSET: 7
; COMPUTE_PGM_RSRC3_GFX90A:TG_SPLIT: 0
	.section	.text._ZN4vllm38concat_and_cache_mla_rope_fused_kernelIN3c108BFloat16ES2_Lb1EfhLNS_18Fp8KVCacheDataTypeE1EEEvPKlPT_S7_PKS6_PKT0_illlliPT3_S5_iiiiPKf,"axG",@progbits,_ZN4vllm38concat_and_cache_mla_rope_fused_kernelIN3c108BFloat16ES2_Lb1EfhLNS_18Fp8KVCacheDataTypeE1EEEvPKlPT_S7_PKS6_PKT0_illlliPT3_S5_iiiiPKf,comdat
	.protected	_ZN4vllm38concat_and_cache_mla_rope_fused_kernelIN3c108BFloat16ES2_Lb1EfhLNS_18Fp8KVCacheDataTypeE1EEEvPKlPT_S7_PKS6_PKT0_illlliPT3_S5_iiiiPKf ; -- Begin function _ZN4vllm38concat_and_cache_mla_rope_fused_kernelIN3c108BFloat16ES2_Lb1EfhLNS_18Fp8KVCacheDataTypeE1EEEvPKlPT_S7_PKS6_PKT0_illlliPT3_S5_iiiiPKf
	.globl	_ZN4vllm38concat_and_cache_mla_rope_fused_kernelIN3c108BFloat16ES2_Lb1EfhLNS_18Fp8KVCacheDataTypeE1EEEvPKlPT_S7_PKS6_PKT0_illlliPT3_S5_iiiiPKf
	.p2align	8
	.type	_ZN4vllm38concat_and_cache_mla_rope_fused_kernelIN3c108BFloat16ES2_Lb1EfhLNS_18Fp8KVCacheDataTypeE1EEEvPKlPT_S7_PKS6_PKT0_illlliPT3_S5_iiiiPKf,@function
_ZN4vllm38concat_and_cache_mla_rope_fused_kernelIN3c108BFloat16ES2_Lb1EfhLNS_18Fp8KVCacheDataTypeE1EEEvPKlPT_S7_PKS6_PKT0_illlliPT3_S5_iiiiPKf: ; @_ZN4vllm38concat_and_cache_mla_rope_fused_kernelIN3c108BFloat16ES2_Lb1EfhLNS_18Fp8KVCacheDataTypeE1EEEvPKlPT_S7_PKS6_PKT0_illlliPT3_S5_iiiiPKf
; %bb.0:
	s_load_dwordx2 s[8:9], s[2:3], 0x60
	s_mov_b32 s5, 0
	s_lshl_b64 s[6:7], s[4:5], 3
	s_waitcnt lgkmcnt(0)
	s_add_u32 s8, s8, s6
	s_addc_u32 s9, s9, s7
	s_load_dwordx2 s[36:37], s[8:9], 0x0
	s_waitcnt lgkmcnt(0)
	v_cmp_lt_i64_e64 s[8:9], s[36:37], 0
	s_and_b64 vcc, exec, s[8:9]
	s_cbranch_vccnz .LBB70_13
; %bb.1:
	s_load_dword s5, s[2:3], 0x28
	s_load_dwordx2 s[8:9], s[2:3], 0x0
	s_load_dwordx2 s[30:31], s[2:3], 0x20
	s_load_dwordx4 s[20:23], s[2:3], 0x10
	v_and_b32_e32 v2, 0x3ff, v0
	s_waitcnt lgkmcnt(0)
	s_ashr_i32 s10, s5, 31
	s_add_u32 s6, s8, s6
	s_addc_u32 s7, s9, s7
	s_load_dwordx2 s[8:9], s[6:7], 0x0
	s_load_dwordx8 s[12:19], s[2:3], 0x30
	s_load_dwordx2 s[24:25], s[2:3], 0x58
	s_load_dword s11, s[2:3], 0x50
	s_waitcnt lgkmcnt(0)
	s_mul_i32 s6, s8, s10
	s_mul_hi_u32 s7, s8, s5
	s_add_i32 s6, s7, s6
	s_mul_i32 s7, s9, s5
	s_add_i32 s7, s6, s7
	s_mul_i32 s6, s8, s5
	s_lshl_b64 s[34:35], s[6:7], 1
	s_add_u32 s26, s30, s34
	s_addc_u32 s27, s31, s35
	s_lshr_b32 s6, s5, 31
	s_add_i32 s5, s5, s6
	s_ashr_i32 s28, s5, 1
	s_mul_i32 s5, s28, s11
	v_cmp_gt_i32_e32 vcc, s5, v2
	s_and_saveexec_b64 s[38:39], vcc
	s_cbranch_execz .LBB70_4
; %bb.2:
	s_load_dwordx2 s[6:7], s[2:3], 0x8
	s_load_dword s10, s[2:3], 0x8c
	s_mul_i32 s8, s4, s13
	s_mul_hi_u32 s9, s4, s12
	s_add_i32 s9, s9, s8
	s_mul_i32 s8, s4, s12
	s_ashr_i32 s29, s28, 31
	s_lshl_b64 s[8:9], s[8:9], 1
	s_waitcnt lgkmcnt(0)
	s_add_u32 s12, s6, s8
	s_addc_u32 s13, s7, s9
	s_abs_i32 s33, s28
	v_cvt_f32_u32_e32 v1, s33
	s_sub_i32 s6, 0, s33
	s_mov_b64 s[40:41], 0
	s_and_b32 s44, s10, 0xffff
	v_rcp_iflag_f32_e32 v1, v1
	s_sub_i32 s45, 0, s28
	s_lshl_b64 s[42:43], s[28:29], 1
	s_movk_i32 s46, 0x7fff
	v_mul_f32_e32 v1, 0x4f7ffffe, v1
	v_cvt_u32_f32_e32 v1, v1
	v_mov_b32_e32 v5, 0x7fc0
	v_mov_b32_e32 v4, v2
	v_mul_lo_u32 v3, s6, v1
	v_mul_hi_u32 v3, v1, v3
	v_add_u32_e32 v1, v1, v3
	v_mov_b32_e32 v3, 0x7fc00000
.LBB70_3:                               ; =>This Inner Loop Header: Depth=1
	v_sub_u32_e32 v7, 0, v4
	v_max_i32_e32 v7, v4, v7
	v_mul_hi_u32 v8, v7, v1
	v_mul_lo_u32 v9, v8, s33
	v_sub_u32_e32 v7, v7, v9
	v_add_u32_e32 v10, 1, v8
	v_cmp_le_u32_e32 vcc, s33, v7
	v_subrev_u32_e32 v9, s33, v7
	v_ashrrev_i32_e32 v6, 31, v4
	v_cndmask_b32_e32 v8, v8, v10, vcc
	v_cndmask_b32_e32 v7, v7, v9, vcc
	v_add_u32_e32 v9, 1, v8
	v_cmp_le_u32_e32 vcc, s33, v7
	v_xor_b32_e32 v6, s29, v6
	s_nop 0
	v_cndmask_b32_e32 v7, v8, v9, vcc
	v_xor_b32_e32 v7, v7, v6
	v_sub_u32_e32 v8, v7, v6
	v_mad_u64_u32 v[6:7], s[6:7], s45, v8, v[4:5]
	v_ashrrev_i32_e32 v10, 31, v8
	v_ashrrev_i32_e32 v7, 31, v6
	v_mul_lo_u32 v11, v8, s15
	v_mad_u64_u32 v[8:9], s[6:7], v8, s14, 0
	v_mul_lo_u32 v10, v10, s14
	v_lshlrev_b64 v[6:7], 1, v[6:7]
	v_add3_u32 v9, v9, v11, v10
	v_lshl_add_u64 v[10:11], s[26:27], 0, v[6:7]
	v_lshl_add_u64 v[8:9], v[8:9], 1, s[12:13]
	;; [unrolled: 1-line block ×4, first 2 shown]
	global_load_ushort v14, v[12:13], off
	global_load_ushort v15, v[10:11], off
	v_lshl_add_u64 v[8:9], v[6:7], 0, s[42:43]
	global_load_ushort v12, v[6:7], off
	global_load_ushort v13, v[8:9], off
	v_add_u32_e32 v4, s44, v4
	v_cmp_le_i32_e32 vcc, s5, v4
	s_or_b64 s[40:41], vcc, s[40:41]
	s_waitcnt vmcnt(3)
	v_lshlrev_b32_e32 v10, 16, v14
	s_waitcnt vmcnt(2)
	v_lshlrev_b32_e32 v11, 16, v15
	;; [unrolled: 2-line block ×4, first 2 shown]
	v_mov_b32_e32 v14, v11
	v_mov_b32_e32 v15, v10
	v_pk_mul_f32 v[14:15], v[14:15], v[12:13]
	v_pk_mul_f32 v[10:11], v[10:11], v[12:13]
	v_bfe_u32 v12, v14, 16, 1
	v_bfe_u32 v13, v15, 16, 1
	;; [unrolled: 1-line block ×4, first 2 shown]
	v_add3_u32 v13, v15, v13, s46
	v_add3_u32 v12, v14, v12, s46
	;; [unrolled: 1-line block ×4, first 2 shown]
	v_and_b32_e32 v12, 0xffff0000, v12
	v_and_b32_e32 v13, 0xffff0000, v13
	v_cmp_o_f32_e32 vcc, v14, v14
	v_cmp_o_f32_e64 s[10:11], v15, v15
	v_and_b32_e32 v14, 0xffff0000, v16
	v_and_b32_e32 v16, 0xffff0000, v17
	v_cmp_o_f32_e64 s[6:7], v11, v11
	v_cmp_o_f32_e64 s[8:9], v10, v10
	v_cndmask_b32_e64 v10, v3, v13, s[10:11]
	v_cndmask_b32_e32 v11, v3, v12, vcc
	v_cndmask_b32_e64 v12, v3, v16, s[6:7]
	v_cndmask_b32_e64 v13, v3, v14, s[8:9]
	v_sub_f32_e32 v10, v11, v10
	v_add_f32_e32 v11, v13, v12
	v_bfe_u32 v12, v10, 16, 1
	v_bfe_u32 v13, v11, 16, 1
	v_add3_u32 v12, v10, v12, s46
	v_add3_u32 v13, v11, v13, s46
	v_lshrrev_b32_e32 v12, 16, v12
	v_cmp_o_f32_e64 s[6:7], v10, v10
	v_lshrrev_b32_e32 v13, 16, v13
	v_cmp_o_f32_e32 vcc, v11, v11
	v_cndmask_b32_e64 v10, v5, v12, s[6:7]
	s_nop 0
	v_cndmask_b32_e32 v11, v5, v13, vcc
	global_store_short v[6:7], v10, off
	global_store_short v[8:9], v11, off
	s_andn2_b64 exec, exec, s[40:41]
	s_cbranch_execnz .LBB70_3
.LBB70_4:
	s_or_b64 exec, exec, s[38:39]
	s_load_dwordx4 s[8:11], s[2:3], 0x68
	s_waitcnt lgkmcnt(0)
	s_ashr_i32 s39, s11, 31
	s_mov_b32 s38, s11
	s_or_b64 s[6:7], s[36:37], s[38:39]
	s_mov_b32 s6, 0
	s_cmp_lg_u64 s[6:7], 0
	s_cbranch_scc0 .LBB70_14
; %bb.5:
	s_add_u32 s6, s38, s39
	s_mov_b32 s12, s39
	s_mov_b32 s13, s39
	s_addc_u32 s7, s39, s39
	s_xor_b64 s[40:41], s[6:7], s[12:13]
	v_cvt_f32_u32_e32 v1, s40
	v_cvt_f32_u32_e32 v3, s41
	s_sub_u32 s5, 0, s40
	s_subb_u32 s6, 0, s41
	v_fmamk_f32 v1, v3, 0x4f800000, v1
	v_rcp_f32_e32 v1, v1
	s_nop 0
	v_mul_f32_e32 v1, 0x5f7ffffc, v1
	v_mul_f32_e32 v3, 0x2f800000, v1
	v_trunc_f32_e32 v3, v3
	v_fmamk_f32 v1, v3, 0xcf800000, v1
	v_cvt_u32_f32_e32 v3, v3
	v_cvt_u32_f32_e32 v1, v1
	v_readfirstlane_b32 s7, v3
	v_readfirstlane_b32 s11, v1
	s_mul_i32 s29, s5, s7
	s_mul_hi_u32 s42, s5, s11
	s_mul_i32 s33, s6, s11
	s_add_i32 s29, s42, s29
	s_add_i32 s29, s29, s33
	s_mul_i32 s43, s5, s11
	s_mul_hi_u32 s33, s11, s29
	s_mul_i32 s42, s11, s29
	s_mul_hi_u32 s11, s11, s43
	s_add_u32 s11, s11, s42
	s_addc_u32 s33, 0, s33
	s_mul_hi_u32 s44, s7, s43
	s_mul_i32 s43, s7, s43
	s_add_u32 s11, s11, s43
	s_mul_hi_u32 s42, s7, s29
	s_addc_u32 s11, s33, s44
	s_addc_u32 s33, s42, 0
	s_mul_i32 s29, s7, s29
	s_add_u32 s11, s11, s29
	s_addc_u32 s29, 0, s33
	v_add_co_u32_e32 v1, vcc, s11, v1
	s_cmp_lg_u64 vcc, 0
	s_addc_u32 s7, s7, s29
	v_readfirstlane_b32 s29, v1
	s_mul_i32 s11, s5, s7
	s_mul_hi_u32 s33, s5, s29
	s_add_i32 s11, s33, s11
	s_mul_i32 s6, s6, s29
	s_add_i32 s11, s11, s6
	s_mul_i32 s5, s5, s29
	s_mul_hi_u32 s33, s7, s5
	s_mul_i32 s42, s7, s5
	s_mul_i32 s44, s29, s11
	s_mul_hi_u32 s5, s29, s5
	s_mul_hi_u32 s43, s29, s11
	s_add_u32 s5, s5, s44
	s_addc_u32 s29, 0, s43
	s_add_u32 s5, s5, s42
	s_mul_hi_u32 s6, s7, s11
	s_addc_u32 s5, s29, s33
	s_addc_u32 s6, s6, 0
	s_mul_i32 s11, s7, s11
	s_add_u32 s5, s5, s11
	s_addc_u32 s6, 0, s6
	v_add_co_u32_e32 v1, vcc, s5, v1
	s_cmp_lg_u64 vcc, 0
	s_addc_u32 s5, s7, s6
	s_ashr_i32 s42, s37, 31
	s_add_u32 s6, s36, s42
	s_mov_b32 s43, s42
	s_addc_u32 s7, s37, s42
	s_xor_b64 s[44:45], s[6:7], s[42:43]
	v_readfirstlane_b32 s11, v1
	s_mul_i32 s7, s44, s5
	s_mul_hi_u32 s29, s44, s11
	s_mul_hi_u32 s6, s44, s5
	s_add_u32 s7, s29, s7
	s_addc_u32 s6, 0, s6
	s_mul_hi_u32 s33, s45, s11
	s_mul_i32 s11, s45, s11
	s_add_u32 s7, s7, s11
	s_mul_hi_u32 s29, s45, s5
	s_addc_u32 s6, s6, s33
	s_addc_u32 s7, s29, 0
	s_mul_i32 s5, s45, s5
	s_add_u32 s5, s6, s5
	s_addc_u32 s11, 0, s7
	s_mul_i32 s6, s40, s11
	s_mul_hi_u32 s7, s40, s5
	s_add_i32 s6, s7, s6
	s_mul_i32 s7, s41, s5
	s_add_i32 s29, s6, s7
	s_mul_i32 s7, s40, s5
	v_mov_b32_e32 v1, s7
	s_sub_i32 s6, s45, s29
	v_sub_co_u32_e32 v1, vcc, s44, v1
	s_cmp_lg_u64 vcc, 0
	s_subb_u32 s33, s6, s41
	v_subrev_co_u32_e64 v3, s[6:7], s40, v1
	s_cmp_lg_u64 s[6:7], 0
	s_subb_u32 s6, s33, 0
	s_cmp_ge_u32 s6, s41
	v_readfirstlane_b32 s33, v3
	s_cselect_b32 s7, -1, 0
	s_cmp_ge_u32 s33, s40
	s_cselect_b32 s33, -1, 0
	s_cmp_eq_u32 s6, s41
	s_cselect_b32 s6, s33, s7
	s_add_u32 s7, s5, 1
	s_addc_u32 s33, s11, 0
	s_add_u32 s44, s5, 2
	s_addc_u32 s46, s11, 0
	s_cmp_lg_u32 s6, 0
	s_cselect_b32 s6, s44, s7
	s_cselect_b32 s7, s46, s33
	s_cmp_lg_u64 vcc, 0
	s_subb_u32 s29, s45, s29
	s_cmp_ge_u32 s29, s41
	v_readfirstlane_b32 s44, v1
	s_cselect_b32 s33, -1, 0
	s_cmp_ge_u32 s44, s40
	s_cselect_b32 s40, -1, 0
	s_cmp_eq_u32 s29, s41
	s_cselect_b32 s29, s40, s33
	s_cmp_lg_u32 s29, 0
	s_cselect_b32 s7, s7, s11
	s_cselect_b32 s6, s6, s5
	s_xor_b64 s[12:13], s[42:43], s[12:13]
	s_xor_b64 s[6:7], s[6:7], s[12:13]
	s_sub_u32 s12, s6, s12
	s_subb_u32 s13, s7, s13
	s_cbranch_execnz .LBB70_7
.LBB70_6:
	v_cvt_f32_u32_e32 v1, s38
	s_sub_i32 s5, 0, s38
	s_mov_b32 s13, 0
	v_rcp_iflag_f32_e32 v1, v1
	s_nop 0
	v_mul_f32_e32 v1, 0x4f7ffffe, v1
	v_cvt_u32_f32_e32 v1, v1
	s_nop 0
	v_readfirstlane_b32 s6, v1
	s_mul_i32 s5, s5, s6
	s_mul_hi_u32 s5, s6, s5
	s_add_i32 s6, s6, s5
	s_mul_hi_u32 s5, s36, s6
	s_mul_i32 s7, s5, s38
	s_sub_i32 s7, s36, s7
	s_add_i32 s6, s5, 1
	s_sub_i32 s11, s7, s38
	s_cmp_ge_u32 s7, s38
	s_cselect_b32 s5, s6, s5
	s_cselect_b32 s7, s11, s7
	s_add_i32 s6, s5, 1
	s_cmp_ge_u32 s7, s38
	s_cselect_b32 s12, s6, s5
.LBB70_7:
	s_mul_i32 s5, s12, s39
	s_mul_hi_u32 s6, s12, s38
	s_load_dwordx2 s[14:15], s[2:3], 0x78
	s_add_i32 s5, s6, s5
	s_mul_i32 s6, s13, s38
	s_add_i32 s5, s5, s6
	s_mul_i32 s6, s12, s38
	s_sub_u32 s33, s36, s6
	s_subb_u32 s5, s37, s5
	v_cmp_gt_i32_e32 vcc, s28, v2
	s_mul_hi_u32 s40, s12, s8
	s_mul_i32 s41, s13, s8
	s_mul_i32 s42, s12, s8
	s_mul_hi_u32 s13, s33, s9
	s_mul_i32 s5, s5, s9
	s_mul_i32 s11, s33, s9
	s_and_saveexec_b64 s[36:37], vcc
	s_cbranch_execz .LBB70_10
; %bb.8:
	s_load_dwordx2 s[0:1], s[0:1], 0x4
	v_bfe_u32 v1, v0, 10, 10
	s_mul_i32 s6, s4, s17
	s_ashr_i32 s29, s28, 31
	s_load_dword s7, s[2:3], 0x8c
	s_waitcnt lgkmcnt(0)
	s_lshr_b32 s0, s0, 16
	s_mul_i32 s0, s0, s1
	v_mul_lo_u32 v3, s0, v2
	s_mul_hi_u32 s0, s4, s16
	v_mad_u32_u24 v1, v1, s1, v3
	s_add_i32 s1, s0, s6
	s_mul_i32 s0, s4, s16
	s_lshl_b64 s[0:1], s[0:1], 1
	s_add_u32 s16, s20, s0
	s_addc_u32 s17, s21, s1
	s_ashr_i32 s6, s8, 31
	s_mul_i32 s6, s12, s6
	s_add_i32 s6, s40, s6
	s_add_i32 s45, s6, s41
	s_ashr_i32 s6, s9, 31
	s_mul_i32 s6, s33, s6
	s_add_i32 s6, s13, s6
	s_and_b32 s38, s7, 0xffff
	s_add_i32 s46, s6, s5
	s_ashr_i32 s47, s10, 31
	s_lshl_b32 s44, s38, 1
	s_lshl_b64 s[6:7], s[28:29], 1
	s_add_u32 s34, s34, s6
	s_addc_u32 s35, s35, s7
	s_add_u32 s30, s30, s34
	s_addc_u32 s31, s31, s35
	s_add_u32 s0, s0, s6
	s_addc_u32 s1, s1, s7
	s_add_u32 s20, s20, s0
	s_addc_u32 s21, s21, s1
	s_add_u32 s0, s42, s11
	s_addc_u32 s1, s45, s46
	s_load_dword s43, s[14:15], 0x0
	s_add_u32 s0, s0, s10
	s_addc_u32 s1, s1, s47
	v_bfe_u32 v0, v0, 20, 10
	s_add_u32 s0, s24, s0
	v_add_lshl_u32 v10, v1, v0, 1
	v_mov_b32_e32 v3, 0
	s_addc_u32 s1, s25, s1
	v_add_u32_e32 v11, 0x800, v10
	s_mov_b32 s39, 0
	v_lshlrev_b32_e32 v0, 1, v2
	v_mov_b32_e32 v1, v3
	v_lshl_add_u64 v[4:5], s[0:1], 0, v[2:3]
	s_mov_b64 s[34:35], 0
	s_movk_i32 s45, 0x7fff
	v_mov_b32_e32 v3, 0x7fc00000
	v_mov_b32_e32 v12, 0x7fc0
	s_mov_b32 s46, 0x7f800000
	s_mov_b32 s47, 0x43700000
	v_mov_b32_e32 v13, 0xc3700000
	v_mov_b32_e32 v14, v2
.LBB70_9:                               ; =>This Inner Loop Header: Depth=1
	v_lshl_add_u64 v[6:7], s[20:21], 0, v[0:1]
	v_lshl_add_u64 v[16:17], s[26:27], 0, v[0:1]
	;; [unrolled: 1-line block ×4, first 2 shown]
	global_load_ushort v15, v[6:7], off
	global_load_ushort v20, v[18:19], off
	;; [unrolled: 1-line block ×4, first 2 shown]
	s_add_u32 s26, s26, s44
	s_addc_u32 s27, s27, 0
	s_add_u32 s30, s30, s44
	s_addc_u32 s31, s31, 0
	;; [unrolled: 2-line block ×3, first 2 shown]
	v_add_u32_e32 v14, s38, v14
	s_add_u32 s16, s16, s44
	v_cmp_le_i32_e32 vcc, s28, v14
	s_addc_u32 s17, s17, 0
	s_or_b64 s[34:35], vcc, s[34:35]
	v_mov_b32_e32 v24, 0
	v_mov_b32_e32 v25, 0
	v_lshl_add_u64 v[16:17], v[4:5], 0, s[28:29]
	s_waitcnt vmcnt(3)
	v_lshlrev_b32_e32 v19, 16, v15
	s_waitcnt vmcnt(2)
	v_lshlrev_b32_e32 v20, 16, v20
	;; [unrolled: 2-line block ×4, first 2 shown]
	v_mov_b32_e32 v22, v21
	v_mov_b32_e32 v23, v20
	v_pk_mul_f32 v[20:21], v[20:21], v[18:19]
	v_pk_mul_f32 v[18:19], v[22:23], v[18:19]
	v_bfe_u32 v15, v20, 16, 1
	v_bfe_u32 v22, v21, 16, 1
	;; [unrolled: 1-line block ×4, first 2 shown]
	v_add3_u32 v22, v21, v22, s45
	v_add3_u32 v15, v20, v15, s45
	;; [unrolled: 1-line block ×4, first 2 shown]
	v_and_b32_e32 v15, 0xffff0000, v15
	v_and_b32_e32 v22, 0xffff0000, v22
	v_cmp_o_f32_e32 vcc, v20, v20
	v_cmp_o_f32_e64 s[0:1], v21, v21
	v_and_b32_e32 v20, 0xffff0000, v23
	v_and_b32_e32 v21, 0xffff0000, v26
	v_cmp_o_f32_e64 s[6:7], v18, v18
	v_cndmask_b32_e64 v18, v3, v22, s[0:1]
	v_cndmask_b32_e32 v15, v3, v15, vcc
	v_cmp_o_f32_e32 vcc, v19, v19
	v_cndmask_b32_e64 v20, v3, v20, s[6:7]
	v_add_f32_e32 v15, v15, v18
	v_cndmask_b32_e32 v19, v3, v21, vcc
	v_sub_f32_e32 v18, v20, v19
	v_bfe_u32 v19, v15, 16, 1
	v_bfe_u32 v20, v18, 16, 1
	v_add3_u32 v19, v15, v19, s45
	v_add3_u32 v20, v18, v20, s45
	v_lshrrev_b32_e32 v19, 16, v19
	v_cmp_o_f32_e32 vcc, v15, v15
	v_lshrrev_b32_e32 v15, 16, v20
	s_nop 0
	v_cndmask_b32_e32 v19, v12, v19, vcc
	v_cmp_o_f32_e32 vcc, v18, v18
	ds_write_b16 v10, v19
	ds_read_b32 v18, v10
	v_cndmask_b32_e32 v15, v12, v15, vcc
	ds_write_b16 v11, v15
	global_store_short v[8:9], v15, off
	ds_read_b32 v8, v11
	s_waitcnt lgkmcnt(0)
	v_div_scale_f32 v9, s[0:1], s43, s43, v18
	v_rcp_f32_e32 v22, v9
	v_div_scale_f32 v15, s[0:1], v18, s43, v18
	v_div_scale_f32 v20, s[6:7], s43, s43, v8
	v_rcp_f32_e32 v23, v20
	v_fma_f32 v26, -v9, v22, 1.0
	v_div_scale_f32 v21, vcc, v8, s43, v8
	v_fma_f32 v27, -v20, v23, 1.0
	v_fmac_f32_e32 v22, v26, v22
	v_fmac_f32_e32 v23, v27, v23
	v_mul_f32_e32 v26, v15, v22
	v_mul_f32_e32 v27, v21, v23
	v_fma_f32 v28, -v9, v26, v15
	v_fma_f32 v29, -v20, v27, v21
	v_fmac_f32_e32 v26, v28, v22
	v_fmac_f32_e32 v27, v29, v23
	v_fma_f32 v9, -v9, v26, v15
	v_fma_f32 v15, -v20, v27, v21
	v_div_fmas_f32 v15, v15, v23, v27
	s_mov_b64 vcc, s[0:1]
	v_div_fixup_f32 v8, v15, s43, v8
	v_div_fmas_f32 v9, v9, v22, v26
	v_med3_f32 v15, v8, s47, v13
	v_div_fixup_f32 v9, v9, s43, v18
	v_cmp_nlg_f32_e64 vcc, |v8|, s46
	s_nop 1
	v_cndmask_b32_e32 v8, v15, v8, vcc
	v_med3_f32 v15, v9, s47, v13
	v_cmp_nlg_f32_e64 vcc, |v9|, s46
	v_cvt_pk_fp8_f32 v24, v8, v8
	global_store_short v[6:7], v19, off
	global_store_byte v[4:5], v24, off
	v_cndmask_b32_e32 v8, v15, v9, vcc
	v_cvt_pk_fp8_f32 v25, v8, v8
	v_lshl_add_u64 v[4:5], v[4:5], 0, s[38:39]
	global_store_byte v[16:17], v25, off
	s_andn2_b64 exec, exec, s[34:35]
	s_cbranch_execnz .LBB70_9
.LBB70_10:
	s_or_b64 exec, exec, s[36:37]
	v_cmp_gt_i32_e32 vcc, s10, v2
	s_and_saveexec_b64 s[0:1], vcc
	s_cbranch_execz .LBB70_13
; %bb.11:
	s_mul_i32 s0, s4, s19
	s_mul_hi_u32 s1, s4, s18
	s_add_i32 s1, s1, s0
	s_mul_i32 s0, s4, s18
	s_lshl_b64 s[0:1], s[0:1], 1
	s_add_u32 s0, s22, s0
	s_addc_u32 s1, s23, s1
	s_ashr_i32 s4, s8, 31
	s_mul_i32 s4, s12, s4
	s_add_i32 s4, s40, s4
	s_add_i32 s4, s4, s41
	s_add_u32 s6, s24, s42
	s_addc_u32 s4, s25, s4
	s_ashr_i32 s7, s9, 31
	s_mul_i32 s33, s33, s7
	s_add_i32 s7, s13, s33
	s_load_dword s8, s[2:3], 0x8c
	s_add_i32 s7, s7, s5
	s_add_u32 s2, s6, s11
	s_waitcnt lgkmcnt(0)
	s_load_dword s6, s[14:15], 0x0
	s_addc_u32 s3, s4, s7
	s_and_b32 s7, s8, 0xffff
	s_mov_b64 s[4:5], 0
	s_mov_b32 s8, 0x7f800000
	s_mov_b32 s9, 0x43700000
	v_mov_b32_e32 v0, 0xc3700000
.LBB70_12:                              ; =>This Inner Loop Header: Depth=1
	v_ashrrev_i32_e32 v3, 31, v2
	v_lshl_add_u64 v[4:5], v[2:3], 1, s[0:1]
	global_load_dword v1, v[4:5], off
	v_mov_b32_e32 v6, 0
	s_waitcnt vmcnt(0) lgkmcnt(0)
	v_div_scale_f32 v4, s[12:13], s6, s6, v1
	v_rcp_f32_e32 v5, v4
	v_div_scale_f32 v7, vcc, v1, s6, v1
	v_fma_f32 v8, -v4, v5, 1.0
	v_fmac_f32_e32 v5, v8, v5
	v_mul_f32_e32 v8, v7, v5
	v_fma_f32 v9, -v4, v8, v7
	v_fmac_f32_e32 v8, v9, v5
	v_fma_f32 v4, -v4, v8, v7
	v_div_fmas_f32 v4, v4, v5, v8
	v_div_fixup_f32 v1, v4, s6, v1
	v_med3_f32 v4, v1, s9, v0
	v_cmp_nlg_f32_e64 vcc, |v1|, s8
	s_nop 1
	v_cndmask_b32_e32 v1, v4, v1, vcc
	v_cvt_pk_fp8_f32 v6, v1, v1
	v_lshl_add_u64 v[4:5], s[2:3], 0, v[2:3]
	v_add_u32_e32 v2, s7, v2
	v_cmp_le_i32_e32 vcc, s10, v2
	s_or_b64 s[4:5], vcc, s[4:5]
	global_store_byte v[4:5], v6, off
	s_andn2_b64 exec, exec, s[4:5]
	s_cbranch_execnz .LBB70_12
.LBB70_13:
	s_endpgm
.LBB70_14:
                                        ; implicit-def: $sgpr12_sgpr13
	s_branch .LBB70_6
	.section	.rodata,"a",@progbits
	.p2align	6, 0x0
	.amdhsa_kernel _ZN4vllm38concat_and_cache_mla_rope_fused_kernelIN3c108BFloat16ES2_Lb1EfhLNS_18Fp8KVCacheDataTypeE1EEEvPKlPT_S7_PKS6_PKT0_illlliPT3_S5_iiiiPKf
		.amdhsa_group_segment_fixed_size 4096
		.amdhsa_private_segment_fixed_size 0
		.amdhsa_kernarg_size 384
		.amdhsa_user_sgpr_count 4
		.amdhsa_user_sgpr_dispatch_ptr 1
		.amdhsa_user_sgpr_queue_ptr 0
		.amdhsa_user_sgpr_kernarg_segment_ptr 1
		.amdhsa_user_sgpr_dispatch_id 0
		.amdhsa_user_sgpr_kernarg_preload_length 0
		.amdhsa_user_sgpr_kernarg_preload_offset 0
		.amdhsa_user_sgpr_private_segment_size 0
		.amdhsa_uses_dynamic_stack 0
		.amdhsa_enable_private_segment 0
		.amdhsa_system_sgpr_workgroup_id_x 1
		.amdhsa_system_sgpr_workgroup_id_y 0
		.amdhsa_system_sgpr_workgroup_id_z 0
		.amdhsa_system_sgpr_workgroup_info 0
		.amdhsa_system_vgpr_workitem_id 2
		.amdhsa_next_free_vgpr 30
		.amdhsa_next_free_sgpr 48
		.amdhsa_accum_offset 32
		.amdhsa_reserve_vcc 1
		.amdhsa_float_round_mode_32 0
		.amdhsa_float_round_mode_16_64 0
		.amdhsa_float_denorm_mode_32 3
		.amdhsa_float_denorm_mode_16_64 3
		.amdhsa_dx10_clamp 1
		.amdhsa_ieee_mode 1
		.amdhsa_fp16_overflow 0
		.amdhsa_tg_split 0
		.amdhsa_exception_fp_ieee_invalid_op 0
		.amdhsa_exception_fp_denorm_src 0
		.amdhsa_exception_fp_ieee_div_zero 0
		.amdhsa_exception_fp_ieee_overflow 0
		.amdhsa_exception_fp_ieee_underflow 0
		.amdhsa_exception_fp_ieee_inexact 0
		.amdhsa_exception_int_div_zero 0
	.end_amdhsa_kernel
	.section	.text._ZN4vllm38concat_and_cache_mla_rope_fused_kernelIN3c108BFloat16ES2_Lb1EfhLNS_18Fp8KVCacheDataTypeE1EEEvPKlPT_S7_PKS6_PKT0_illlliPT3_S5_iiiiPKf,"axG",@progbits,_ZN4vllm38concat_and_cache_mla_rope_fused_kernelIN3c108BFloat16ES2_Lb1EfhLNS_18Fp8KVCacheDataTypeE1EEEvPKlPT_S7_PKS6_PKT0_illlliPT3_S5_iiiiPKf,comdat
.Lfunc_end70:
	.size	_ZN4vllm38concat_and_cache_mla_rope_fused_kernelIN3c108BFloat16ES2_Lb1EfhLNS_18Fp8KVCacheDataTypeE1EEEvPKlPT_S7_PKS6_PKT0_illlliPT3_S5_iiiiPKf, .Lfunc_end70-_ZN4vllm38concat_and_cache_mla_rope_fused_kernelIN3c108BFloat16ES2_Lb1EfhLNS_18Fp8KVCacheDataTypeE1EEEvPKlPT_S7_PKS6_PKT0_illlliPT3_S5_iiiiPKf
                                        ; -- End function
	.section	.AMDGPU.csdata,"",@progbits
; Kernel info:
; codeLenInByte = 2952
; NumSgprs: 54
; NumVgprs: 30
; NumAgprs: 0
; TotalNumVgprs: 30
; ScratchSize: 0
; MemoryBound: 0
; FloatMode: 240
; IeeeMode: 1
; LDSByteSize: 4096 bytes/workgroup (compile time only)
; SGPRBlocks: 6
; VGPRBlocks: 3
; NumSGPRsForWavesPerEU: 54
; NumVGPRsForWavesPerEU: 30
; AccumOffset: 32
; Occupancy: 8
; WaveLimiterHint : 1
; COMPUTE_PGM_RSRC2:SCRATCH_EN: 0
; COMPUTE_PGM_RSRC2:USER_SGPR: 4
; COMPUTE_PGM_RSRC2:TRAP_HANDLER: 0
; COMPUTE_PGM_RSRC2:TGID_X_EN: 1
; COMPUTE_PGM_RSRC2:TGID_Y_EN: 0
; COMPUTE_PGM_RSRC2:TGID_Z_EN: 0
; COMPUTE_PGM_RSRC2:TIDIG_COMP_CNT: 2
; COMPUTE_PGM_RSRC3_GFX90A:ACCUM_OFFSET: 7
; COMPUTE_PGM_RSRC3_GFX90A:TG_SPLIT: 0
	.section	.text._ZN4vllm38concat_and_cache_mla_rope_fused_kernelIN3c108BFloat16ES2_Lb0EfhLNS_18Fp8KVCacheDataTypeE1EEEvPKlPT_S7_PKS6_PKT0_illlliPT3_S5_iiiiPKf,"axG",@progbits,_ZN4vllm38concat_and_cache_mla_rope_fused_kernelIN3c108BFloat16ES2_Lb0EfhLNS_18Fp8KVCacheDataTypeE1EEEvPKlPT_S7_PKS6_PKT0_illlliPT3_S5_iiiiPKf,comdat
	.protected	_ZN4vllm38concat_and_cache_mla_rope_fused_kernelIN3c108BFloat16ES2_Lb0EfhLNS_18Fp8KVCacheDataTypeE1EEEvPKlPT_S7_PKS6_PKT0_illlliPT3_S5_iiiiPKf ; -- Begin function _ZN4vllm38concat_and_cache_mla_rope_fused_kernelIN3c108BFloat16ES2_Lb0EfhLNS_18Fp8KVCacheDataTypeE1EEEvPKlPT_S7_PKS6_PKT0_illlliPT3_S5_iiiiPKf
	.globl	_ZN4vllm38concat_and_cache_mla_rope_fused_kernelIN3c108BFloat16ES2_Lb0EfhLNS_18Fp8KVCacheDataTypeE1EEEvPKlPT_S7_PKS6_PKT0_illlliPT3_S5_iiiiPKf
	.p2align	8
	.type	_ZN4vllm38concat_and_cache_mla_rope_fused_kernelIN3c108BFloat16ES2_Lb0EfhLNS_18Fp8KVCacheDataTypeE1EEEvPKlPT_S7_PKS6_PKT0_illlliPT3_S5_iiiiPKf,@function
_ZN4vllm38concat_and_cache_mla_rope_fused_kernelIN3c108BFloat16ES2_Lb0EfhLNS_18Fp8KVCacheDataTypeE1EEEvPKlPT_S7_PKS6_PKT0_illlliPT3_S5_iiiiPKf: ; @_ZN4vllm38concat_and_cache_mla_rope_fused_kernelIN3c108BFloat16ES2_Lb0EfhLNS_18Fp8KVCacheDataTypeE1EEEvPKlPT_S7_PKS6_PKT0_illlliPT3_S5_iiiiPKf
; %bb.0:
	s_load_dwordx2 s[8:9], s[2:3], 0x60
	s_mov_b32 s5, 0
	s_lshl_b64 s[6:7], s[4:5], 3
	s_waitcnt lgkmcnt(0)
	s_add_u32 s8, s8, s6
	s_addc_u32 s9, s9, s7
	s_load_dwordx2 s[28:29], s[8:9], 0x0
	s_waitcnt lgkmcnt(0)
	v_cmp_lt_i64_e64 s[8:9], s[28:29], 0
	s_and_b64 vcc, exec, s[8:9]
	s_cbranch_vccnz .LBB71_13
; %bb.1:
	s_load_dword s5, s[2:3], 0x28
	s_load_dwordx2 s[8:9], s[2:3], 0x0
	s_load_dwordx2 s[24:25], s[2:3], 0x20
	s_load_dwordx4 s[16:19], s[2:3], 0x10
	v_and_b32_e32 v2, 0x3ff, v0
	s_waitcnt lgkmcnt(0)
	s_ashr_i32 s26, s5, 31
	s_add_u32 s6, s8, s6
	s_addc_u32 s7, s9, s7
	s_load_dwordx2 s[22:23], s[6:7], 0x0
	s_load_dwordx8 s[8:15], s[2:3], 0x30
	s_load_dwordx2 s[20:21], s[2:3], 0x58
	s_load_dword s30, s[2:3], 0x50
	v_lshlrev_b32_e32 v4, 1, v2
	s_waitcnt lgkmcnt(0)
	s_mul_i32 s6, s22, s26
	s_mul_hi_u32 s7, s22, s5
	s_add_i32 s6, s7, s6
	s_mul_i32 s7, s23, s5
	s_add_i32 s27, s6, s7
	s_lshr_b32 s6, s5, 31
	s_mul_i32 s26, s22, s5
	s_add_i32 s5, s5, s6
	s_ashr_i32 s22, s5, 1
	s_mul_i32 s5, s22, s30
	v_cmp_gt_i32_e32 vcc, s5, v2
	s_and_saveexec_b64 s[30:31], vcc
	s_cbranch_execz .LBB71_4
; %bb.2:
	s_lshl_b64 s[6:7], s[26:27], 1
	s_add_u32 s34, s24, s6
	s_addc_u32 s35, s25, s7
	s_load_dwordx2 s[6:7], s[2:3], 0x8
	s_load_dword s36, s[2:3], 0x8c
	s_mul_i32 s9, s4, s9
	s_mul_hi_u32 s33, s4, s8
	s_add_i32 s9, s33, s9
	s_mul_i32 s8, s4, s8
	s_ashr_i32 s23, s22, 31
	s_lshl_b64 s[8:9], s[8:9], 1
	s_waitcnt lgkmcnt(0)
	s_add_u32 s8, s6, s8
	s_addc_u32 s9, s7, s9
	s_abs_i32 s33, s22
	v_cvt_f32_u32_e32 v1, s33
	s_sub_i32 s6, 0, s33
	s_and_b32 s38, s36, 0xffff
	s_sub_i32 s39, 0, s22
	v_rcp_iflag_f32_e32 v1, v1
	s_lshl_b32 s41, s38, 1
	s_mov_b64 s[36:37], 0
	s_movk_i32 s42, 0x7fff
	v_mul_f32_e32 v1, 0x4f7ffffe, v1
	v_cvt_u32_f32_e32 v1, v1
	v_mov_b32_e32 v5, 0x7fc0
	s_mov_b32 s43, 0x5040100
	v_mov_b32_e32 v6, v4
	v_mul_lo_u32 v3, s6, v1
	v_mul_hi_u32 v3, v1, v3
	s_lshl_b32 s6, s22, 1
	v_add_u32_e32 v1, v1, v3
	s_sub_i32 s40, 0, s6
	v_mov_b32_e32 v3, 0x7fc00000
	v_mov_b32_e32 v8, v2
.LBB71_3:                               ; =>This Inner Loop Header: Depth=1
	v_sub_u32_e32 v9, 0, v8
	v_max_i32_e32 v9, v8, v9
	v_mul_hi_u32 v10, v9, v1
	v_mul_lo_u32 v11, v10, s33
	v_sub_u32_e32 v9, v9, v11
	v_add_u32_e32 v12, 1, v10
	v_cmp_le_u32_e32 vcc, s33, v9
	v_subrev_u32_e32 v11, s33, v9
	v_ashrrev_i32_e32 v7, 31, v8
	v_cndmask_b32_e32 v10, v10, v12, vcc
	v_cndmask_b32_e32 v9, v9, v11, vcc
	v_add_u32_e32 v11, 1, v10
	v_cmp_le_u32_e32 vcc, s33, v9
	v_xor_b32_e32 v7, s23, v7
	s_nop 0
	v_cndmask_b32_e32 v9, v10, v11, vcc
	v_xor_b32_e32 v9, v9, v7
	v_sub_u32_e32 v7, v9, v7
	v_mad_u64_u32 v[10:11], s[6:7], s39, v7, v[8:9]
	v_ashrrev_i32_e32 v9, 31, v7
	v_mul_lo_u32 v16, v7, s11
	v_mad_u64_u32 v[12:13], s[6:7], v7, s10, 0
	v_mad_u64_u32 v[14:15], s[6:7], s40, v7, v[6:7]
	v_mul_lo_u32 v7, v9, s10
	v_ashrrev_i32_e32 v11, 31, v10
	v_add3_u32 v13, v13, v16, v7
	v_ashrrev_i32_e32 v15, 31, v14
	v_lshl_add_u64 v[10:11], v[10:11], 1, s[34:35]
	v_lshl_add_u64 v[12:13], v[12:13], 1, s[8:9]
	;; [unrolled: 1-line block ×3, first 2 shown]
	global_load_ushort v7, v[10:11], off
	global_load_ushort v9, v[16:17], off
	v_lshl_add_u64 v[10:11], v[14:15], 1, v[12:13]
	global_load_dword v12, v[10:11], off
	v_add_u32_e32 v8, s38, v8
	v_cmp_le_i32_e32 vcc, s5, v8
	s_or_b64 s[36:37], vcc, s[36:37]
	v_add_u32_e32 v6, s41, v6
	s_waitcnt vmcnt(2)
	v_lshlrev_b32_e32 v13, 16, v7
	s_waitcnt vmcnt(1)
	v_lshlrev_b32_e32 v15, 16, v9
	v_mov_b32_e32 v16, v13
	s_waitcnt vmcnt(0)
	v_and_b32_e32 v18, 0xffff0000, v12
	v_lshlrev_b32_e32 v14, 16, v12
	v_mov_b32_e32 v12, v15
	v_pk_mul_f32 v[12:13], v[12:13], v[18:19] op_sel_hi:[1,0]
	v_mov_b32_e32 v17, v14
	v_bfe_u32 v7, v12, 16, 1
	v_bfe_u32 v9, v13, 16, 1
	v_pk_mul_f32 v[14:15], v[16:17], v[14:15]
	v_add3_u32 v9, v13, v9, s42
	v_add3_u32 v7, v12, v7, s42
	v_bfe_u32 v16, v14, 16, 1
	v_bfe_u32 v17, v15, 16, 1
	v_and_b32_e32 v7, 0xffff0000, v7
	v_and_b32_e32 v9, 0xffff0000, v9
	v_add3_u32 v17, v15, v17, s42
	v_add3_u32 v16, v14, v16, s42
	v_cmp_o_f32_e32 vcc, v12, v12
	v_cmp_o_f32_e64 s[6:7], v13, v13
	v_and_b32_e32 v16, 0xffff0000, v16
	v_and_b32_e32 v17, 0xffff0000, v17
	v_cndmask_b32_e64 v13, v3, v9, s[6:7]
	v_cndmask_b32_e32 v12, v3, v7, vcc
	v_cmp_o_f32_e32 vcc, v14, v14
	v_cmp_o_f32_e64 s[6:7], v15, v15
	s_nop 0
	v_cndmask_b32_e32 v14, v3, v16, vcc
	v_cndmask_b32_e64 v15, v3, v17, s[6:7]
	v_pk_add_f32 v[16:17], v[14:15], v[12:13] neg_lo:[0,1] neg_hi:[0,1]
	v_pk_add_f32 v[12:13], v[14:15], v[12:13]
	v_bfe_u32 v7, v16, 16, 1
	v_bfe_u32 v9, v13, 16, 1
	v_add3_u32 v9, v13, v9, s42
	v_add3_u32 v7, v16, v7, s42
	v_lshrrev_b32_e32 v7, 16, v7
	v_lshrrev_b32_e32 v9, 16, v9
	v_cmp_o_f32_e32 vcc, v13, v13
	v_cmp_o_f32_e64 s[6:7], v16, v16
	s_nop 0
	v_cndmask_b32_e32 v9, v5, v9, vcc
	v_cndmask_b32_e64 v7, v5, v7, s[6:7]
	v_perm_b32 v7, v9, v7, s43
	global_store_dword v[10:11], v7, off
	s_andn2_b64 exec, exec, s[36:37]
	s_cbranch_execnz .LBB71_3
.LBB71_4:
	s_or_b64 exec, exec, s[30:31]
	s_load_dwordx4 s[8:11], s[2:3], 0x68
	s_waitcnt lgkmcnt(0)
	s_ashr_i32 s37, s11, 31
	s_mov_b32 s36, s11
	s_or_b64 s[6:7], s[28:29], s[36:37]
	s_mov_b32 s6, 0
	s_cmp_lg_u64 s[6:7], 0
	s_cbranch_scc0 .LBB71_14
; %bb.5:
	s_add_u32 s6, s36, s37
	s_mov_b32 s30, s37
	s_mov_b32 s31, s37
	s_addc_u32 s7, s37, s37
	s_xor_b64 s[38:39], s[6:7], s[30:31]
	v_cvt_f32_u32_e32 v1, s38
	v_cvt_f32_u32_e32 v3, s39
	s_sub_u32 s5, 0, s38
	s_subb_u32 s6, 0, s39
	v_fmamk_f32 v1, v3, 0x4f800000, v1
	v_rcp_f32_e32 v1, v1
	s_nop 0
	v_mul_f32_e32 v1, 0x5f7ffffc, v1
	v_mul_f32_e32 v3, 0x2f800000, v1
	v_trunc_f32_e32 v3, v3
	v_fmamk_f32 v1, v3, 0xcf800000, v1
	v_cvt_u32_f32_e32 v3, v3
	v_cvt_u32_f32_e32 v1, v1
	v_readfirstlane_b32 s7, v3
	v_readfirstlane_b32 s11, v1
	s_mul_i32 s23, s5, s7
	s_mul_hi_u32 s40, s5, s11
	s_mul_i32 s33, s6, s11
	s_add_i32 s23, s40, s23
	s_add_i32 s23, s23, s33
	s_mul_i32 s41, s5, s11
	s_mul_hi_u32 s33, s11, s23
	s_mul_i32 s40, s11, s23
	s_mul_hi_u32 s11, s11, s41
	s_add_u32 s11, s11, s40
	s_addc_u32 s33, 0, s33
	s_mul_hi_u32 s42, s7, s41
	s_mul_i32 s41, s7, s41
	s_add_u32 s11, s11, s41
	s_mul_hi_u32 s40, s7, s23
	s_addc_u32 s11, s33, s42
	s_addc_u32 s33, s40, 0
	s_mul_i32 s23, s7, s23
	s_add_u32 s11, s11, s23
	s_addc_u32 s23, 0, s33
	v_add_co_u32_e32 v1, vcc, s11, v1
	s_cmp_lg_u64 vcc, 0
	s_addc_u32 s7, s7, s23
	v_readfirstlane_b32 s23, v1
	s_mul_i32 s11, s5, s7
	s_mul_hi_u32 s33, s5, s23
	s_add_i32 s11, s33, s11
	s_mul_i32 s6, s6, s23
	s_add_i32 s11, s11, s6
	s_mul_i32 s5, s5, s23
	s_mul_hi_u32 s33, s7, s5
	s_mul_i32 s40, s7, s5
	s_mul_i32 s42, s23, s11
	s_mul_hi_u32 s5, s23, s5
	s_mul_hi_u32 s41, s23, s11
	s_add_u32 s5, s5, s42
	s_addc_u32 s23, 0, s41
	s_add_u32 s5, s5, s40
	s_mul_hi_u32 s6, s7, s11
	s_addc_u32 s5, s23, s33
	s_addc_u32 s6, s6, 0
	s_mul_i32 s11, s7, s11
	s_add_u32 s5, s5, s11
	s_addc_u32 s6, 0, s6
	v_add_co_u32_e32 v1, vcc, s5, v1
	s_cmp_lg_u64 vcc, 0
	s_addc_u32 s5, s7, s6
	s_ashr_i32 s40, s29, 31
	s_add_u32 s6, s28, s40
	s_mov_b32 s41, s40
	s_addc_u32 s7, s29, s40
	s_xor_b64 s[42:43], s[6:7], s[40:41]
	v_readfirstlane_b32 s11, v1
	s_mul_i32 s7, s42, s5
	s_mul_hi_u32 s23, s42, s11
	s_mul_hi_u32 s6, s42, s5
	s_add_u32 s7, s23, s7
	s_addc_u32 s6, 0, s6
	s_mul_hi_u32 s33, s43, s11
	s_mul_i32 s11, s43, s11
	s_add_u32 s7, s7, s11
	s_mul_hi_u32 s23, s43, s5
	s_addc_u32 s6, s6, s33
	s_addc_u32 s7, s23, 0
	s_mul_i32 s5, s43, s5
	s_add_u32 s5, s6, s5
	s_addc_u32 s11, 0, s7
	s_mul_i32 s6, s38, s11
	s_mul_hi_u32 s7, s38, s5
	s_add_i32 s6, s7, s6
	s_mul_i32 s7, s39, s5
	s_add_i32 s23, s6, s7
	s_mul_i32 s7, s38, s5
	v_mov_b32_e32 v1, s7
	s_sub_i32 s6, s43, s23
	v_sub_co_u32_e32 v1, vcc, s42, v1
	s_cmp_lg_u64 vcc, 0
	s_subb_u32 s33, s6, s39
	v_subrev_co_u32_e64 v3, s[6:7], s38, v1
	s_cmp_lg_u64 s[6:7], 0
	s_subb_u32 s6, s33, 0
	s_cmp_ge_u32 s6, s39
	v_readfirstlane_b32 s33, v3
	s_cselect_b32 s7, -1, 0
	s_cmp_ge_u32 s33, s38
	s_cselect_b32 s33, -1, 0
	s_cmp_eq_u32 s6, s39
	s_cselect_b32 s6, s33, s7
	s_add_u32 s7, s5, 1
	s_addc_u32 s33, s11, 0
	s_add_u32 s42, s5, 2
	s_addc_u32 s44, s11, 0
	s_cmp_lg_u32 s6, 0
	s_cselect_b32 s6, s42, s7
	s_cselect_b32 s7, s44, s33
	s_cmp_lg_u64 vcc, 0
	s_subb_u32 s23, s43, s23
	s_cmp_ge_u32 s23, s39
	v_readfirstlane_b32 s42, v1
	s_cselect_b32 s33, -1, 0
	s_cmp_ge_u32 s42, s38
	s_cselect_b32 s38, -1, 0
	s_cmp_eq_u32 s23, s39
	s_cselect_b32 s23, s38, s33
	s_cmp_lg_u32 s23, 0
	s_cselect_b32 s7, s7, s11
	s_cselect_b32 s6, s6, s5
	s_xor_b64 s[30:31], s[40:41], s[30:31]
	s_xor_b64 s[6:7], s[6:7], s[30:31]
	s_sub_u32 s30, s6, s30
	s_subb_u32 s31, s7, s31
	s_cbranch_execnz .LBB71_7
.LBB71_6:
	v_cvt_f32_u32_e32 v1, s36
	s_sub_i32 s5, 0, s36
	s_mov_b32 s31, 0
	v_rcp_iflag_f32_e32 v1, v1
	s_nop 0
	v_mul_f32_e32 v1, 0x4f7ffffe, v1
	v_cvt_u32_f32_e32 v1, v1
	s_nop 0
	v_readfirstlane_b32 s6, v1
	s_mul_i32 s5, s5, s6
	s_mul_hi_u32 s5, s6, s5
	s_add_i32 s6, s6, s5
	s_mul_hi_u32 s5, s28, s6
	s_mul_i32 s7, s5, s36
	s_sub_i32 s7, s28, s7
	s_add_i32 s6, s5, 1
	s_sub_i32 s11, s7, s36
	s_cmp_ge_u32 s7, s36
	s_cselect_b32 s5, s6, s5
	s_cselect_b32 s7, s11, s7
	s_add_i32 s6, s5, 1
	s_cmp_ge_u32 s7, s36
	s_cselect_b32 s30, s6, s5
.LBB71_7:
	s_mul_i32 s5, s30, s37
	s_mul_hi_u32 s6, s30, s36
	s_load_dwordx2 s[34:35], s[2:3], 0x78
	s_add_i32 s5, s6, s5
	s_mul_i32 s6, s31, s36
	s_add_i32 s5, s5, s6
	s_mul_i32 s6, s30, s36
	s_sub_u32 s33, s28, s6
	s_subb_u32 s5, s29, s5
	v_cmp_gt_i32_e32 vcc, s22, v2
	s_mul_hi_u32 s36, s30, s8
	s_mul_i32 s37, s31, s8
	s_mul_i32 s38, s30, s8
	s_mul_hi_u32 s31, s33, s9
	s_mul_i32 s5, s5, s9
	s_mul_i32 s11, s33, s9
	s_and_saveexec_b64 s[28:29], vcc
	s_cbranch_execz .LBB71_10
; %bb.8:
	s_load_dwordx2 s[0:1], s[0:1], 0x4
	v_bfe_u32 v1, v0, 10, 10
	s_ashr_i32 s6, s8, 31
	s_ashr_i32 s23, s22, 31
	;; [unrolled: 1-line block ×3, first 2 shown]
	s_waitcnt lgkmcnt(0)
	s_lshr_b32 s0, s0, 16
	s_mul_i32 s0, s0, s1
	v_mul_lo_u32 v3, s0, v2
	v_mad_u32_u24 v1, v1, s1, v3
	s_mul_i32 s0, s30, s6
	s_load_dword s1, s[2:3], 0x8c
	s_add_i32 s0, s36, s0
	s_add_i32 s6, s0, s37
	s_ashr_i32 s0, s9, 31
	s_mul_i32 s0, s33, s0
	s_add_i32 s0, s31, s0
	s_add_i32 s7, s0, s5
	s_waitcnt lgkmcnt(0)
	s_and_b32 s40, s1, 0xffff
	s_lshl_b64 s[0:1], s[26:27], 1
	s_add_u32 s0, s24, s0
	v_bfe_u32 v0, v0, 20, 10
	v_mov_b32_e32 v5, 0
	s_addc_u32 s1, s25, s1
	v_add_lshl_u32 v3, v1, v0, 1
	v_lshl_add_u64 v[0:1], s[0:1], 0, v[4:5]
	s_mul_i32 s0, s13, s4
	s_mul_hi_u32 s1, s12, s4
	s_add_i32 s1, s1, s0
	s_mul_i32 s0, s12, s4
	s_lshl_b32 s26, s40, 1
	s_lshl_b64 s[24:25], s[22:23], 1
	s_lshl_b64 s[0:1], s[0:1], 1
	s_add_u32 s0, s16, s0
	v_lshlrev_b32_e32 v6, 2, v2
	v_mov_b32_e32 v7, v5
	s_addc_u32 s1, s17, s1
	s_lshl_b32 s12, s40, 2
	v_lshl_add_u64 v[6:7], s[0:1], 0, v[6:7]
	s_add_u32 s0, s38, s11
	s_addc_u32 s1, s6, s7
	s_add_u32 s6, s20, s10
	s_load_dword s39, s[34:35], 0x0
	s_addc_u32 s7, s21, s41
	s_add_u32 s0, s6, s0
	s_addc_u32 s1, s7, s1
	s_mov_b32 s27, 0
	v_lshl_add_u64 v[4:5], s[0:1], 0, v[4:5]
	v_add_u32_e32 v8, 0x800, v3
	v_lshl_add_u64 v[6:7], v[6:7], 0, 2
	s_mov_b32 s13, s27
	v_lshl_add_u64 v[4:5], v[4:5], 0, 1
	s_mov_b64 s[16:17], 0
	s_movk_i32 s23, 0x7fff
	v_mov_b32_e32 v9, 0x7fc00000
	v_mov_b32_e32 v10, 0x7fc0
	s_mov_b32 s41, 0x5040100
	s_mov_b32 s42, 0x7f800000
	;; [unrolled: 1-line block ×3, first 2 shown]
	v_mov_b32_e32 v11, 0xc3700000
	v_mov_b32_e32 v12, v2
.LBB71_9:                               ; =>This Inner Loop Header: Depth=1
	global_load_ushort v13, v[0:1], off
	global_load_dword v17, v[6:7], off offset:-2
	v_lshl_add_u64 v[14:15], v[0:1], 0, s[24:25]
	global_load_ushort v14, v[14:15], off
	v_add_u32_e32 v12, s40, v12
	v_cmp_le_i32_e32 vcc, s22, v12
	s_or_b64 s[16:17], vcc, s[16:17]
	v_mov_b32_e32 v23, 0
	v_mov_b32_e32 v22, 0
	v_lshl_add_u64 v[0:1], v[0:1], 0, s[26:27]
	s_waitcnt vmcnt(2)
	v_lshlrev_b32_e32 v15, 16, v13
	s_waitcnt vmcnt(1)
	v_lshlrev_b32_e32 v18, 16, v17
	v_mov_b32_e32 v20, v15
	s_waitcnt vmcnt(0)
	v_lshlrev_b32_e32 v19, 16, v14
	v_mov_b32_e32 v21, v18
	v_and_b32_e32 v16, 0xffff0000, v17
	v_mov_b32_e32 v14, v19
	v_pk_mul_f32 v[18:19], v[20:21], v[18:19]
	v_pk_mul_f32 v[14:15], v[14:15], v[16:17] op_sel_hi:[1,0]
	v_bfe_u32 v13, v18, 16, 1
	v_bfe_u32 v16, v19, 16, 1
	;; [unrolled: 1-line block ×4, first 2 shown]
	v_add3_u32 v16, v19, v16, s23
	v_add3_u32 v13, v18, v13, s23
	;; [unrolled: 1-line block ×4, first 2 shown]
	v_and_b32_e32 v13, 0xffff0000, v13
	v_and_b32_e32 v16, 0xffff0000, v16
	v_cmp_o_f32_e32 vcc, v18, v18
	v_cmp_o_f32_e64 s[0:1], v19, v19
	v_and_b32_e32 v18, 0xffff0000, v17
	v_and_b32_e32 v19, 0xffff0000, v20
	v_cmp_o_f32_e64 s[6:7], v14, v14
	v_cndmask_b32_e64 v17, v9, v16, s[0:1]
	v_cndmask_b32_e32 v16, v9, v13, vcc
	v_cmp_o_f32_e32 vcc, v15, v15
	v_cndmask_b32_e64 v14, v9, v18, s[6:7]
	s_nop 0
	v_cndmask_b32_e32 v15, v9, v19, vcc
	v_pk_add_f32 v[18:19], v[16:17], v[14:15] neg_lo:[0,1] neg_hi:[0,1]
	v_pk_add_f32 v[14:15], v[16:17], v[14:15]
	v_bfe_u32 v13, v18, 16, 1
	v_bfe_u32 v14, v15, 16, 1
	v_add3_u32 v13, v18, v13, s23
	v_add3_u32 v14, v15, v14, s23
	v_lshrrev_b32_e32 v13, 16, v13
	v_cmp_o_f32_e64 s[0:1], v18, v18
	v_lshrrev_b32_e32 v14, 16, v14
	v_cmp_o_f32_e32 vcc, v15, v15
	v_cndmask_b32_e64 v13, v10, v13, s[0:1]
	s_nop 0
	v_cndmask_b32_e32 v14, v10, v14, vcc
	ds_write_b16 v8, v13
	ds_write_b16 v3, v14
	v_perm_b32 v15, v14, v13, s41
	ds_read_b32 v13, v8
	ds_read_b32 v14, v3
	global_store_dword v[6:7], v15, off offset:-2
	v_lshl_add_u64 v[6:7], v[6:7], 0, s[12:13]
	s_waitcnt lgkmcnt(0)
	v_div_scale_f32 v15, s[0:1], s39, s39, v13
	v_div_scale_f32 v17, s[0:1], s39, s39, v14
	v_rcp_f32_e32 v19, v15
	v_rcp_f32_e32 v20, v17
	v_div_scale_f32 v16, vcc, v13, s39, v13
	v_fma_f32 v21, -v15, v19, 1.0
	v_fma_f32 v24, -v17, v20, 1.0
	v_fmac_f32_e32 v19, v21, v19
	v_div_scale_f32 v18, s[0:1], v14, s39, v14
	v_fmac_f32_e32 v20, v24, v20
	v_mul_f32_e32 v21, v16, v19
	v_mul_f32_e32 v24, v18, v20
	v_fma_f32 v25, -v15, v21, v16
	v_fma_f32 v26, -v17, v24, v18
	v_fmac_f32_e32 v21, v25, v19
	v_fmac_f32_e32 v24, v26, v20
	v_fma_f32 v15, -v15, v21, v16
	v_fma_f32 v16, -v17, v24, v18
	v_div_fmas_f32 v15, v15, v19, v21
	s_mov_b64 vcc, s[0:1]
	v_div_fixup_f32 v13, v15, s39, v13
	v_div_fmas_f32 v15, v16, v20, v24
	v_med3_f32 v16, v13, s43, v11
	v_div_fixup_f32 v14, v15, s39, v14
	v_cmp_nlg_f32_e64 vcc, |v13|, s42
	v_med3_f32 v15, v14, s43, v11
	s_nop 0
	v_cndmask_b32_e32 v13, v16, v13, vcc
	v_cmp_nlg_f32_e64 vcc, |v14|, s42
	v_cvt_pk_fp8_f32 v22, v13, v13
	s_nop 0
	v_cndmask_b32_e32 v14, v15, v14, vcc
	v_cvt_pk_fp8_f32 v23, v14, v14
	v_lshlrev_b16_e32 v13, 8, v23
	v_or_b32_sdwa v13, v22, v13 dst_sel:DWORD dst_unused:UNUSED_PAD src0_sel:BYTE_0 src1_sel:DWORD
	global_store_short v[4:5], v13, off offset:-1
	v_lshl_add_u64 v[4:5], v[4:5], 0, s[26:27]
	s_andn2_b64 exec, exec, s[16:17]
	s_cbranch_execnz .LBB71_9
.LBB71_10:
	s_or_b64 exec, exec, s[28:29]
	v_cmp_gt_i32_e32 vcc, s10, v2
	s_and_saveexec_b64 s[0:1], vcc
	s_cbranch_execz .LBB71_13
; %bb.11:
	s_mul_i32 s0, s4, s15
	s_mul_hi_u32 s1, s4, s14
	s_add_i32 s1, s1, s0
	s_mul_i32 s0, s4, s14
	s_lshl_b64 s[0:1], s[0:1], 1
	s_add_u32 s0, s18, s0
	s_addc_u32 s1, s19, s1
	s_ashr_i32 s4, s8, 31
	s_mul_i32 s4, s30, s4
	s_add_i32 s4, s36, s4
	s_add_i32 s4, s4, s37
	s_add_u32 s6, s20, s38
	s_addc_u32 s4, s21, s4
	s_ashr_i32 s7, s9, 31
	s_mul_i32 s33, s33, s7
	s_add_i32 s7, s31, s33
	s_load_dword s8, s[2:3], 0x8c
	s_add_i32 s7, s7, s5
	s_add_u32 s2, s6, s11
	s_waitcnt lgkmcnt(0)
	s_load_dword s6, s[34:35], 0x0
	s_addc_u32 s3, s4, s7
	s_and_b32 s7, s8, 0xffff
	s_mov_b64 s[4:5], 0
	s_mov_b32 s8, 0x7f800000
	s_mov_b32 s9, 0x43700000
	v_mov_b32_e32 v0, 0xc3700000
.LBB71_12:                              ; =>This Inner Loop Header: Depth=1
	v_ashrrev_i32_e32 v3, 31, v2
	v_lshl_add_u64 v[4:5], v[2:3], 1, s[0:1]
	global_load_dword v1, v[4:5], off
	v_mov_b32_e32 v6, 0
	s_waitcnt vmcnt(0) lgkmcnt(0)
	v_div_scale_f32 v4, s[12:13], s6, s6, v1
	v_rcp_f32_e32 v5, v4
	v_div_scale_f32 v7, vcc, v1, s6, v1
	v_fma_f32 v8, -v4, v5, 1.0
	v_fmac_f32_e32 v5, v8, v5
	v_mul_f32_e32 v8, v7, v5
	v_fma_f32 v9, -v4, v8, v7
	v_fmac_f32_e32 v8, v9, v5
	v_fma_f32 v4, -v4, v8, v7
	v_div_fmas_f32 v4, v4, v5, v8
	v_div_fixup_f32 v1, v4, s6, v1
	v_med3_f32 v4, v1, s9, v0
	v_cmp_nlg_f32_e64 vcc, |v1|, s8
	s_nop 1
	v_cndmask_b32_e32 v1, v4, v1, vcc
	v_cvt_pk_fp8_f32 v6, v1, v1
	v_lshl_add_u64 v[4:5], s[2:3], 0, v[2:3]
	v_add_u32_e32 v2, s7, v2
	v_cmp_le_i32_e32 vcc, s10, v2
	s_or_b64 s[4:5], vcc, s[4:5]
	global_store_byte v[4:5], v6, off
	s_andn2_b64 exec, exec, s[4:5]
	s_cbranch_execnz .LBB71_12
.LBB71_13:
	s_endpgm
.LBB71_14:
                                        ; implicit-def: $sgpr30_sgpr31
	s_branch .LBB71_6
	.section	.rodata,"a",@progbits
	.p2align	6, 0x0
	.amdhsa_kernel _ZN4vllm38concat_and_cache_mla_rope_fused_kernelIN3c108BFloat16ES2_Lb0EfhLNS_18Fp8KVCacheDataTypeE1EEEvPKlPT_S7_PKS6_PKT0_illlliPT3_S5_iiiiPKf
		.amdhsa_group_segment_fixed_size 4096
		.amdhsa_private_segment_fixed_size 0
		.amdhsa_kernarg_size 384
		.amdhsa_user_sgpr_count 4
		.amdhsa_user_sgpr_dispatch_ptr 1
		.amdhsa_user_sgpr_queue_ptr 0
		.amdhsa_user_sgpr_kernarg_segment_ptr 1
		.amdhsa_user_sgpr_dispatch_id 0
		.amdhsa_user_sgpr_kernarg_preload_length 0
		.amdhsa_user_sgpr_kernarg_preload_offset 0
		.amdhsa_user_sgpr_private_segment_size 0
		.amdhsa_uses_dynamic_stack 0
		.amdhsa_enable_private_segment 0
		.amdhsa_system_sgpr_workgroup_id_x 1
		.amdhsa_system_sgpr_workgroup_id_y 0
		.amdhsa_system_sgpr_workgroup_id_z 0
		.amdhsa_system_sgpr_workgroup_info 0
		.amdhsa_system_vgpr_workitem_id 2
		.amdhsa_next_free_vgpr 27
		.amdhsa_next_free_sgpr 45
		.amdhsa_accum_offset 28
		.amdhsa_reserve_vcc 1
		.amdhsa_float_round_mode_32 0
		.amdhsa_float_round_mode_16_64 0
		.amdhsa_float_denorm_mode_32 3
		.amdhsa_float_denorm_mode_16_64 3
		.amdhsa_dx10_clamp 1
		.amdhsa_ieee_mode 1
		.amdhsa_fp16_overflow 0
		.amdhsa_tg_split 0
		.amdhsa_exception_fp_ieee_invalid_op 0
		.amdhsa_exception_fp_denorm_src 0
		.amdhsa_exception_fp_ieee_div_zero 0
		.amdhsa_exception_fp_ieee_overflow 0
		.amdhsa_exception_fp_ieee_underflow 0
		.amdhsa_exception_fp_ieee_inexact 0
		.amdhsa_exception_int_div_zero 0
	.end_amdhsa_kernel
	.section	.text._ZN4vllm38concat_and_cache_mla_rope_fused_kernelIN3c108BFloat16ES2_Lb0EfhLNS_18Fp8KVCacheDataTypeE1EEEvPKlPT_S7_PKS6_PKT0_illlliPT3_S5_iiiiPKf,"axG",@progbits,_ZN4vllm38concat_and_cache_mla_rope_fused_kernelIN3c108BFloat16ES2_Lb0EfhLNS_18Fp8KVCacheDataTypeE1EEEvPKlPT_S7_PKS6_PKT0_illlliPT3_S5_iiiiPKf,comdat
.Lfunc_end71:
	.size	_ZN4vllm38concat_and_cache_mla_rope_fused_kernelIN3c108BFloat16ES2_Lb0EfhLNS_18Fp8KVCacheDataTypeE1EEEvPKlPT_S7_PKS6_PKT0_illlliPT3_S5_iiiiPKf, .Lfunc_end71-_ZN4vllm38concat_and_cache_mla_rope_fused_kernelIN3c108BFloat16ES2_Lb0EfhLNS_18Fp8KVCacheDataTypeE1EEEvPKlPT_S7_PKS6_PKT0_illlliPT3_S5_iiiiPKf
                                        ; -- End function
	.section	.AMDGPU.csdata,"",@progbits
; Kernel info:
; codeLenInByte = 2984
; NumSgprs: 51
; NumVgprs: 27
; NumAgprs: 0
; TotalNumVgprs: 27
; ScratchSize: 0
; MemoryBound: 0
; FloatMode: 240
; IeeeMode: 1
; LDSByteSize: 4096 bytes/workgroup (compile time only)
; SGPRBlocks: 6
; VGPRBlocks: 3
; NumSGPRsForWavesPerEU: 51
; NumVGPRsForWavesPerEU: 27
; AccumOffset: 28
; Occupancy: 8
; WaveLimiterHint : 1
; COMPUTE_PGM_RSRC2:SCRATCH_EN: 0
; COMPUTE_PGM_RSRC2:USER_SGPR: 4
; COMPUTE_PGM_RSRC2:TRAP_HANDLER: 0
; COMPUTE_PGM_RSRC2:TGID_X_EN: 1
; COMPUTE_PGM_RSRC2:TGID_Y_EN: 0
; COMPUTE_PGM_RSRC2:TGID_Z_EN: 0
; COMPUTE_PGM_RSRC2:TIDIG_COMP_CNT: 2
; COMPUTE_PGM_RSRC3_GFX90A:ACCUM_OFFSET: 6
; COMPUTE_PGM_RSRC3_GFX90A:TG_SPLIT: 0
	.section	.text._ZN4vllm38concat_and_cache_mla_rope_fused_kernelIffLb1EthLNS_18Fp8KVCacheDataTypeE1EEEvPKlPT_S5_PKS4_PKT0_illlliPT3_S3_iiiiPKf,"axG",@progbits,_ZN4vllm38concat_and_cache_mla_rope_fused_kernelIffLb1EthLNS_18Fp8KVCacheDataTypeE1EEEvPKlPT_S5_PKS4_PKT0_illlliPT3_S3_iiiiPKf,comdat
	.protected	_ZN4vllm38concat_and_cache_mla_rope_fused_kernelIffLb1EthLNS_18Fp8KVCacheDataTypeE1EEEvPKlPT_S5_PKS4_PKT0_illlliPT3_S3_iiiiPKf ; -- Begin function _ZN4vllm38concat_and_cache_mla_rope_fused_kernelIffLb1EthLNS_18Fp8KVCacheDataTypeE1EEEvPKlPT_S5_PKS4_PKT0_illlliPT3_S3_iiiiPKf
	.globl	_ZN4vllm38concat_and_cache_mla_rope_fused_kernelIffLb1EthLNS_18Fp8KVCacheDataTypeE1EEEvPKlPT_S5_PKS4_PKT0_illlliPT3_S3_iiiiPKf
	.p2align	8
	.type	_ZN4vllm38concat_and_cache_mla_rope_fused_kernelIffLb1EthLNS_18Fp8KVCacheDataTypeE1EEEvPKlPT_S5_PKS4_PKT0_illlliPT3_S3_iiiiPKf,@function
_ZN4vllm38concat_and_cache_mla_rope_fused_kernelIffLb1EthLNS_18Fp8KVCacheDataTypeE1EEEvPKlPT_S5_PKS4_PKT0_illlliPT3_S3_iiiiPKf: ; @_ZN4vllm38concat_and_cache_mla_rope_fused_kernelIffLb1EthLNS_18Fp8KVCacheDataTypeE1EEEvPKlPT_S5_PKS4_PKT0_illlliPT3_S3_iiiiPKf
; %bb.0:
	s_load_dwordx2 s[6:7], s[0:1], 0x60
	s_mov_b32 s3, 0
	s_lshl_b64 s[4:5], s[2:3], 3
	s_waitcnt lgkmcnt(0)
	s_add_u32 s6, s6, s4
	s_addc_u32 s7, s7, s5
	s_load_dwordx2 s[30:31], s[6:7], 0x0
	s_waitcnt lgkmcnt(0)
	v_cmp_lt_i64_e64 s[6:7], s[30:31], 0
	s_and_b64 vcc, exec, s[6:7]
	s_cbranch_vccnz .LBB72_13
; %bb.1:
	s_load_dword s3, s[0:1], 0x28
	s_load_dwordx2 s[6:7], s[0:1], 0x0
	s_load_dwordx4 s[12:15], s[0:1], 0x10
	s_waitcnt lgkmcnt(0)
	s_ashr_i32 s22, s3, 31
	s_add_u32 s16, s6, s4
	s_addc_u32 s17, s7, s5
	s_load_dwordx2 s[18:19], s[16:17], 0x0
	s_load_dwordx2 s[26:27], s[0:1], 0x20
	s_load_dwordx8 s[4:11], s[0:1], 0x30
	s_load_dwordx2 s[20:21], s[0:1], 0x58
	s_load_dword s25, s[0:1], 0x50
	s_waitcnt lgkmcnt(0)
	s_mul_i32 s16, s18, s22
	s_mul_hi_u32 s17, s18, s3
	s_mul_i32 s19, s19, s3
	s_add_i32 s16, s17, s16
	s_add_i32 s17, s16, s19
	s_mul_i32 s16, s18, s3
	s_lshl_b64 s[28:29], s[16:17], 2
	s_add_u32 s22, s26, s28
	s_addc_u32 s23, s27, s29
	s_lshr_b32 s16, s3, 31
	s_add_i32 s3, s3, s16
	s_ashr_i32 s24, s3, 1
	s_mul_i32 s3, s24, s25
	v_cmp_gt_i32_e32 vcc, s3, v0
	s_and_saveexec_b64 s[16:17], vcc
	s_cbranch_execz .LBB72_4
; %bb.2:
	s_load_dwordx2 s[18:19], s[0:1], 0x8
	s_load_dword s34, s[0:1], 0x8c
	s_mul_i32 s5, s2, s5
	s_mul_hi_u32 s33, s2, s4
	s_add_i32 s5, s33, s5
	s_mul_i32 s4, s2, s4
	s_ashr_i32 s25, s24, 31
	s_lshl_b64 s[4:5], s[4:5], 2
	s_waitcnt lgkmcnt(0)
	s_add_u32 s4, s18, s4
	s_addc_u32 s5, s19, s5
	s_abs_i32 s33, s24
	v_cvt_f32_u32_e32 v1, s33
	s_sub_i32 s38, 0, s33
	s_mov_b64 s[18:19], 0
	s_and_b32 s36, s34, 0xffff
	v_rcp_iflag_f32_e32 v1, v1
	s_sub_i32 s37, 0, s24
	s_lshl_b64 s[34:35], s[24:25], 2
	v_mul_f32_e32 v1, 0x4f7ffffe, v1
	v_cvt_u32_f32_e32 v1, v1
	v_mul_lo_u32 v2, s38, v1
	v_mul_hi_u32 v2, v1, v2
	v_add_u32_e32 v1, v1, v2
	v_mov_b32_e32 v2, v0
.LBB72_3:                               ; =>This Inner Loop Header: Depth=1
	v_sub_u32_e32 v4, 0, v2
	v_max_i32_e32 v4, v2, v4
	v_mul_hi_u32 v5, v4, v1
	v_mul_lo_u32 v6, v5, s33
	v_sub_u32_e32 v4, v4, v6
	v_add_u32_e32 v7, 1, v5
	v_cmp_le_u32_e32 vcc, s33, v4
	v_subrev_u32_e32 v6, s33, v4
	v_ashrrev_i32_e32 v3, 31, v2
	v_cndmask_b32_e32 v5, v5, v7, vcc
	v_cndmask_b32_e32 v4, v4, v6, vcc
	v_add_u32_e32 v6, 1, v5
	v_cmp_le_u32_e32 vcc, s33, v4
	v_xor_b32_e32 v3, s25, v3
	s_nop 0
	v_cndmask_b32_e32 v4, v5, v6, vcc
	v_xor_b32_e32 v4, v4, v3
	v_sub_u32_e32 v3, v4, v3
	v_ashrrev_i32_e32 v8, 31, v3
	v_mad_u64_u32 v[4:5], s[38:39], s37, v3, v[2:3]
	v_mul_lo_u32 v9, v3, s7
	v_mad_u64_u32 v[6:7], s[38:39], v3, s6, 0
	v_mul_lo_u32 v3, v8, s6
	v_ashrrev_i32_e32 v5, 31, v4
	v_add3_u32 v7, v7, v9, v3
	v_lshlrev_b64 v[4:5], 2, v[4:5]
	v_lshl_add_u64 v[6:7], v[6:7], 2, s[4:5]
	v_lshl_add_u64 v[8:9], s[22:23], 0, v[4:5]
	;; [unrolled: 1-line block ×4, first 2 shown]
	global_load_dword v3, v[8:9], off
	global_load_dword v12, v[10:11], off
	v_lshl_add_u64 v[6:7], v[4:5], 0, s[34:35]
	global_load_dword v8, v[4:5], off
	global_load_dword v9, v[6:7], off
	v_add_u32_e32 v2, s36, v2
	v_cmp_le_i32_e32 vcc, s3, v2
	s_or_b64 s[18:19], vcc, s[18:19]
	s_waitcnt vmcnt(0)
	v_mul_f32_e32 v10, v12, v9
	v_mul_f32_e32 v9, v3, v9
	v_fma_f32 v3, v3, v8, -v10
	v_fmac_f32_e32 v9, v12, v8
	global_store_dword v[4:5], v3, off
	global_store_dword v[6:7], v9, off
	s_andn2_b64 exec, exec, s[18:19]
	s_cbranch_execnz .LBB72_3
.LBB72_4:
	s_or_b64 exec, exec, s[16:17]
	s_load_dwordx4 s[16:19], s[0:1], 0x68
	s_waitcnt lgkmcnt(0)
	s_ashr_i32 s37, s19, 31
	s_mov_b32 s36, s19
	s_or_b64 s[4:5], s[30:31], s[36:37]
	s_mov_b32 s4, 0
	s_cmp_lg_u64 s[4:5], 0
	s_cbranch_scc0 .LBB72_14
; %bb.5:
	s_add_u32 s4, s36, s37
	s_mov_b32 s6, s37
	s_mov_b32 s7, s37
	s_addc_u32 s5, s37, s37
	s_xor_b64 s[38:39], s[4:5], s[6:7]
	v_cvt_f32_u32_e32 v1, s38
	v_cvt_f32_u32_e32 v2, s39
	s_sub_u32 s3, 0, s38
	s_subb_u32 s4, 0, s39
	v_fmamk_f32 v1, v2, 0x4f800000, v1
	v_rcp_f32_e32 v1, v1
	s_nop 0
	v_mul_f32_e32 v1, 0x5f7ffffc, v1
	v_mul_f32_e32 v2, 0x2f800000, v1
	v_trunc_f32_e32 v2, v2
	v_fmamk_f32 v1, v2, 0xcf800000, v1
	v_cvt_u32_f32_e32 v2, v2
	v_cvt_u32_f32_e32 v1, v1
	v_readfirstlane_b32 s5, v2
	v_readfirstlane_b32 s19, v1
	s_mul_i32 s25, s3, s5
	s_mul_hi_u32 s40, s3, s19
	s_mul_i32 s33, s4, s19
	s_add_i32 s25, s40, s25
	s_add_i32 s25, s25, s33
	s_mul_i32 s41, s3, s19
	s_mul_hi_u32 s33, s19, s25
	s_mul_i32 s40, s19, s25
	s_mul_hi_u32 s19, s19, s41
	s_add_u32 s19, s19, s40
	s_addc_u32 s33, 0, s33
	s_mul_hi_u32 s42, s5, s41
	s_mul_i32 s41, s5, s41
	s_add_u32 s19, s19, s41
	s_mul_hi_u32 s40, s5, s25
	s_addc_u32 s19, s33, s42
	s_addc_u32 s33, s40, 0
	s_mul_i32 s25, s5, s25
	s_add_u32 s19, s19, s25
	s_addc_u32 s25, 0, s33
	v_add_co_u32_e32 v1, vcc, s19, v1
	s_cmp_lg_u64 vcc, 0
	s_addc_u32 s5, s5, s25
	v_readfirstlane_b32 s25, v1
	s_mul_i32 s19, s3, s5
	s_mul_hi_u32 s33, s3, s25
	s_add_i32 s19, s33, s19
	s_mul_i32 s4, s4, s25
	s_add_i32 s19, s19, s4
	s_mul_i32 s3, s3, s25
	s_mul_hi_u32 s33, s5, s3
	s_mul_i32 s40, s5, s3
	s_mul_i32 s42, s25, s19
	s_mul_hi_u32 s3, s25, s3
	s_mul_hi_u32 s41, s25, s19
	s_add_u32 s3, s3, s42
	s_addc_u32 s25, 0, s41
	s_add_u32 s3, s3, s40
	s_mul_hi_u32 s4, s5, s19
	s_addc_u32 s3, s25, s33
	s_addc_u32 s4, s4, 0
	s_mul_i32 s19, s5, s19
	s_add_u32 s3, s3, s19
	s_addc_u32 s4, 0, s4
	v_add_co_u32_e32 v1, vcc, s3, v1
	s_cmp_lg_u64 vcc, 0
	s_addc_u32 s3, s5, s4
	s_ashr_i32 s40, s31, 31
	s_add_u32 s4, s30, s40
	s_mov_b32 s41, s40
	s_addc_u32 s5, s31, s40
	s_xor_b64 s[42:43], s[4:5], s[40:41]
	v_readfirstlane_b32 s19, v1
	s_mul_i32 s5, s42, s3
	s_mul_hi_u32 s25, s42, s19
	s_mul_hi_u32 s4, s42, s3
	s_add_u32 s5, s25, s5
	s_addc_u32 s4, 0, s4
	s_mul_hi_u32 s33, s43, s19
	s_mul_i32 s19, s43, s19
	s_add_u32 s5, s5, s19
	s_mul_hi_u32 s25, s43, s3
	s_addc_u32 s4, s4, s33
	s_addc_u32 s5, s25, 0
	s_mul_i32 s3, s43, s3
	s_add_u32 s3, s4, s3
	s_addc_u32 s19, 0, s5
	s_mul_i32 s4, s38, s19
	s_mul_hi_u32 s5, s38, s3
	s_add_i32 s4, s5, s4
	s_mul_i32 s5, s39, s3
	s_add_i32 s25, s4, s5
	s_mul_i32 s5, s38, s3
	v_mov_b32_e32 v1, s5
	s_sub_i32 s4, s43, s25
	v_sub_co_u32_e32 v1, vcc, s42, v1
	s_cmp_lg_u64 vcc, 0
	s_subb_u32 s33, s4, s39
	v_subrev_co_u32_e64 v2, s[4:5], s38, v1
	s_cmp_lg_u64 s[4:5], 0
	s_subb_u32 s4, s33, 0
	s_cmp_ge_u32 s4, s39
	v_readfirstlane_b32 s33, v2
	s_cselect_b32 s5, -1, 0
	s_cmp_ge_u32 s33, s38
	s_cselect_b32 s33, -1, 0
	s_cmp_eq_u32 s4, s39
	s_cselect_b32 s4, s33, s5
	s_add_u32 s5, s3, 1
	s_addc_u32 s33, s19, 0
	s_add_u32 s42, s3, 2
	s_addc_u32 s44, s19, 0
	s_cmp_lg_u32 s4, 0
	s_cselect_b32 s4, s42, s5
	s_cselect_b32 s5, s44, s33
	s_cmp_lg_u64 vcc, 0
	s_subb_u32 s25, s43, s25
	s_cmp_ge_u32 s25, s39
	v_readfirstlane_b32 s42, v1
	s_cselect_b32 s33, -1, 0
	s_cmp_ge_u32 s42, s38
	s_cselect_b32 s38, -1, 0
	s_cmp_eq_u32 s25, s39
	s_cselect_b32 s25, s38, s33
	s_cmp_lg_u32 s25, 0
	s_cselect_b32 s5, s5, s19
	s_cselect_b32 s4, s4, s3
	s_xor_b64 s[6:7], s[40:41], s[6:7]
	s_xor_b64 s[4:5], s[4:5], s[6:7]
	s_sub_u32 s6, s4, s6
	s_subb_u32 s7, s5, s7
	s_cbranch_execnz .LBB72_7
.LBB72_6:
	v_cvt_f32_u32_e32 v1, s36
	s_sub_i32 s3, 0, s36
	s_mov_b32 s7, 0
	v_rcp_iflag_f32_e32 v1, v1
	s_nop 0
	v_mul_f32_e32 v1, 0x4f7ffffe, v1
	v_cvt_u32_f32_e32 v1, v1
	s_nop 0
	v_readfirstlane_b32 s4, v1
	s_mul_i32 s3, s3, s4
	s_mul_hi_u32 s3, s4, s3
	s_add_i32 s4, s4, s3
	s_mul_hi_u32 s3, s30, s4
	s_mul_i32 s5, s3, s36
	s_sub_i32 s5, s30, s5
	s_add_i32 s4, s3, 1
	s_sub_i32 s6, s5, s36
	s_cmp_ge_u32 s5, s36
	s_cselect_b32 s3, s4, s3
	s_cselect_b32 s5, s6, s5
	s_add_i32 s4, s3, 1
	s_cmp_ge_u32 s5, s36
	s_cselect_b32 s6, s4, s3
.LBB72_7:
	s_mul_i32 s3, s6, s37
	s_mul_hi_u32 s4, s6, s36
	s_load_dwordx2 s[34:35], s[0:1], 0x78
	s_add_i32 s3, s4, s3
	s_mul_i32 s4, s7, s36
	s_add_i32 s3, s3, s4
	s_mul_i32 s4, s6, s36
	s_sub_u32 s33, s30, s4
	s_subb_u32 s3, s31, s3
	v_cmp_gt_i32_e32 vcc, s24, v0
	s_mul_hi_u32 s39, s6, s16
	s_mul_i32 s40, s7, s16
	s_mul_i32 s41, s6, s16
	s_mul_hi_u32 s38, s33, s17
	s_mul_i32 s7, s3, s17
	s_mul_i32 s19, s33, s17
	s_and_saveexec_b64 s[30:31], vcc
	s_cbranch_execz .LBB72_10
; %bb.8:
	s_mul_i32 s3, s2, s9
	s_mul_hi_u32 s4, s2, s8
	s_add_i32 s5, s4, s3
	s_mul_i32 s4, s2, s8
	s_ashr_i32 s25, s24, 31
	s_lshl_b64 s[4:5], s[4:5], 2
	s_add_u32 s8, s12, s4
	s_addc_u32 s9, s13, s5
	s_ashr_i32 s3, s16, 31
	s_load_dword s36, s[0:1], 0x8c
	s_mul_i32 s3, s6, s3
	s_add_i32 s3, s39, s3
	s_add_i32 s43, s3, s40
	s_ashr_i32 s3, s17, 31
	s_mul_i32 s3, s33, s3
	s_add_i32 s3, s38, s3
	s_waitcnt lgkmcnt(0)
	s_and_b32 s36, s36, 0xffff
	s_add_i32 s46, s3, s7
	s_ashr_i32 s47, s18, 31
	s_lshl_b32 s42, s36, 2
	s_lshl_b64 s[44:45], s[24:25], 2
	s_add_u32 s28, s28, s44
	s_addc_u32 s29, s29, s45
	s_add_u32 s26, s26, s28
	s_addc_u32 s27, s27, s29
	;; [unrolled: 2-line block ×5, first 2 shown]
	s_load_dword s3, s[34:35], 0x0
	s_add_u32 s4, s4, s18
	s_addc_u32 s5, s5, s47
	s_add_u32 s4, s20, s4
	v_mov_b32_e32 v1, 0
	s_addc_u32 s5, s21, s5
	s_mov_b32 s37, 0
	v_lshlrev_b32_e32 v2, 2, v0
	v_mov_b32_e32 v3, v1
	v_lshl_add_u64 v[4:5], s[4:5], 0, v[0:1]
	s_mov_b64 s[28:29], 0
	s_mov_b32 s43, 0x7f800000
	s_mov_b32 s44, 0x43700000
	v_mov_b32_e32 v1, 0xc3700000
	v_mov_b32_e32 v8, v0
.LBB72_9:                               ; =>This Inner Loop Header: Depth=1
	v_lshl_add_u64 v[12:13], s[26:27], 0, v[2:3]
	v_lshl_add_u64 v[10:11], s[22:23], 0, v[2:3]
	;; [unrolled: 1-line block ×4, first 2 shown]
	global_load_dword v9, v[12:13], off
	global_load_dword v16, v[6:7], off
	;; [unrolled: 1-line block ×4, first 2 shown]
	s_add_u32 s22, s22, s42
	s_addc_u32 s23, s23, 0
	s_add_u32 s26, s26, s42
	s_addc_u32 s27, s27, 0
	;; [unrolled: 2-line block ×3, first 2 shown]
	v_add_u32_e32 v8, s36, v8
	s_add_u32 s8, s8, s42
	v_cmp_le_i32_e32 vcc, s24, v8
	s_addc_u32 s9, s9, 0
	s_or_b64 s[28:29], vcc, s[28:29]
	v_mov_b32_e32 v12, 0
	v_mov_b32_e32 v13, 0
	v_lshl_add_u64 v[10:11], v[4:5], 0, s[24:25]
	s_waitcnt vmcnt(2)
	v_mul_f32_e32 v19, v9, v16
	s_waitcnt vmcnt(1)
	v_mul_f32_e32 v16, v17, v16
	s_waitcnt vmcnt(0)
	v_fma_f32 v17, v17, v18, -v19
	v_fmac_f32_e32 v16, v9, v18
	v_cvt_f32_f16_e32 v9, v17
	global_store_dword v[14:15], v17, off
	v_cvt_f32_f16_e32 v14, v16
	s_waitcnt lgkmcnt(0)
	v_div_scale_f32 v15, s[4:5], s3, s3, v9
	v_div_scale_f32 v18, s[4:5], s3, s3, v14
	v_rcp_f32_e32 v20, v15
	v_rcp_f32_e32 v21, v18
	v_div_scale_f32 v17, vcc, v9, s3, v9
	v_fma_f32 v22, -v15, v20, 1.0
	v_fma_f32 v23, -v18, v21, 1.0
	v_fmac_f32_e32 v20, v22, v20
	v_div_scale_f32 v19, s[4:5], v14, s3, v14
	v_fmac_f32_e32 v21, v23, v21
	v_mul_f32_e32 v22, v17, v20
	v_mul_f32_e32 v23, v19, v21
	v_fma_f32 v24, -v15, v22, v17
	v_fma_f32 v25, -v18, v23, v19
	v_fmac_f32_e32 v22, v24, v20
	v_fmac_f32_e32 v23, v25, v21
	v_fma_f32 v15, -v15, v22, v17
	v_fma_f32 v17, -v18, v23, v19
	v_div_fmas_f32 v15, v15, v20, v22
	s_mov_b64 vcc, s[4:5]
	v_div_fixup_f32 v9, v15, s3, v9
	v_div_fmas_f32 v15, v17, v21, v23
	v_cvt_f16_f32_e32 v9, v9
	v_div_fixup_f32 v14, v15, s3, v14
	v_cvt_f16_f32_e32 v14, v14
	v_cvt_f32_f16_e32 v9, v9
	v_cvt_f32_f16_e32 v14, v14
	v_med3_f32 v15, v9, s44, v1
	v_cmp_nlg_f32_e64 vcc, |v9|, s43
	s_nop 1
	v_cndmask_b32_e32 v9, v15, v9, vcc
	v_med3_f32 v15, v14, s44, v1
	v_cmp_nlg_f32_e64 vcc, |v14|, s43
	v_cvt_pk_fp8_f32 v12, v9, v9
	global_store_dword v[6:7], v16, off
	global_store_byte v[4:5], v12, off
	v_cndmask_b32_e32 v9, v15, v14, vcc
	v_cvt_pk_fp8_f32 v13, v9, v9
	v_lshl_add_u64 v[4:5], v[4:5], 0, s[36:37]
	global_store_byte v[10:11], v13, off
	s_andn2_b64 exec, exec, s[28:29]
	s_cbranch_execnz .LBB72_9
.LBB72_10:
	s_or_b64 exec, exec, s[30:31]
	v_cmp_gt_i32_e32 vcc, s18, v0
	s_and_saveexec_b64 s[4:5], vcc
	s_cbranch_execz .LBB72_13
; %bb.11:
	s_mul_i32 s3, s2, s11
	s_mul_hi_u32 s4, s2, s10
	s_add_i32 s3, s4, s3
	s_mul_i32 s2, s2, s10
	s_lshl_b64 s[2:3], s[2:3], 2
	s_add_u32 s2, s14, s2
	s_addc_u32 s3, s15, s3
	s_ashr_i32 s4, s16, 31
	s_mul_i32 s4, s6, s4
	s_add_i32 s4, s39, s4
	s_add_i32 s4, s4, s40
	s_add_u32 s5, s20, s41
	s_addc_u32 s4, s21, s4
	s_ashr_i32 s6, s17, 31
	s_mul_i32 s33, s33, s6
	s_add_i32 s6, s38, s33
	s_add_i32 s6, s6, s7
	s_load_dword s8, s[0:1], 0x8c
	s_add_u32 s0, s5, s19
	s_addc_u32 s1, s4, s6
	s_waitcnt lgkmcnt(0)
	s_load_dword s6, s[34:35], 0x0
	s_mov_b64 s[4:5], 0
	s_and_b32 s7, s8, 0xffff
	s_mov_b32 s8, 0x7f800000
	s_mov_b32 s9, 0x43700000
	v_mov_b32_e32 v2, 0xc3700000
.LBB72_12:                              ; =>This Inner Loop Header: Depth=1
	v_ashrrev_i32_e32 v1, 31, v0
	v_lshl_add_u64 v[4:5], v[0:1], 2, s[2:3]
	global_load_ushort v3, v[4:5], off
	s_waitcnt vmcnt(0)
	v_cvt_f32_f16_e32 v3, v3
	s_waitcnt lgkmcnt(0)
	v_div_scale_f32 v4, s[10:11], s6, s6, v3
	v_rcp_f32_e32 v5, v4
	v_div_scale_f32 v6, vcc, v3, s6, v3
	v_fma_f32 v7, -v4, v5, 1.0
	v_fmac_f32_e32 v5, v7, v5
	v_mul_f32_e32 v7, v6, v5
	v_fma_f32 v8, -v4, v7, v6
	v_fmac_f32_e32 v7, v8, v5
	v_fma_f32 v4, -v4, v7, v6
	v_div_fmas_f32 v4, v4, v5, v7
	v_div_fixup_f32 v3, v4, s6, v3
	v_cvt_f16_f32_e32 v3, v3
	v_mov_b32_e32 v6, 0
	v_cvt_f32_f16_e32 v3, v3
	v_med3_f32 v4, v3, s9, v2
	v_cmp_nlg_f32_e64 vcc, |v3|, s8
	s_nop 1
	v_cndmask_b32_e32 v3, v4, v3, vcc
	v_cvt_pk_fp8_f32 v6, v3, v3
	v_lshl_add_u64 v[4:5], s[0:1], 0, v[0:1]
	v_add_u32_e32 v0, s7, v0
	v_cmp_le_i32_e32 vcc, s18, v0
	s_or_b64 s[4:5], vcc, s[4:5]
	global_store_byte v[4:5], v6, off
	s_andn2_b64 exec, exec, s[4:5]
	s_cbranch_execnz .LBB72_12
.LBB72_13:
	s_endpgm
.LBB72_14:
                                        ; implicit-def: $sgpr6_sgpr7
	s_branch .LBB72_6
	.section	.rodata,"a",@progbits
	.p2align	6, 0x0
	.amdhsa_kernel _ZN4vllm38concat_and_cache_mla_rope_fused_kernelIffLb1EthLNS_18Fp8KVCacheDataTypeE1EEEvPKlPT_S5_PKS4_PKT0_illlliPT3_S3_iiiiPKf
		.amdhsa_group_segment_fixed_size 0
		.amdhsa_private_segment_fixed_size 0
		.amdhsa_kernarg_size 384
		.amdhsa_user_sgpr_count 2
		.amdhsa_user_sgpr_dispatch_ptr 0
		.amdhsa_user_sgpr_queue_ptr 0
		.amdhsa_user_sgpr_kernarg_segment_ptr 1
		.amdhsa_user_sgpr_dispatch_id 0
		.amdhsa_user_sgpr_kernarg_preload_length 0
		.amdhsa_user_sgpr_kernarg_preload_offset 0
		.amdhsa_user_sgpr_private_segment_size 0
		.amdhsa_uses_dynamic_stack 0
		.amdhsa_enable_private_segment 0
		.amdhsa_system_sgpr_workgroup_id_x 1
		.amdhsa_system_sgpr_workgroup_id_y 0
		.amdhsa_system_sgpr_workgroup_id_z 0
		.amdhsa_system_sgpr_workgroup_info 0
		.amdhsa_system_vgpr_workitem_id 0
		.amdhsa_next_free_vgpr 26
		.amdhsa_next_free_sgpr 48
		.amdhsa_accum_offset 28
		.amdhsa_reserve_vcc 1
		.amdhsa_float_round_mode_32 0
		.amdhsa_float_round_mode_16_64 0
		.amdhsa_float_denorm_mode_32 3
		.amdhsa_float_denorm_mode_16_64 3
		.amdhsa_dx10_clamp 1
		.amdhsa_ieee_mode 1
		.amdhsa_fp16_overflow 0
		.amdhsa_tg_split 0
		.amdhsa_exception_fp_ieee_invalid_op 0
		.amdhsa_exception_fp_denorm_src 0
		.amdhsa_exception_fp_ieee_div_zero 0
		.amdhsa_exception_fp_ieee_overflow 0
		.amdhsa_exception_fp_ieee_underflow 0
		.amdhsa_exception_fp_ieee_inexact 0
		.amdhsa_exception_int_div_zero 0
	.end_amdhsa_kernel
	.section	.text._ZN4vllm38concat_and_cache_mla_rope_fused_kernelIffLb1EthLNS_18Fp8KVCacheDataTypeE1EEEvPKlPT_S5_PKS4_PKT0_illlliPT3_S3_iiiiPKf,"axG",@progbits,_ZN4vllm38concat_and_cache_mla_rope_fused_kernelIffLb1EthLNS_18Fp8KVCacheDataTypeE1EEEvPKlPT_S5_PKS4_PKT0_illlliPT3_S3_iiiiPKf,comdat
.Lfunc_end72:
	.size	_ZN4vllm38concat_and_cache_mla_rope_fused_kernelIffLb1EthLNS_18Fp8KVCacheDataTypeE1EEEvPKlPT_S5_PKS4_PKT0_illlliPT3_S3_iiiiPKf, .Lfunc_end72-_ZN4vllm38concat_and_cache_mla_rope_fused_kernelIffLb1EthLNS_18Fp8KVCacheDataTypeE1EEEvPKlPT_S5_PKS4_PKT0_illlliPT3_S3_iiiiPKf
                                        ; -- End function
	.section	.AMDGPU.csdata,"",@progbits
; Kernel info:
; codeLenInByte = 2352
; NumSgprs: 54
; NumVgprs: 26
; NumAgprs: 0
; TotalNumVgprs: 26
; ScratchSize: 0
; MemoryBound: 0
; FloatMode: 240
; IeeeMode: 1
; LDSByteSize: 0 bytes/workgroup (compile time only)
; SGPRBlocks: 6
; VGPRBlocks: 3
; NumSGPRsForWavesPerEU: 54
; NumVGPRsForWavesPerEU: 26
; AccumOffset: 28
; Occupancy: 8
; WaveLimiterHint : 1
; COMPUTE_PGM_RSRC2:SCRATCH_EN: 0
; COMPUTE_PGM_RSRC2:USER_SGPR: 2
; COMPUTE_PGM_RSRC2:TRAP_HANDLER: 0
; COMPUTE_PGM_RSRC2:TGID_X_EN: 1
; COMPUTE_PGM_RSRC2:TGID_Y_EN: 0
; COMPUTE_PGM_RSRC2:TGID_Z_EN: 0
; COMPUTE_PGM_RSRC2:TIDIG_COMP_CNT: 0
; COMPUTE_PGM_RSRC3_GFX90A:ACCUM_OFFSET: 6
; COMPUTE_PGM_RSRC3_GFX90A:TG_SPLIT: 0
	.section	.text._ZN4vllm38concat_and_cache_mla_rope_fused_kernelIffLb0EthLNS_18Fp8KVCacheDataTypeE1EEEvPKlPT_S5_PKS4_PKT0_illlliPT3_S3_iiiiPKf,"axG",@progbits,_ZN4vllm38concat_and_cache_mla_rope_fused_kernelIffLb0EthLNS_18Fp8KVCacheDataTypeE1EEEvPKlPT_S5_PKS4_PKT0_illlliPT3_S3_iiiiPKf,comdat
	.protected	_ZN4vllm38concat_and_cache_mla_rope_fused_kernelIffLb0EthLNS_18Fp8KVCacheDataTypeE1EEEvPKlPT_S5_PKS4_PKT0_illlliPT3_S3_iiiiPKf ; -- Begin function _ZN4vllm38concat_and_cache_mla_rope_fused_kernelIffLb0EthLNS_18Fp8KVCacheDataTypeE1EEEvPKlPT_S5_PKS4_PKT0_illlliPT3_S3_iiiiPKf
	.globl	_ZN4vllm38concat_and_cache_mla_rope_fused_kernelIffLb0EthLNS_18Fp8KVCacheDataTypeE1EEEvPKlPT_S5_PKS4_PKT0_illlliPT3_S3_iiiiPKf
	.p2align	8
	.type	_ZN4vllm38concat_and_cache_mla_rope_fused_kernelIffLb0EthLNS_18Fp8KVCacheDataTypeE1EEEvPKlPT_S5_PKS4_PKT0_illlliPT3_S3_iiiiPKf,@function
_ZN4vllm38concat_and_cache_mla_rope_fused_kernelIffLb0EthLNS_18Fp8KVCacheDataTypeE1EEEvPKlPT_S5_PKS4_PKT0_illlliPT3_S3_iiiiPKf: ; @_ZN4vllm38concat_and_cache_mla_rope_fused_kernelIffLb0EthLNS_18Fp8KVCacheDataTypeE1EEEvPKlPT_S5_PKS4_PKT0_illlliPT3_S3_iiiiPKf
; %bb.0:
	s_load_dwordx2 s[6:7], s[0:1], 0x60
	s_mov_b32 s3, 0
	s_lshl_b64 s[4:5], s[2:3], 3
	s_waitcnt lgkmcnt(0)
	s_add_u32 s6, s6, s4
	s_addc_u32 s7, s7, s5
	s_load_dwordx2 s[26:27], s[6:7], 0x0
	s_waitcnt lgkmcnt(0)
	v_cmp_lt_i64_e64 s[6:7], s[26:27], 0
	s_and_b64 vcc, exec, s[6:7]
	s_cbranch_vccnz .LBB73_13
; %bb.1:
	s_load_dword s3, s[0:1], 0x28
	s_load_dwordx2 s[6:7], s[0:1], 0x0
	s_load_dwordx4 s[12:15], s[0:1], 0x10
	v_lshlrev_b32_e32 v2, 1, v0
	s_waitcnt lgkmcnt(0)
	s_ashr_i32 s22, s3, 31
	s_add_u32 s16, s6, s4
	s_addc_u32 s17, s7, s5
	s_load_dwordx2 s[18:19], s[16:17], 0x0
	s_load_dwordx2 s[24:25], s[0:1], 0x20
	s_load_dwordx8 s[4:11], s[0:1], 0x30
	s_load_dwordx2 s[20:21], s[0:1], 0x58
	s_load_dword s23, s[0:1], 0x50
	s_waitcnt lgkmcnt(0)
	s_mul_i32 s16, s18, s22
	s_mul_hi_u32 s17, s18, s3
	s_mul_i32 s19, s19, s3
	s_add_i32 s16, s17, s16
	s_add_i32 s29, s16, s19
	s_lshr_b32 s16, s3, 31
	s_mul_i32 s28, s18, s3
	s_add_i32 s3, s3, s16
	s_ashr_i32 s22, s3, 1
	s_mul_i32 s3, s22, s23
	v_cmp_gt_i32_e32 vcc, s3, v0
	s_and_saveexec_b64 s[16:17], vcc
	s_cbranch_execz .LBB73_4
; %bb.2:
	s_load_dwordx2 s[30:31], s[0:1], 0x8
	s_load_dword s34, s[0:1], 0x8c
	s_lshl_b64 s[18:19], s[28:29], 2
	s_add_u32 s18, s24, s18
	s_mul_i32 s5, s2, s5
	s_mul_hi_u32 s33, s2, s4
	s_addc_u32 s19, s25, s19
	s_add_i32 s5, s33, s5
	s_mul_i32 s4, s2, s4
	s_ashr_i32 s23, s22, 31
	s_lshl_b64 s[4:5], s[4:5], 2
	s_waitcnt lgkmcnt(0)
	s_add_u32 s4, s30, s4
	s_addc_u32 s5, s31, s5
	s_abs_i32 s33, s22
	v_cvt_f32_u32_e32 v1, s33
	s_sub_i32 s30, 0, s33
	s_and_b32 s34, s34, 0xffff
	s_sub_i32 s35, 0, s22
	v_rcp_iflag_f32_e32 v1, v1
	s_lshl_b32 s37, s34, 1
	v_mov_b32_e32 v4, v2
	v_mov_b32_e32 v6, v0
	v_mul_f32_e32 v1, 0x4f7ffffe, v1
	v_cvt_u32_f32_e32 v1, v1
	v_mul_lo_u32 v3, s30, v1
	v_mul_hi_u32 v3, v1, v3
	s_lshl_b32 s30, s22, 1
	v_add_u32_e32 v1, v1, v3
	s_sub_i32 s36, 0, s30
	s_mov_b64 s[30:31], 0
.LBB73_3:                               ; =>This Inner Loop Header: Depth=1
	v_sub_u32_e32 v5, 0, v6
	v_max_i32_e32 v5, v6, v5
	v_mul_hi_u32 v7, v5, v1
	v_mul_lo_u32 v8, v7, s33
	v_sub_u32_e32 v5, v5, v8
	v_add_u32_e32 v9, 1, v7
	v_cmp_le_u32_e32 vcc, s33, v5
	v_subrev_u32_e32 v8, s33, v5
	v_ashrrev_i32_e32 v3, 31, v6
	v_cndmask_b32_e32 v7, v7, v9, vcc
	v_cndmask_b32_e32 v5, v5, v8, vcc
	v_add_u32_e32 v8, 1, v7
	v_cmp_le_u32_e32 vcc, s33, v5
	v_xor_b32_e32 v3, s23, v3
	s_nop 0
	v_cndmask_b32_e32 v5, v7, v8, vcc
	v_xor_b32_e32 v5, v5, v3
	v_sub_u32_e32 v3, v5, v3
	v_ashrrev_i32_e32 v5, 31, v3
	v_mad_u64_u32 v[8:9], s[38:39], s35, v3, v[6:7]
	v_mul_lo_u32 v7, v3, s7
	v_mad_u64_u32 v[10:11], s[38:39], v3, s6, 0
	v_mad_u64_u32 v[12:13], s[38:39], s36, v3, v[4:5]
	v_mul_lo_u32 v3, v5, s6
	v_ashrrev_i32_e32 v9, 31, v8
	v_add3_u32 v11, v11, v7, v3
	v_ashrrev_i32_e32 v13, 31, v12
	v_lshl_add_u64 v[8:9], v[8:9], 2, s[18:19]
	v_lshl_add_u64 v[10:11], v[10:11], 2, s[4:5]
	;; [unrolled: 1-line block ×3, first 2 shown]
	global_load_dword v3, v[8:9], off
	global_load_dword v5, v[14:15], off
	v_lshl_add_u64 v[8:9], v[12:13], 2, v[10:11]
	global_load_dwordx2 v[10:11], v[8:9], off
	v_add_u32_e32 v6, s34, v6
	v_cmp_le_i32_e32 vcc, s3, v6
	v_add_u32_e32 v4, s37, v4
	s_or_b64 s[30:31], vcc, s[30:31]
	s_waitcnt vmcnt(0)
	v_mul_f32_e32 v7, v5, v11
	v_mul_f32_e32 v13, v3, v11
	v_fma_f32 v12, v3, v10, -v7
	v_fmac_f32_e32 v13, v5, v10
	global_store_dwordx2 v[8:9], v[12:13], off
	s_andn2_b64 exec, exec, s[30:31]
	s_cbranch_execnz .LBB73_3
.LBB73_4:
	s_or_b64 exec, exec, s[16:17]
	s_load_dwordx4 s[16:19], s[0:1], 0x68
	s_waitcnt lgkmcnt(0)
	s_ashr_i32 s35, s19, 31
	s_mov_b32 s34, s19
	s_or_b64 s[4:5], s[26:27], s[34:35]
	s_mov_b32 s4, 0
	s_cmp_lg_u64 s[4:5], 0
	s_cbranch_scc0 .LBB73_14
; %bb.5:
	s_add_u32 s4, s34, s35
	s_mov_b32 s6, s35
	s_mov_b32 s7, s35
	s_addc_u32 s5, s35, s35
	s_xor_b64 s[36:37], s[4:5], s[6:7]
	v_cvt_f32_u32_e32 v1, s36
	v_cvt_f32_u32_e32 v3, s37
	s_sub_u32 s3, 0, s36
	s_subb_u32 s4, 0, s37
	v_fmamk_f32 v1, v3, 0x4f800000, v1
	v_rcp_f32_e32 v1, v1
	s_nop 0
	v_mul_f32_e32 v1, 0x5f7ffffc, v1
	v_mul_f32_e32 v3, 0x2f800000, v1
	v_trunc_f32_e32 v3, v3
	v_fmamk_f32 v1, v3, 0xcf800000, v1
	v_cvt_u32_f32_e32 v3, v3
	v_cvt_u32_f32_e32 v1, v1
	v_readfirstlane_b32 s5, v3
	v_readfirstlane_b32 s19, v1
	s_mul_i32 s23, s3, s5
	s_mul_hi_u32 s38, s3, s19
	s_mul_i32 s33, s4, s19
	s_add_i32 s23, s38, s23
	s_add_i32 s23, s23, s33
	s_mul_i32 s39, s3, s19
	s_mul_hi_u32 s33, s19, s23
	s_mul_i32 s38, s19, s23
	s_mul_hi_u32 s19, s19, s39
	s_add_u32 s19, s19, s38
	s_addc_u32 s33, 0, s33
	s_mul_hi_u32 s40, s5, s39
	s_mul_i32 s39, s5, s39
	s_add_u32 s19, s19, s39
	s_mul_hi_u32 s38, s5, s23
	s_addc_u32 s19, s33, s40
	s_addc_u32 s33, s38, 0
	s_mul_i32 s23, s5, s23
	s_add_u32 s19, s19, s23
	s_addc_u32 s23, 0, s33
	v_add_co_u32_e32 v1, vcc, s19, v1
	s_cmp_lg_u64 vcc, 0
	s_addc_u32 s5, s5, s23
	v_readfirstlane_b32 s23, v1
	s_mul_i32 s19, s3, s5
	s_mul_hi_u32 s33, s3, s23
	s_add_i32 s19, s33, s19
	s_mul_i32 s4, s4, s23
	s_add_i32 s19, s19, s4
	s_mul_i32 s3, s3, s23
	s_mul_hi_u32 s33, s5, s3
	s_mul_i32 s38, s5, s3
	s_mul_i32 s40, s23, s19
	s_mul_hi_u32 s3, s23, s3
	s_mul_hi_u32 s39, s23, s19
	s_add_u32 s3, s3, s40
	s_addc_u32 s23, 0, s39
	s_add_u32 s3, s3, s38
	s_mul_hi_u32 s4, s5, s19
	s_addc_u32 s3, s23, s33
	s_addc_u32 s4, s4, 0
	s_mul_i32 s19, s5, s19
	s_add_u32 s3, s3, s19
	s_addc_u32 s4, 0, s4
	v_add_co_u32_e32 v1, vcc, s3, v1
	s_cmp_lg_u64 vcc, 0
	s_addc_u32 s3, s5, s4
	s_ashr_i32 s38, s27, 31
	s_add_u32 s4, s26, s38
	s_mov_b32 s39, s38
	s_addc_u32 s5, s27, s38
	s_xor_b64 s[40:41], s[4:5], s[38:39]
	v_readfirstlane_b32 s19, v1
	s_mul_i32 s5, s40, s3
	s_mul_hi_u32 s23, s40, s19
	s_mul_hi_u32 s4, s40, s3
	s_add_u32 s5, s23, s5
	s_addc_u32 s4, 0, s4
	s_mul_hi_u32 s33, s41, s19
	s_mul_i32 s19, s41, s19
	s_add_u32 s5, s5, s19
	s_mul_hi_u32 s23, s41, s3
	s_addc_u32 s4, s4, s33
	s_addc_u32 s5, s23, 0
	s_mul_i32 s3, s41, s3
	s_add_u32 s3, s4, s3
	s_addc_u32 s19, 0, s5
	s_mul_i32 s4, s36, s19
	s_mul_hi_u32 s5, s36, s3
	s_add_i32 s4, s5, s4
	s_mul_i32 s5, s37, s3
	s_add_i32 s23, s4, s5
	s_mul_i32 s5, s36, s3
	v_mov_b32_e32 v1, s5
	s_sub_i32 s4, s41, s23
	v_sub_co_u32_e32 v1, vcc, s40, v1
	s_cmp_lg_u64 vcc, 0
	s_subb_u32 s33, s4, s37
	v_subrev_co_u32_e64 v3, s[4:5], s36, v1
	s_cmp_lg_u64 s[4:5], 0
	s_subb_u32 s4, s33, 0
	s_cmp_ge_u32 s4, s37
	v_readfirstlane_b32 s33, v3
	s_cselect_b32 s5, -1, 0
	s_cmp_ge_u32 s33, s36
	s_cselect_b32 s33, -1, 0
	s_cmp_eq_u32 s4, s37
	s_cselect_b32 s4, s33, s5
	s_add_u32 s5, s3, 1
	s_addc_u32 s33, s19, 0
	s_add_u32 s40, s3, 2
	s_addc_u32 s42, s19, 0
	s_cmp_lg_u32 s4, 0
	s_cselect_b32 s4, s40, s5
	s_cselect_b32 s5, s42, s33
	s_cmp_lg_u64 vcc, 0
	s_subb_u32 s23, s41, s23
	s_cmp_ge_u32 s23, s37
	v_readfirstlane_b32 s40, v1
	s_cselect_b32 s33, -1, 0
	s_cmp_ge_u32 s40, s36
	s_cselect_b32 s36, -1, 0
	s_cmp_eq_u32 s23, s37
	s_cselect_b32 s23, s36, s33
	s_cmp_lg_u32 s23, 0
	s_cselect_b32 s5, s5, s19
	s_cselect_b32 s4, s4, s3
	s_xor_b64 s[6:7], s[38:39], s[6:7]
	s_xor_b64 s[4:5], s[4:5], s[6:7]
	s_sub_u32 s6, s4, s6
	s_subb_u32 s7, s5, s7
	s_cbranch_execnz .LBB73_7
.LBB73_6:
	v_cvt_f32_u32_e32 v1, s34
	s_sub_i32 s3, 0, s34
	s_mov_b32 s7, 0
	v_rcp_iflag_f32_e32 v1, v1
	s_nop 0
	v_mul_f32_e32 v1, 0x4f7ffffe, v1
	v_cvt_u32_f32_e32 v1, v1
	s_nop 0
	v_readfirstlane_b32 s4, v1
	s_mul_i32 s3, s3, s4
	s_mul_hi_u32 s3, s4, s3
	s_add_i32 s4, s4, s3
	s_mul_hi_u32 s3, s26, s4
	s_mul_i32 s5, s3, s34
	s_sub_i32 s5, s26, s5
	s_add_i32 s4, s3, 1
	s_sub_i32 s6, s5, s34
	s_cmp_ge_u32 s5, s34
	s_cselect_b32 s3, s4, s3
	s_cselect_b32 s5, s6, s5
	s_add_i32 s4, s3, 1
	s_cmp_ge_u32 s5, s34
	s_cselect_b32 s6, s4, s3
.LBB73_7:
	s_mul_i32 s3, s6, s35
	s_mul_hi_u32 s4, s6, s34
	s_load_dwordx2 s[30:31], s[0:1], 0x78
	s_add_i32 s3, s4, s3
	s_mul_i32 s4, s7, s34
	s_add_i32 s3, s3, s4
	s_mul_i32 s4, s6, s34
	s_sub_u32 s33, s26, s4
	s_subb_u32 s3, s27, s3
	v_cmp_gt_i32_e32 vcc, s22, v0
	s_mul_hi_u32 s37, s6, s16
	s_mul_i32 s38, s7, s16
	s_mul_i32 s39, s6, s16
	s_mul_hi_u32 s36, s33, s17
	s_mul_i32 s7, s3, s17
	s_mul_i32 s19, s33, s17
	s_and_saveexec_b64 s[26:27], vcc
	s_cbranch_execz .LBB73_10
; %bb.8:
	s_ashr_i32 s3, s16, 31
	s_mul_i32 s3, s6, s3
	s_load_dword s4, s[0:1], 0x8c
	s_add_i32 s3, s37, s3
	s_add_i32 s34, s3, s38
	s_ashr_i32 s3, s17, 31
	s_mul_i32 s3, s33, s3
	s_add_i32 s3, s36, s3
	s_ashr_i32 s23, s22, 31
	s_add_i32 s35, s3, s7
	s_ashr_i32 s41, s18, 31
	s_waitcnt lgkmcnt(0)
	s_and_b32 s40, s4, 0xffff
	s_lshl_b64 s[4:5], s[28:29], 2
	s_add_u32 s4, s24, s4
	v_lshlrev_b32_e32 v6, 2, v0
	v_mov_b32_e32 v7, 0
	s_addc_u32 s5, s25, s5
	s_lshl_b32 s28, s40, 2
	s_lshl_b64 s[24:25], s[22:23], 2
	v_lshl_add_u64 v[4:5], s[4:5], 0, v[6:7]
	s_add_u32 s4, s39, s19
	s_addc_u32 s5, s34, s35
	s_add_u32 s23, s20, s18
	s_addc_u32 s34, s21, s41
	s_add_u32 s4, s23, s4
	v_mov_b32_e32 v3, v7
	s_addc_u32 s5, s34, s5
	v_lshl_add_u64 v[2:3], s[4:5], 0, v[2:3]
	s_mul_i32 s4, s9, s2
	s_mul_hi_u32 s5, s8, s2
	s_add_i32 s5, s5, s4
	s_mul_i32 s4, s8, s2
	s_load_dword s3, s[30:31], 0x0
	s_lshl_b32 s34, s40, 1
	s_lshl_b64 s[4:5], s[4:5], 2
	s_add_u32 s4, s12, s4
	v_lshlrev_b32_e32 v6, 3, v0
	s_addc_u32 s5, s13, s5
	s_mov_b32 s29, 0
	v_lshl_add_u64 v[6:7], s[4:5], 0, v[6:7]
	v_lshl_add_u64 v[2:3], v[2:3], 0, 1
	s_mov_b32 s35, s29
	v_lshl_add_u64 v[6:7], v[6:7], 0, 4
	s_lshl_b32 s8, s40, 3
	s_mov_b32 s9, s29
	s_mov_b64 s[12:13], 0
	s_mov_b32 s23, 0x7f800000
	s_mov_b32 s41, 0x43700000
	v_mov_b32_e32 v1, 0xc3700000
	v_mov_b32_e32 v8, v0
.LBB73_9:                               ; =>This Inner Loop Header: Depth=1
	v_lshl_add_u64 v[10:11], v[4:5], 0, s[24:25]
	global_load_dwordx2 v[12:13], v[6:7], off offset:-4
	global_load_dword v9, v[10:11], off
	global_load_dword v14, v[4:5], off
	v_add_u32_e32 v8, s40, v8
	v_cmp_le_i32_e32 vcc, s22, v8
	s_or_b64 s[12:13], vcc, s[12:13]
	v_mov_b32_e32 v16, 0
	v_mov_b32_e32 v15, 0
	v_lshl_add_u64 v[4:5], v[4:5], 0, s[28:29]
	s_waitcnt vmcnt(1)
	v_mul_f32_e32 v10, v9, v13
	s_waitcnt vmcnt(0)
	v_mul_f32_e32 v11, v14, v13
	v_fmac_f32_e32 v11, v9, v12
	v_fma_f32 v10, v14, v12, -v10
	v_cvt_f32_f16_e32 v9, v11
	global_store_dwordx2 v[6:7], v[10:11], off offset:-4
	v_cvt_f32_f16_e32 v10, v10
	v_lshl_add_u64 v[6:7], v[6:7], 0, s[8:9]
	s_waitcnt lgkmcnt(0)
	v_div_scale_f32 v11, s[4:5], s3, s3, v9
	v_div_scale_f32 v13, s[42:43], s3, s3, v10
	v_rcp_f32_e32 v17, v11
	v_rcp_f32_e32 v18, v13
	v_div_scale_f32 v12, s[4:5], v9, s3, v9
	v_fma_f32 v19, -v11, v17, 1.0
	v_fma_f32 v20, -v13, v18, 1.0
	v_div_scale_f32 v14, vcc, v10, s3, v10
	v_fmac_f32_e32 v17, v19, v17
	v_fmac_f32_e32 v18, v20, v18
	v_mul_f32_e32 v19, v12, v17
	v_mul_f32_e32 v20, v14, v18
	v_fma_f32 v21, -v11, v19, v12
	v_fma_f32 v22, -v13, v20, v14
	v_fmac_f32_e32 v19, v21, v17
	v_fmac_f32_e32 v20, v22, v18
	v_fma_f32 v11, -v11, v19, v12
	v_fma_f32 v12, -v13, v20, v14
	v_div_fmas_f32 v12, v12, v18, v20
	s_mov_b64 vcc, s[4:5]
	v_div_fixup_f32 v10, v12, s3, v10
	v_div_fmas_f32 v11, v11, v17, v19
	v_cvt_f16_f32_e32 v10, v10
	v_div_fixup_f32 v9, v11, s3, v9
	v_cvt_f16_f32_e32 v9, v9
	v_cvt_f32_f16_e32 v10, v10
	v_cvt_f32_f16_e32 v9, v9
	v_med3_f32 v11, v10, s41, v1
	v_cmp_nlg_f32_e64 vcc, |v10|, s23
	s_nop 1
	v_cndmask_b32_e32 v10, v11, v10, vcc
	v_med3_f32 v11, v9, s41, v1
	v_cmp_nlg_f32_e64 vcc, |v9|, s23
	v_cvt_pk_fp8_f32 v15, v10, v10
	s_nop 0
	v_cndmask_b32_e32 v9, v11, v9, vcc
	v_cvt_pk_fp8_f32 v16, v9, v9
	v_lshlrev_b16_e32 v9, 8, v16
	v_or_b32_sdwa v9, v15, v9 dst_sel:DWORD dst_unused:UNUSED_PAD src0_sel:BYTE_0 src1_sel:DWORD
	global_store_short v[2:3], v9, off offset:-1
	v_lshl_add_u64 v[2:3], v[2:3], 0, s[34:35]
	s_andn2_b64 exec, exec, s[12:13]
	s_cbranch_execnz .LBB73_9
.LBB73_10:
	s_or_b64 exec, exec, s[26:27]
	v_cmp_gt_i32_e32 vcc, s18, v0
	s_and_saveexec_b64 s[4:5], vcc
	s_cbranch_execz .LBB73_13
; %bb.11:
	s_mul_i32 s3, s2, s11
	s_mul_hi_u32 s4, s2, s10
	s_add_i32 s3, s4, s3
	s_mul_i32 s2, s2, s10
	s_lshl_b64 s[2:3], s[2:3], 2
	s_add_u32 s2, s14, s2
	s_addc_u32 s3, s15, s3
	s_ashr_i32 s4, s16, 31
	s_mul_i32 s4, s6, s4
	s_add_i32 s4, s37, s4
	s_add_i32 s4, s4, s38
	s_add_u32 s5, s20, s39
	s_addc_u32 s4, s21, s4
	s_ashr_i32 s6, s17, 31
	s_mul_i32 s33, s33, s6
	s_add_i32 s6, s36, s33
	s_add_i32 s6, s6, s7
	s_load_dword s8, s[0:1], 0x8c
	s_add_u32 s0, s5, s19
	s_addc_u32 s1, s4, s6
	s_waitcnt lgkmcnt(0)
	s_load_dword s6, s[30:31], 0x0
	s_mov_b64 s[4:5], 0
	s_and_b32 s7, s8, 0xffff
	s_mov_b32 s8, 0x7f800000
	s_mov_b32 s9, 0x43700000
	v_mov_b32_e32 v2, 0xc3700000
.LBB73_12:                              ; =>This Inner Loop Header: Depth=1
	v_ashrrev_i32_e32 v1, 31, v0
	v_lshl_add_u64 v[4:5], v[0:1], 2, s[2:3]
	global_load_ushort v3, v[4:5], off
	s_waitcnt vmcnt(0)
	v_cvt_f32_f16_e32 v3, v3
	s_waitcnt lgkmcnt(0)
	v_div_scale_f32 v4, s[10:11], s6, s6, v3
	v_rcp_f32_e32 v5, v4
	v_div_scale_f32 v6, vcc, v3, s6, v3
	v_fma_f32 v7, -v4, v5, 1.0
	v_fmac_f32_e32 v5, v7, v5
	v_mul_f32_e32 v7, v6, v5
	v_fma_f32 v8, -v4, v7, v6
	v_fmac_f32_e32 v7, v8, v5
	v_fma_f32 v4, -v4, v7, v6
	v_div_fmas_f32 v4, v4, v5, v7
	v_div_fixup_f32 v3, v4, s6, v3
	v_cvt_f16_f32_e32 v3, v3
	v_mov_b32_e32 v6, 0
	v_cvt_f32_f16_e32 v3, v3
	v_med3_f32 v4, v3, s9, v2
	v_cmp_nlg_f32_e64 vcc, |v3|, s8
	s_nop 1
	v_cndmask_b32_e32 v3, v4, v3, vcc
	v_cvt_pk_fp8_f32 v6, v3, v3
	v_lshl_add_u64 v[4:5], s[0:1], 0, v[0:1]
	v_add_u32_e32 v0, s7, v0
	v_cmp_le_i32_e32 vcc, s18, v0
	s_or_b64 s[4:5], vcc, s[4:5]
	global_store_byte v[4:5], v6, off
	s_andn2_b64 exec, exec, s[4:5]
	s_cbranch_execnz .LBB73_12
.LBB73_13:
	s_endpgm
.LBB73_14:
                                        ; implicit-def: $sgpr6_sgpr7
	s_branch .LBB73_6
	.section	.rodata,"a",@progbits
	.p2align	6, 0x0
	.amdhsa_kernel _ZN4vllm38concat_and_cache_mla_rope_fused_kernelIffLb0EthLNS_18Fp8KVCacheDataTypeE1EEEvPKlPT_S5_PKS4_PKT0_illlliPT3_S3_iiiiPKf
		.amdhsa_group_segment_fixed_size 0
		.amdhsa_private_segment_fixed_size 0
		.amdhsa_kernarg_size 384
		.amdhsa_user_sgpr_count 2
		.amdhsa_user_sgpr_dispatch_ptr 0
		.amdhsa_user_sgpr_queue_ptr 0
		.amdhsa_user_sgpr_kernarg_segment_ptr 1
		.amdhsa_user_sgpr_dispatch_id 0
		.amdhsa_user_sgpr_kernarg_preload_length 0
		.amdhsa_user_sgpr_kernarg_preload_offset 0
		.amdhsa_user_sgpr_private_segment_size 0
		.amdhsa_uses_dynamic_stack 0
		.amdhsa_enable_private_segment 0
		.amdhsa_system_sgpr_workgroup_id_x 1
		.amdhsa_system_sgpr_workgroup_id_y 0
		.amdhsa_system_sgpr_workgroup_id_z 0
		.amdhsa_system_sgpr_workgroup_info 0
		.amdhsa_system_vgpr_workitem_id 0
		.amdhsa_next_free_vgpr 23
		.amdhsa_next_free_sgpr 44
		.amdhsa_accum_offset 24
		.amdhsa_reserve_vcc 1
		.amdhsa_float_round_mode_32 0
		.amdhsa_float_round_mode_16_64 0
		.amdhsa_float_denorm_mode_32 3
		.amdhsa_float_denorm_mode_16_64 3
		.amdhsa_dx10_clamp 1
		.amdhsa_ieee_mode 1
		.amdhsa_fp16_overflow 0
		.amdhsa_tg_split 0
		.amdhsa_exception_fp_ieee_invalid_op 0
		.amdhsa_exception_fp_denorm_src 0
		.amdhsa_exception_fp_ieee_div_zero 0
		.amdhsa_exception_fp_ieee_overflow 0
		.amdhsa_exception_fp_ieee_underflow 0
		.amdhsa_exception_fp_ieee_inexact 0
		.amdhsa_exception_int_div_zero 0
	.end_amdhsa_kernel
	.section	.text._ZN4vllm38concat_and_cache_mla_rope_fused_kernelIffLb0EthLNS_18Fp8KVCacheDataTypeE1EEEvPKlPT_S5_PKS4_PKT0_illlliPT3_S3_iiiiPKf,"axG",@progbits,_ZN4vllm38concat_and_cache_mla_rope_fused_kernelIffLb0EthLNS_18Fp8KVCacheDataTypeE1EEEvPKlPT_S5_PKS4_PKT0_illlliPT3_S3_iiiiPKf,comdat
.Lfunc_end73:
	.size	_ZN4vllm38concat_and_cache_mla_rope_fused_kernelIffLb0EthLNS_18Fp8KVCacheDataTypeE1EEEvPKlPT_S5_PKS4_PKT0_illlliPT3_S3_iiiiPKf, .Lfunc_end73-_ZN4vllm38concat_and_cache_mla_rope_fused_kernelIffLb0EthLNS_18Fp8KVCacheDataTypeE1EEEvPKlPT_S5_PKS4_PKT0_illlliPT3_S3_iiiiPKf
                                        ; -- End function
	.section	.AMDGPU.csdata,"",@progbits
; Kernel info:
; codeLenInByte = 2324
; NumSgprs: 50
; NumVgprs: 23
; NumAgprs: 0
; TotalNumVgprs: 23
; ScratchSize: 0
; MemoryBound: 0
; FloatMode: 240
; IeeeMode: 1
; LDSByteSize: 0 bytes/workgroup (compile time only)
; SGPRBlocks: 6
; VGPRBlocks: 2
; NumSGPRsForWavesPerEU: 50
; NumVGPRsForWavesPerEU: 23
; AccumOffset: 24
; Occupancy: 8
; WaveLimiterHint : 1
; COMPUTE_PGM_RSRC2:SCRATCH_EN: 0
; COMPUTE_PGM_RSRC2:USER_SGPR: 2
; COMPUTE_PGM_RSRC2:TRAP_HANDLER: 0
; COMPUTE_PGM_RSRC2:TGID_X_EN: 1
; COMPUTE_PGM_RSRC2:TGID_Y_EN: 0
; COMPUTE_PGM_RSRC2:TGID_Z_EN: 0
; COMPUTE_PGM_RSRC2:TIDIG_COMP_CNT: 0
; COMPUTE_PGM_RSRC3_GFX90A:ACCUM_OFFSET: 5
; COMPUTE_PGM_RSRC3_GFX90A:TG_SPLIT: 0
	.section	.text._ZN4vllm38concat_and_cache_mla_rope_fused_kernelIfN3c104HalfELb1EthLNS_18Fp8KVCacheDataTypeE1EEEvPKlPT_S7_PKS6_PKT0_illlliPT3_S5_iiiiPKf,"axG",@progbits,_ZN4vllm38concat_and_cache_mla_rope_fused_kernelIfN3c104HalfELb1EthLNS_18Fp8KVCacheDataTypeE1EEEvPKlPT_S7_PKS6_PKT0_illlliPT3_S5_iiiiPKf,comdat
	.protected	_ZN4vllm38concat_and_cache_mla_rope_fused_kernelIfN3c104HalfELb1EthLNS_18Fp8KVCacheDataTypeE1EEEvPKlPT_S7_PKS6_PKT0_illlliPT3_S5_iiiiPKf ; -- Begin function _ZN4vllm38concat_and_cache_mla_rope_fused_kernelIfN3c104HalfELb1EthLNS_18Fp8KVCacheDataTypeE1EEEvPKlPT_S7_PKS6_PKT0_illlliPT3_S5_iiiiPKf
	.globl	_ZN4vllm38concat_and_cache_mla_rope_fused_kernelIfN3c104HalfELb1EthLNS_18Fp8KVCacheDataTypeE1EEEvPKlPT_S7_PKS6_PKT0_illlliPT3_S5_iiiiPKf
	.p2align	8
	.type	_ZN4vllm38concat_and_cache_mla_rope_fused_kernelIfN3c104HalfELb1EthLNS_18Fp8KVCacheDataTypeE1EEEvPKlPT_S7_PKS6_PKT0_illlliPT3_S5_iiiiPKf,@function
_ZN4vllm38concat_and_cache_mla_rope_fused_kernelIfN3c104HalfELb1EthLNS_18Fp8KVCacheDataTypeE1EEEvPKlPT_S7_PKS6_PKT0_illlliPT3_S5_iiiiPKf: ; @_ZN4vllm38concat_and_cache_mla_rope_fused_kernelIfN3c104HalfELb1EthLNS_18Fp8KVCacheDataTypeE1EEEvPKlPT_S7_PKS6_PKT0_illlliPT3_S5_iiiiPKf
; %bb.0:
	s_load_dwordx2 s[6:7], s[0:1], 0x60
	s_mov_b32 s3, 0
	s_lshl_b64 s[4:5], s[2:3], 3
	s_waitcnt lgkmcnt(0)
	s_add_u32 s6, s6, s4
	s_addc_u32 s7, s7, s5
	s_load_dwordx2 s[28:29], s[6:7], 0x0
	s_waitcnt lgkmcnt(0)
	v_cmp_lt_i64_e64 s[6:7], s[28:29], 0
	s_and_b64 vcc, exec, s[6:7]
	s_cbranch_vccnz .LBB74_13
; %bb.1:
	s_load_dword s3, s[0:1], 0x28
	s_load_dwordx2 s[6:7], s[0:1], 0x0
	s_load_dwordx4 s[12:15], s[0:1], 0x10
	s_waitcnt lgkmcnt(0)
	s_ashr_i32 s22, s3, 31
	s_add_u32 s16, s6, s4
	s_addc_u32 s17, s7, s5
	s_load_dwordx2 s[18:19], s[16:17], 0x0
	s_load_dwordx2 s[24:25], s[0:1], 0x20
	s_load_dwordx8 s[4:11], s[0:1], 0x30
	s_load_dwordx2 s[20:21], s[0:1], 0x58
	s_load_dword s23, s[0:1], 0x50
	s_waitcnt lgkmcnt(0)
	s_mul_i32 s16, s18, s22
	s_mul_hi_u32 s17, s18, s3
	s_mul_i32 s19, s19, s3
	s_add_i32 s16, s17, s16
	s_add_i32 s27, s16, s19
	s_lshr_b32 s16, s3, 31
	s_mul_i32 s26, s18, s3
	s_add_i32 s3, s3, s16
	s_ashr_i32 s22, s3, 1
	s_mul_i32 s3, s22, s23
	v_cmp_gt_i32_e32 vcc, s3, v0
	s_and_saveexec_b64 s[16:17], vcc
	s_cbranch_execz .LBB74_4
; %bb.2:
	s_load_dwordx2 s[30:31], s[0:1], 0x8
	s_load_dword s34, s[0:1], 0x8c
	s_lshl_b64 s[18:19], s[26:27], 1
	s_add_u32 s18, s24, s18
	s_mul_i32 s5, s2, s5
	s_mul_hi_u32 s33, s2, s4
	s_addc_u32 s19, s25, s19
	s_add_i32 s5, s33, s5
	s_mul_i32 s4, s2, s4
	s_ashr_i32 s23, s22, 31
	s_lshl_b64 s[4:5], s[4:5], 2
	s_waitcnt lgkmcnt(0)
	s_add_u32 s4, s30, s4
	s_addc_u32 s5, s31, s5
	s_abs_i32 s33, s22
	v_cvt_f32_u32_e32 v1, s33
	s_sub_i32 s30, 0, s33
	s_and_b32 s34, s34, 0xffff
	s_sub_i32 s35, 0, s22
	v_rcp_iflag_f32_e32 v1, v1
	s_nop 0
	v_mul_f32_e32 v1, 0x4f7ffffe, v1
	v_cvt_u32_f32_e32 v1, v1
	v_mul_lo_u32 v2, s30, v1
	v_mul_hi_u32 v2, v1, v2
	v_add_u32_e32 v1, v1, v2
	s_mov_b64 s[30:31], 0
	v_mov_b32_e32 v2, v0
.LBB74_3:                               ; =>This Inner Loop Header: Depth=1
	v_sub_u32_e32 v4, 0, v2
	v_max_i32_e32 v4, v2, v4
	v_mul_hi_u32 v5, v4, v1
	v_mul_lo_u32 v6, v5, s33
	v_sub_u32_e32 v4, v4, v6
	v_add_u32_e32 v7, 1, v5
	v_cmp_le_u32_e32 vcc, s33, v4
	v_subrev_u32_e32 v6, s33, v4
	v_ashrrev_i32_e32 v3, 31, v2
	v_cndmask_b32_e32 v5, v5, v7, vcc
	v_cndmask_b32_e32 v4, v4, v6, vcc
	v_add_u32_e32 v6, 1, v5
	v_cmp_le_u32_e32 vcc, s33, v4
	v_xor_b32_e32 v3, s23, v3
	s_nop 0
	v_cndmask_b32_e32 v4, v5, v6, vcc
	v_xor_b32_e32 v4, v4, v3
	v_sub_u32_e32 v3, v4, v3
	v_mad_u64_u32 v[4:5], s[36:37], s35, v3, v[2:3]
	v_ashrrev_i32_e32 v8, 31, v3
	v_ashrrev_i32_e32 v5, 31, v4
	v_mul_lo_u32 v10, v3, s7
	v_mad_u64_u32 v[6:7], s[36:37], v3, s6, 0
	v_mul_lo_u32 v3, v8, s6
	v_lshl_add_u64 v[8:9], v[4:5], 1, s[18:19]
	v_add3_u32 v7, v7, v10, v3
	v_lshl_add_u64 v[10:11], s[22:23], 1, v[8:9]
	global_load_ushort v3, v[8:9], off
	global_load_ushort v12, v[10:11], off
	v_lshl_add_u64 v[6:7], v[6:7], 2, s[4:5]
	v_lshl_add_u64 v[4:5], v[4:5], 2, v[6:7]
	;; [unrolled: 1-line block ×3, first 2 shown]
	global_load_dword v8, v[4:5], off
	global_load_dword v9, v[6:7], off
	v_add_u32_e32 v2, s34, v2
	v_cmp_le_i32_e32 vcc, s3, v2
	s_or_b64 s[30:31], vcc, s[30:31]
	s_waitcnt vmcnt(3)
	v_cvt_f32_f16_e32 v10, v3
	s_waitcnt vmcnt(2)
	v_cvt_f32_f16_e32 v11, v12
	s_waitcnt vmcnt(0)
	v_mul_f32_e32 v10, v9, v10
	v_mul_f32_e32 v9, v9, v11
	v_fma_mix_f32 v3, v8, v3, -v9 op_sel_hi:[0,1,0]
	v_fma_mix_f32 v10, v8, v12, v10 op_sel_hi:[0,1,0]
	global_store_dword v[4:5], v3, off
	global_store_dword v[6:7], v10, off
	s_andn2_b64 exec, exec, s[30:31]
	s_cbranch_execnz .LBB74_3
.LBB74_4:
	s_or_b64 exec, exec, s[16:17]
	s_load_dwordx4 s[16:19], s[0:1], 0x68
	s_waitcnt lgkmcnt(0)
	s_ashr_i32 s35, s19, 31
	s_mov_b32 s34, s19
	s_or_b64 s[4:5], s[28:29], s[34:35]
	s_mov_b32 s4, 0
	s_cmp_lg_u64 s[4:5], 0
	s_cbranch_scc0 .LBB74_14
; %bb.5:
	s_add_u32 s4, s34, s35
	s_mov_b32 s6, s35
	s_mov_b32 s7, s35
	s_addc_u32 s5, s35, s35
	s_xor_b64 s[36:37], s[4:5], s[6:7]
	v_cvt_f32_u32_e32 v1, s36
	v_cvt_f32_u32_e32 v2, s37
	s_sub_u32 s3, 0, s36
	s_subb_u32 s4, 0, s37
	v_fmamk_f32 v1, v2, 0x4f800000, v1
	v_rcp_f32_e32 v1, v1
	s_nop 0
	v_mul_f32_e32 v1, 0x5f7ffffc, v1
	v_mul_f32_e32 v2, 0x2f800000, v1
	v_trunc_f32_e32 v2, v2
	v_fmamk_f32 v1, v2, 0xcf800000, v1
	v_cvt_u32_f32_e32 v2, v2
	v_cvt_u32_f32_e32 v1, v1
	v_readfirstlane_b32 s5, v2
	v_readfirstlane_b32 s19, v1
	s_mul_i32 s23, s3, s5
	s_mul_hi_u32 s38, s3, s19
	s_mul_i32 s33, s4, s19
	s_add_i32 s23, s38, s23
	s_add_i32 s23, s23, s33
	s_mul_i32 s39, s3, s19
	s_mul_hi_u32 s33, s19, s23
	s_mul_i32 s38, s19, s23
	s_mul_hi_u32 s19, s19, s39
	s_add_u32 s19, s19, s38
	s_addc_u32 s33, 0, s33
	s_mul_hi_u32 s40, s5, s39
	s_mul_i32 s39, s5, s39
	s_add_u32 s19, s19, s39
	s_mul_hi_u32 s38, s5, s23
	s_addc_u32 s19, s33, s40
	s_addc_u32 s33, s38, 0
	s_mul_i32 s23, s5, s23
	s_add_u32 s19, s19, s23
	s_addc_u32 s23, 0, s33
	v_add_co_u32_e32 v1, vcc, s19, v1
	s_cmp_lg_u64 vcc, 0
	s_addc_u32 s5, s5, s23
	v_readfirstlane_b32 s23, v1
	s_mul_i32 s19, s3, s5
	s_mul_hi_u32 s33, s3, s23
	s_add_i32 s19, s33, s19
	s_mul_i32 s4, s4, s23
	s_add_i32 s19, s19, s4
	s_mul_i32 s3, s3, s23
	s_mul_hi_u32 s33, s5, s3
	s_mul_i32 s38, s5, s3
	s_mul_i32 s40, s23, s19
	s_mul_hi_u32 s3, s23, s3
	s_mul_hi_u32 s39, s23, s19
	s_add_u32 s3, s3, s40
	s_addc_u32 s23, 0, s39
	s_add_u32 s3, s3, s38
	s_mul_hi_u32 s4, s5, s19
	s_addc_u32 s3, s23, s33
	s_addc_u32 s4, s4, 0
	s_mul_i32 s19, s5, s19
	s_add_u32 s3, s3, s19
	s_addc_u32 s4, 0, s4
	v_add_co_u32_e32 v1, vcc, s3, v1
	s_cmp_lg_u64 vcc, 0
	s_addc_u32 s3, s5, s4
	s_ashr_i32 s38, s29, 31
	s_add_u32 s4, s28, s38
	s_mov_b32 s39, s38
	s_addc_u32 s5, s29, s38
	s_xor_b64 s[40:41], s[4:5], s[38:39]
	v_readfirstlane_b32 s19, v1
	s_mul_i32 s5, s40, s3
	s_mul_hi_u32 s23, s40, s19
	s_mul_hi_u32 s4, s40, s3
	s_add_u32 s5, s23, s5
	s_addc_u32 s4, 0, s4
	s_mul_hi_u32 s33, s41, s19
	s_mul_i32 s19, s41, s19
	s_add_u32 s5, s5, s19
	s_mul_hi_u32 s23, s41, s3
	s_addc_u32 s4, s4, s33
	s_addc_u32 s5, s23, 0
	s_mul_i32 s3, s41, s3
	s_add_u32 s3, s4, s3
	s_addc_u32 s19, 0, s5
	s_mul_i32 s4, s36, s19
	s_mul_hi_u32 s5, s36, s3
	s_add_i32 s4, s5, s4
	s_mul_i32 s5, s37, s3
	s_add_i32 s23, s4, s5
	s_mul_i32 s5, s36, s3
	v_mov_b32_e32 v1, s5
	s_sub_i32 s4, s41, s23
	v_sub_co_u32_e32 v1, vcc, s40, v1
	s_cmp_lg_u64 vcc, 0
	s_subb_u32 s33, s4, s37
	v_subrev_co_u32_e64 v2, s[4:5], s36, v1
	s_cmp_lg_u64 s[4:5], 0
	s_subb_u32 s4, s33, 0
	s_cmp_ge_u32 s4, s37
	v_readfirstlane_b32 s33, v2
	s_cselect_b32 s5, -1, 0
	s_cmp_ge_u32 s33, s36
	s_cselect_b32 s33, -1, 0
	s_cmp_eq_u32 s4, s37
	s_cselect_b32 s4, s33, s5
	s_add_u32 s5, s3, 1
	s_addc_u32 s33, s19, 0
	s_add_u32 s40, s3, 2
	s_addc_u32 s42, s19, 0
	s_cmp_lg_u32 s4, 0
	s_cselect_b32 s4, s40, s5
	s_cselect_b32 s5, s42, s33
	s_cmp_lg_u64 vcc, 0
	s_subb_u32 s23, s41, s23
	s_cmp_ge_u32 s23, s37
	v_readfirstlane_b32 s40, v1
	s_cselect_b32 s33, -1, 0
	s_cmp_ge_u32 s40, s36
	s_cselect_b32 s36, -1, 0
	s_cmp_eq_u32 s23, s37
	s_cselect_b32 s23, s36, s33
	s_cmp_lg_u32 s23, 0
	s_cselect_b32 s5, s5, s19
	s_cselect_b32 s4, s4, s3
	s_xor_b64 s[6:7], s[38:39], s[6:7]
	s_xor_b64 s[4:5], s[4:5], s[6:7]
	s_sub_u32 s6, s4, s6
	s_subb_u32 s7, s5, s7
	s_cbranch_execnz .LBB74_7
.LBB74_6:
	v_cvt_f32_u32_e32 v1, s34
	s_sub_i32 s3, 0, s34
	s_mov_b32 s7, 0
	v_rcp_iflag_f32_e32 v1, v1
	s_nop 0
	v_mul_f32_e32 v1, 0x4f7ffffe, v1
	v_cvt_u32_f32_e32 v1, v1
	s_nop 0
	v_readfirstlane_b32 s4, v1
	s_mul_i32 s3, s3, s4
	s_mul_hi_u32 s3, s4, s3
	s_add_i32 s4, s4, s3
	s_mul_hi_u32 s3, s28, s4
	s_mul_i32 s5, s3, s34
	s_sub_i32 s5, s28, s5
	s_add_i32 s4, s3, 1
	s_sub_i32 s6, s5, s34
	s_cmp_ge_u32 s5, s34
	s_cselect_b32 s3, s4, s3
	s_cselect_b32 s5, s6, s5
	s_add_i32 s4, s3, 1
	s_cmp_ge_u32 s5, s34
	s_cselect_b32 s6, s4, s3
.LBB74_7:
	s_mul_i32 s3, s6, s35
	s_mul_hi_u32 s4, s6, s34
	s_load_dwordx2 s[30:31], s[0:1], 0x78
	s_add_i32 s3, s4, s3
	s_mul_i32 s4, s7, s34
	s_add_i32 s3, s3, s4
	s_mul_i32 s4, s6, s34
	s_sub_u32 s33, s28, s4
	s_subb_u32 s3, s29, s3
	v_cmp_gt_i32_e32 vcc, s22, v0
	s_mul_hi_u32 s43, s6, s16
	s_mul_i32 s44, s7, s16
	s_mul_i32 s45, s6, s16
	s_mul_hi_u32 s42, s33, s17
	s_mul_i32 s7, s3, s17
	s_mul_i32 s19, s33, s17
	s_and_saveexec_b64 s[28:29], vcc
	s_cbranch_execz .LBB74_10
; %bb.8:
	s_ashr_i32 s3, s16, 31
	s_ashr_i32 s4, s17, 31
	s_mul_i32 s3, s6, s3
	s_mul_i32 s4, s33, s4
	s_add_i32 s3, s43, s3
	s_add_i32 s4, s42, s4
	s_ashr_i32 s23, s22, 31
	s_add_i32 s3, s3, s44
	s_add_i32 s4, s4, s7
	s_add_u32 s38, s45, s19
	s_load_dword s5, s[0:1], 0x8c
	s_addc_u32 s39, s3, s4
	s_add_u32 s3, s38, s20
	s_addc_u32 s4, s39, s21
	s_ashr_i32 s40, s18, 31
	s_add_u32 s34, s3, s18
	s_addc_u32 s35, s4, s40
	s_waitcnt lgkmcnt(0)
	s_and_b32 s46, s5, 0xffff
	s_lshl_b64 s[4:5], s[26:27], 1
	v_mov_b32_e32 v1, 0
	s_add_u32 s4, s24, s4
	v_lshlrev_b32_e32 v2, 1, v0
	v_mov_b32_e32 v3, v1
	s_addc_u32 s5, s25, s5
	v_lshl_add_u64 v[2:3], s[4:5], 0, v[2:3]
	s_mul_i32 s4, s9, s2
	s_mul_hi_u32 s5, s8, s2
	s_add_i32 s5, s5, s4
	s_mul_i32 s4, s8, s2
	s_lshl_b32 s36, s46, 1
	s_lshl_b64 s[24:25], s[22:23], 1
	s_lshl_b64 s[26:27], s[22:23], 2
	;; [unrolled: 1-line block ×3, first 2 shown]
	s_add_u32 s4, s12, s4
	v_lshlrev_b32_e32 v4, 2, v0
	v_mov_b32_e32 v5, v1
	s_addc_u32 s5, s13, s5
	s_lshl_b32 s8, s46, 2
	v_lshl_add_u64 v[4:5], s[4:5], 0, v[4:5]
	s_add_u32 s4, s38, s22
	s_load_dword s3, s[30:31], 0x0
	s_addc_u32 s5, s39, s23
	s_add_u32 s4, s4, s18
	s_addc_u32 s5, s5, s40
	s_mov_b32 s37, 0
	s_add_u32 s12, s20, s4
	s_mov_b32 s9, s37
	s_addc_u32 s13, s21, s5
	s_mov_b64 s[38:39], 0
	s_mov_b32 s23, 0x7f800000
	s_mov_b32 s47, 0x43700000
	v_mov_b32_e32 v6, 0xc3700000
	s_mov_b64 s[40:41], 0
.LBB74_9:                               ; =>This Inner Loop Header: Depth=1
	global_load_ushort v7, v[2:3], off
	v_lshl_add_u64 v[8:9], v[2:3], 0, s[24:25]
	v_lshl_add_u64 v[10:11], v[4:5], 0, s[26:27]
	global_load_dword v14, v[4:5], off
	global_load_ushort v15, v[8:9], off
	global_load_dword v16, v[10:11], off
	s_add_u32 s40, s40, s46
	v_add_u32_e32 v19, s40, v0
	v_cmp_le_i32_e32 vcc, s22, v19
	s_addc_u32 s41, s41, 0
	v_lshl_add_u64 v[12:13], s[12:13], 0, v[0:1]
	s_add_u32 s12, s12, s46
	s_addc_u32 s13, s13, 0
	v_lshl_add_u64 v[8:9], s[34:35], 0, v[0:1]
	s_add_u32 s34, s34, s46
	s_addc_u32 s35, s35, 0
	s_or_b64 s[38:39], vcc, s[38:39]
	v_mov_b32_e32 v17, 0
	v_mov_b32_e32 v18, 0
	v_lshl_add_u64 v[2:3], v[2:3], 0, s[36:37]
	s_waitcnt vmcnt(3)
	v_cvt_f32_f16_e32 v19, v7
	s_waitcnt vmcnt(1)
	v_cvt_f32_f16_e32 v20, v15
	s_waitcnt vmcnt(0)
	v_mul_f32_e32 v19, v16, v19
	v_fma_mix_f32 v15, v14, v15, v19 op_sel_hi:[0,1,0]
	v_mul_f32_e32 v16, v16, v20
	v_fma_mix_f32 v7, v14, v7, -v16 op_sel_hi:[0,1,0]
	v_cvt_f32_f16_e32 v14, v15
	global_store_dword v[4:5], v7, off
	v_cvt_f32_f16_e32 v7, v7
	v_lshl_add_u64 v[4:5], v[4:5], 0, s[8:9]
	s_waitcnt lgkmcnt(0)
	v_div_scale_f32 v16, s[4:5], s3, s3, v14
	v_div_scale_f32 v20, s[48:49], s3, s3, v7
	v_rcp_f32_e32 v22, v16
	v_rcp_f32_e32 v23, v20
	v_div_scale_f32 v19, s[4:5], v14, s3, v14
	v_fma_f32 v24, -v16, v22, 1.0
	v_fma_f32 v25, -v20, v23, 1.0
	v_div_scale_f32 v21, vcc, v7, s3, v7
	v_fmac_f32_e32 v22, v24, v22
	v_fmac_f32_e32 v23, v25, v23
	v_mul_f32_e32 v24, v19, v22
	v_mul_f32_e32 v25, v21, v23
	v_fma_f32 v26, -v16, v24, v19
	v_fma_f32 v27, -v20, v25, v21
	v_fmac_f32_e32 v24, v26, v22
	v_fmac_f32_e32 v25, v27, v23
	v_fma_f32 v16, -v16, v24, v19
	v_fma_f32 v19, -v20, v25, v21
	v_div_fmas_f32 v19, v19, v23, v25
	s_mov_b64 vcc, s[4:5]
	v_div_fixup_f32 v7, v19, s3, v7
	v_div_fmas_f32 v16, v16, v22, v24
	v_cvt_f16_f32_e32 v7, v7
	v_div_fixup_f32 v14, v16, s3, v14
	v_cvt_f16_f32_e32 v14, v14
	global_store_dword v[10:11], v15, off
	v_cvt_f32_f16_e32 v7, v7
	v_cvt_f32_f16_e32 v14, v14
	v_med3_f32 v16, v7, s47, v6
	v_cmp_nlg_f32_e64 vcc, |v7|, s23
	s_nop 1
	v_cndmask_b32_e32 v7, v16, v7, vcc
	v_med3_f32 v16, v14, s47, v6
	v_cmp_nlg_f32_e64 vcc, |v14|, s23
	v_cvt_pk_fp8_f32 v17, v7, v7
	s_nop 0
	v_cndmask_b32_e32 v7, v16, v14, vcc
	v_cvt_pk_fp8_f32 v18, v7, v7
	global_store_byte v[8:9], v17, off
	global_store_byte v[12:13], v18, off
	s_andn2_b64 exec, exec, s[38:39]
	s_cbranch_execnz .LBB74_9
.LBB74_10:
	s_or_b64 exec, exec, s[28:29]
	v_cmp_gt_i32_e32 vcc, s18, v0
	s_and_saveexec_b64 s[4:5], vcc
	s_cbranch_execz .LBB74_13
; %bb.11:
	s_mul_i32 s3, s2, s11
	s_mul_hi_u32 s4, s2, s10
	s_add_i32 s3, s4, s3
	s_mul_i32 s2, s2, s10
	s_lshl_b64 s[2:3], s[2:3], 2
	s_add_u32 s2, s14, s2
	s_addc_u32 s3, s15, s3
	s_ashr_i32 s4, s16, 31
	s_mul_i32 s4, s6, s4
	s_add_i32 s4, s43, s4
	s_add_i32 s4, s4, s44
	s_add_u32 s5, s20, s45
	s_addc_u32 s4, s21, s4
	s_ashr_i32 s6, s17, 31
	s_mul_i32 s33, s33, s6
	s_add_i32 s6, s42, s33
	s_add_i32 s6, s6, s7
	s_load_dword s8, s[0:1], 0x8c
	s_add_u32 s0, s5, s19
	s_addc_u32 s1, s4, s6
	s_waitcnt lgkmcnt(0)
	s_load_dword s6, s[30:31], 0x0
	s_mov_b64 s[4:5], 0
	s_and_b32 s7, s8, 0xffff
	s_mov_b32 s8, 0x7f800000
	s_mov_b32 s9, 0x43700000
	v_mov_b32_e32 v2, 0xc3700000
.LBB74_12:                              ; =>This Inner Loop Header: Depth=1
	v_ashrrev_i32_e32 v1, 31, v0
	v_lshl_add_u64 v[4:5], v[0:1], 2, s[2:3]
	global_load_ushort v3, v[4:5], off
	s_waitcnt vmcnt(0)
	v_cvt_f32_f16_e32 v3, v3
	s_waitcnt lgkmcnt(0)
	v_div_scale_f32 v4, s[10:11], s6, s6, v3
	v_rcp_f32_e32 v5, v4
	v_div_scale_f32 v6, vcc, v3, s6, v3
	v_fma_f32 v7, -v4, v5, 1.0
	v_fmac_f32_e32 v5, v7, v5
	v_mul_f32_e32 v7, v6, v5
	v_fma_f32 v8, -v4, v7, v6
	v_fmac_f32_e32 v7, v8, v5
	v_fma_f32 v4, -v4, v7, v6
	v_div_fmas_f32 v4, v4, v5, v7
	v_div_fixup_f32 v3, v4, s6, v3
	v_cvt_f16_f32_e32 v3, v3
	v_mov_b32_e32 v6, 0
	v_cvt_f32_f16_e32 v3, v3
	v_med3_f32 v4, v3, s9, v2
	v_cmp_nlg_f32_e64 vcc, |v3|, s8
	s_nop 1
	v_cndmask_b32_e32 v3, v4, v3, vcc
	v_cvt_pk_fp8_f32 v6, v3, v3
	v_lshl_add_u64 v[4:5], s[0:1], 0, v[0:1]
	v_add_u32_e32 v0, s7, v0
	v_cmp_le_i32_e32 vcc, s18, v0
	s_or_b64 s[4:5], vcc, s[4:5]
	global_store_byte v[4:5], v6, off
	s_andn2_b64 exec, exec, s[4:5]
	s_cbranch_execnz .LBB74_12
.LBB74_13:
	s_endpgm
.LBB74_14:
                                        ; implicit-def: $sgpr6_sgpr7
	s_branch .LBB74_6
	.section	.rodata,"a",@progbits
	.p2align	6, 0x0
	.amdhsa_kernel _ZN4vllm38concat_and_cache_mla_rope_fused_kernelIfN3c104HalfELb1EthLNS_18Fp8KVCacheDataTypeE1EEEvPKlPT_S7_PKS6_PKT0_illlliPT3_S5_iiiiPKf
		.amdhsa_group_segment_fixed_size 0
		.amdhsa_private_segment_fixed_size 0
		.amdhsa_kernarg_size 384
		.amdhsa_user_sgpr_count 2
		.amdhsa_user_sgpr_dispatch_ptr 0
		.amdhsa_user_sgpr_queue_ptr 0
		.amdhsa_user_sgpr_kernarg_segment_ptr 1
		.amdhsa_user_sgpr_dispatch_id 0
		.amdhsa_user_sgpr_kernarg_preload_length 0
		.amdhsa_user_sgpr_kernarg_preload_offset 0
		.amdhsa_user_sgpr_private_segment_size 0
		.amdhsa_uses_dynamic_stack 0
		.amdhsa_enable_private_segment 0
		.amdhsa_system_sgpr_workgroup_id_x 1
		.amdhsa_system_sgpr_workgroup_id_y 0
		.amdhsa_system_sgpr_workgroup_id_z 0
		.amdhsa_system_sgpr_workgroup_info 0
		.amdhsa_system_vgpr_workitem_id 0
		.amdhsa_next_free_vgpr 28
		.amdhsa_next_free_sgpr 50
		.amdhsa_accum_offset 28
		.amdhsa_reserve_vcc 1
		.amdhsa_float_round_mode_32 0
		.amdhsa_float_round_mode_16_64 0
		.amdhsa_float_denorm_mode_32 3
		.amdhsa_float_denorm_mode_16_64 3
		.amdhsa_dx10_clamp 1
		.amdhsa_ieee_mode 1
		.amdhsa_fp16_overflow 0
		.amdhsa_tg_split 0
		.amdhsa_exception_fp_ieee_invalid_op 0
		.amdhsa_exception_fp_denorm_src 0
		.amdhsa_exception_fp_ieee_div_zero 0
		.amdhsa_exception_fp_ieee_overflow 0
		.amdhsa_exception_fp_ieee_underflow 0
		.amdhsa_exception_fp_ieee_inexact 0
		.amdhsa_exception_int_div_zero 0
	.end_amdhsa_kernel
	.section	.text._ZN4vllm38concat_and_cache_mla_rope_fused_kernelIfN3c104HalfELb1EthLNS_18Fp8KVCacheDataTypeE1EEEvPKlPT_S7_PKS6_PKT0_illlliPT3_S5_iiiiPKf,"axG",@progbits,_ZN4vllm38concat_and_cache_mla_rope_fused_kernelIfN3c104HalfELb1EthLNS_18Fp8KVCacheDataTypeE1EEEvPKlPT_S7_PKS6_PKT0_illlliPT3_S5_iiiiPKf,comdat
.Lfunc_end74:
	.size	_ZN4vllm38concat_and_cache_mla_rope_fused_kernelIfN3c104HalfELb1EthLNS_18Fp8KVCacheDataTypeE1EEEvPKlPT_S7_PKS6_PKT0_illlliPT3_S5_iiiiPKf, .Lfunc_end74-_ZN4vllm38concat_and_cache_mla_rope_fused_kernelIfN3c104HalfELb1EthLNS_18Fp8KVCacheDataTypeE1EEEvPKlPT_S7_PKS6_PKT0_illlliPT3_S5_iiiiPKf
                                        ; -- End function
	.section	.AMDGPU.csdata,"",@progbits
; Kernel info:
; codeLenInByte = 2404
; NumSgprs: 56
; NumVgprs: 28
; NumAgprs: 0
; TotalNumVgprs: 28
; ScratchSize: 0
; MemoryBound: 0
; FloatMode: 240
; IeeeMode: 1
; LDSByteSize: 0 bytes/workgroup (compile time only)
; SGPRBlocks: 6
; VGPRBlocks: 3
; NumSGPRsForWavesPerEU: 56
; NumVGPRsForWavesPerEU: 28
; AccumOffset: 28
; Occupancy: 8
; WaveLimiterHint : 1
; COMPUTE_PGM_RSRC2:SCRATCH_EN: 0
; COMPUTE_PGM_RSRC2:USER_SGPR: 2
; COMPUTE_PGM_RSRC2:TRAP_HANDLER: 0
; COMPUTE_PGM_RSRC2:TGID_X_EN: 1
; COMPUTE_PGM_RSRC2:TGID_Y_EN: 0
; COMPUTE_PGM_RSRC2:TGID_Z_EN: 0
; COMPUTE_PGM_RSRC2:TIDIG_COMP_CNT: 0
; COMPUTE_PGM_RSRC3_GFX90A:ACCUM_OFFSET: 6
; COMPUTE_PGM_RSRC3_GFX90A:TG_SPLIT: 0
	.section	.text._ZN4vllm38concat_and_cache_mla_rope_fused_kernelIfN3c104HalfELb0EthLNS_18Fp8KVCacheDataTypeE1EEEvPKlPT_S7_PKS6_PKT0_illlliPT3_S5_iiiiPKf,"axG",@progbits,_ZN4vllm38concat_and_cache_mla_rope_fused_kernelIfN3c104HalfELb0EthLNS_18Fp8KVCacheDataTypeE1EEEvPKlPT_S7_PKS6_PKT0_illlliPT3_S5_iiiiPKf,comdat
	.protected	_ZN4vllm38concat_and_cache_mla_rope_fused_kernelIfN3c104HalfELb0EthLNS_18Fp8KVCacheDataTypeE1EEEvPKlPT_S7_PKS6_PKT0_illlliPT3_S5_iiiiPKf ; -- Begin function _ZN4vllm38concat_and_cache_mla_rope_fused_kernelIfN3c104HalfELb0EthLNS_18Fp8KVCacheDataTypeE1EEEvPKlPT_S7_PKS6_PKT0_illlliPT3_S5_iiiiPKf
	.globl	_ZN4vllm38concat_and_cache_mla_rope_fused_kernelIfN3c104HalfELb0EthLNS_18Fp8KVCacheDataTypeE1EEEvPKlPT_S7_PKS6_PKT0_illlliPT3_S5_iiiiPKf
	.p2align	8
	.type	_ZN4vllm38concat_and_cache_mla_rope_fused_kernelIfN3c104HalfELb0EthLNS_18Fp8KVCacheDataTypeE1EEEvPKlPT_S7_PKS6_PKT0_illlliPT3_S5_iiiiPKf,@function
_ZN4vllm38concat_and_cache_mla_rope_fused_kernelIfN3c104HalfELb0EthLNS_18Fp8KVCacheDataTypeE1EEEvPKlPT_S7_PKS6_PKT0_illlliPT3_S5_iiiiPKf: ; @_ZN4vllm38concat_and_cache_mla_rope_fused_kernelIfN3c104HalfELb0EthLNS_18Fp8KVCacheDataTypeE1EEEvPKlPT_S7_PKS6_PKT0_illlliPT3_S5_iiiiPKf
; %bb.0:
	s_load_dwordx2 s[6:7], s[0:1], 0x60
	s_mov_b32 s3, 0
	s_lshl_b64 s[4:5], s[2:3], 3
	s_waitcnt lgkmcnt(0)
	s_add_u32 s6, s6, s4
	s_addc_u32 s7, s7, s5
	s_load_dwordx2 s[26:27], s[6:7], 0x0
	s_waitcnt lgkmcnt(0)
	v_cmp_lt_i64_e64 s[6:7], s[26:27], 0
	s_and_b64 vcc, exec, s[6:7]
	s_cbranch_vccnz .LBB75_13
; %bb.1:
	s_load_dword s3, s[0:1], 0x28
	s_load_dwordx2 s[6:7], s[0:1], 0x0
	s_load_dwordx4 s[12:15], s[0:1], 0x10
	v_lshlrev_b32_e32 v2, 1, v0
	s_waitcnt lgkmcnt(0)
	s_ashr_i32 s22, s3, 31
	s_add_u32 s16, s6, s4
	s_addc_u32 s17, s7, s5
	s_load_dwordx2 s[18:19], s[16:17], 0x0
	s_load_dwordx2 s[24:25], s[0:1], 0x20
	s_load_dwordx8 s[4:11], s[0:1], 0x30
	s_load_dwordx2 s[20:21], s[0:1], 0x58
	s_load_dword s23, s[0:1], 0x50
	s_waitcnt lgkmcnt(0)
	s_mul_i32 s16, s18, s22
	s_mul_hi_u32 s17, s18, s3
	s_mul_i32 s19, s19, s3
	s_add_i32 s16, s17, s16
	s_add_i32 s29, s16, s19
	s_lshr_b32 s16, s3, 31
	s_mul_i32 s28, s18, s3
	s_add_i32 s3, s3, s16
	s_ashr_i32 s22, s3, 1
	s_mul_i32 s3, s22, s23
	v_cmp_gt_i32_e32 vcc, s3, v0
	s_and_saveexec_b64 s[16:17], vcc
	s_cbranch_execz .LBB75_4
; %bb.2:
	s_load_dwordx2 s[30:31], s[0:1], 0x8
	s_load_dword s34, s[0:1], 0x8c
	s_lshl_b64 s[18:19], s[28:29], 1
	s_add_u32 s18, s24, s18
	s_mul_i32 s5, s2, s5
	s_mul_hi_u32 s33, s2, s4
	s_addc_u32 s19, s25, s19
	s_add_i32 s5, s33, s5
	s_mul_i32 s4, s2, s4
	s_ashr_i32 s23, s22, 31
	s_lshl_b64 s[4:5], s[4:5], 2
	s_waitcnt lgkmcnt(0)
	s_add_u32 s4, s30, s4
	s_addc_u32 s5, s31, s5
	s_abs_i32 s33, s22
	v_cvt_f32_u32_e32 v1, s33
	s_sub_i32 s30, 0, s33
	s_and_b32 s34, s34, 0xffff
	s_sub_i32 s35, 0, s22
	v_rcp_iflag_f32_e32 v1, v1
	s_lshl_b32 s37, s34, 1
	v_mov_b32_e32 v4, v2
	v_mov_b32_e32 v6, v0
	v_mul_f32_e32 v1, 0x4f7ffffe, v1
	v_cvt_u32_f32_e32 v1, v1
	v_mul_lo_u32 v3, s30, v1
	v_mul_hi_u32 v3, v1, v3
	s_lshl_b32 s30, s22, 1
	v_add_u32_e32 v1, v1, v3
	s_sub_i32 s36, 0, s30
	s_mov_b64 s[30:31], 0
.LBB75_3:                               ; =>This Inner Loop Header: Depth=1
	v_sub_u32_e32 v5, 0, v6
	v_max_i32_e32 v5, v6, v5
	v_mul_hi_u32 v7, v5, v1
	v_mul_lo_u32 v8, v7, s33
	v_sub_u32_e32 v5, v5, v8
	v_add_u32_e32 v9, 1, v7
	v_cmp_le_u32_e32 vcc, s33, v5
	v_subrev_u32_e32 v8, s33, v5
	v_ashrrev_i32_e32 v3, 31, v6
	v_cndmask_b32_e32 v7, v7, v9, vcc
	v_cndmask_b32_e32 v5, v5, v8, vcc
	v_add_u32_e32 v8, 1, v7
	v_cmp_le_u32_e32 vcc, s33, v5
	v_xor_b32_e32 v3, s23, v3
	s_nop 0
	v_cndmask_b32_e32 v5, v7, v8, vcc
	v_xor_b32_e32 v5, v5, v3
	v_sub_u32_e32 v3, v5, v3
	v_mad_u64_u32 v[8:9], s[38:39], s35, v3, v[6:7]
	v_ashrrev_i32_e32 v5, 31, v3
	v_ashrrev_i32_e32 v9, 31, v8
	v_mul_lo_u32 v7, v3, s7
	v_mad_u64_u32 v[10:11], s[38:39], v3, s6, 0
	v_mad_u64_u32 v[12:13], s[38:39], s36, v3, v[4:5]
	v_mul_lo_u32 v3, v5, s6
	v_lshl_add_u64 v[8:9], v[8:9], 1, s[18:19]
	v_add3_u32 v11, v11, v7, v3
	v_lshl_add_u64 v[14:15], s[22:23], 1, v[8:9]
	global_load_ushort v3, v[8:9], off
	global_load_ushort v5, v[14:15], off
	v_ashrrev_i32_e32 v13, 31, v12
	v_lshl_add_u64 v[10:11], v[10:11], 2, s[4:5]
	v_lshl_add_u64 v[8:9], v[12:13], 2, v[10:11]
	global_load_dwordx2 v[10:11], v[8:9], off
	v_add_u32_e32 v6, s34, v6
	v_cmp_le_i32_e32 vcc, s3, v6
	v_add_u32_e32 v4, s37, v4
	s_or_b64 s[30:31], vcc, s[30:31]
	s_waitcnt vmcnt(2)
	v_cvt_f32_f16_e32 v7, v3
	s_waitcnt vmcnt(1)
	v_cvt_f32_f16_e32 v12, v5
	s_waitcnt vmcnt(0)
	v_mul_f32_e32 v7, v11, v7
	v_mul_f32_e32 v12, v11, v12
	v_fma_mix_f32 v11, v10, v5, v7 op_sel_hi:[0,1,0]
	v_fma_mix_f32 v10, v10, v3, -v12 op_sel_hi:[0,1,0]
	global_store_dwordx2 v[8:9], v[10:11], off
	s_andn2_b64 exec, exec, s[30:31]
	s_cbranch_execnz .LBB75_3
.LBB75_4:
	s_or_b64 exec, exec, s[16:17]
	s_load_dwordx4 s[16:19], s[0:1], 0x68
	s_waitcnt lgkmcnt(0)
	s_ashr_i32 s35, s19, 31
	s_mov_b32 s34, s19
	s_or_b64 s[4:5], s[26:27], s[34:35]
	s_mov_b32 s4, 0
	s_cmp_lg_u64 s[4:5], 0
	s_cbranch_scc0 .LBB75_14
; %bb.5:
	s_add_u32 s4, s34, s35
	s_mov_b32 s6, s35
	s_mov_b32 s7, s35
	s_addc_u32 s5, s35, s35
	s_xor_b64 s[36:37], s[4:5], s[6:7]
	v_cvt_f32_u32_e32 v1, s36
	v_cvt_f32_u32_e32 v3, s37
	s_sub_u32 s3, 0, s36
	s_subb_u32 s4, 0, s37
	v_fmamk_f32 v1, v3, 0x4f800000, v1
	v_rcp_f32_e32 v1, v1
	s_nop 0
	v_mul_f32_e32 v1, 0x5f7ffffc, v1
	v_mul_f32_e32 v3, 0x2f800000, v1
	v_trunc_f32_e32 v3, v3
	v_fmamk_f32 v1, v3, 0xcf800000, v1
	v_cvt_u32_f32_e32 v3, v3
	v_cvt_u32_f32_e32 v1, v1
	v_readfirstlane_b32 s5, v3
	v_readfirstlane_b32 s19, v1
	s_mul_i32 s23, s3, s5
	s_mul_hi_u32 s38, s3, s19
	s_mul_i32 s33, s4, s19
	s_add_i32 s23, s38, s23
	s_add_i32 s23, s23, s33
	s_mul_i32 s39, s3, s19
	s_mul_hi_u32 s33, s19, s23
	s_mul_i32 s38, s19, s23
	s_mul_hi_u32 s19, s19, s39
	s_add_u32 s19, s19, s38
	s_addc_u32 s33, 0, s33
	s_mul_hi_u32 s40, s5, s39
	s_mul_i32 s39, s5, s39
	s_add_u32 s19, s19, s39
	s_mul_hi_u32 s38, s5, s23
	s_addc_u32 s19, s33, s40
	s_addc_u32 s33, s38, 0
	s_mul_i32 s23, s5, s23
	s_add_u32 s19, s19, s23
	s_addc_u32 s23, 0, s33
	v_add_co_u32_e32 v1, vcc, s19, v1
	s_cmp_lg_u64 vcc, 0
	s_addc_u32 s5, s5, s23
	v_readfirstlane_b32 s23, v1
	s_mul_i32 s19, s3, s5
	s_mul_hi_u32 s33, s3, s23
	s_add_i32 s19, s33, s19
	s_mul_i32 s4, s4, s23
	s_add_i32 s19, s19, s4
	s_mul_i32 s3, s3, s23
	s_mul_hi_u32 s33, s5, s3
	s_mul_i32 s38, s5, s3
	s_mul_i32 s40, s23, s19
	s_mul_hi_u32 s3, s23, s3
	s_mul_hi_u32 s39, s23, s19
	s_add_u32 s3, s3, s40
	s_addc_u32 s23, 0, s39
	s_add_u32 s3, s3, s38
	s_mul_hi_u32 s4, s5, s19
	s_addc_u32 s3, s23, s33
	s_addc_u32 s4, s4, 0
	s_mul_i32 s19, s5, s19
	s_add_u32 s3, s3, s19
	s_addc_u32 s4, 0, s4
	v_add_co_u32_e32 v1, vcc, s3, v1
	s_cmp_lg_u64 vcc, 0
	s_addc_u32 s3, s5, s4
	s_ashr_i32 s38, s27, 31
	s_add_u32 s4, s26, s38
	s_mov_b32 s39, s38
	s_addc_u32 s5, s27, s38
	s_xor_b64 s[40:41], s[4:5], s[38:39]
	v_readfirstlane_b32 s19, v1
	s_mul_i32 s5, s40, s3
	s_mul_hi_u32 s23, s40, s19
	s_mul_hi_u32 s4, s40, s3
	s_add_u32 s5, s23, s5
	s_addc_u32 s4, 0, s4
	s_mul_hi_u32 s33, s41, s19
	s_mul_i32 s19, s41, s19
	s_add_u32 s5, s5, s19
	s_mul_hi_u32 s23, s41, s3
	s_addc_u32 s4, s4, s33
	s_addc_u32 s5, s23, 0
	s_mul_i32 s3, s41, s3
	s_add_u32 s3, s4, s3
	s_addc_u32 s19, 0, s5
	s_mul_i32 s4, s36, s19
	s_mul_hi_u32 s5, s36, s3
	s_add_i32 s4, s5, s4
	s_mul_i32 s5, s37, s3
	s_add_i32 s23, s4, s5
	s_mul_i32 s5, s36, s3
	v_mov_b32_e32 v1, s5
	s_sub_i32 s4, s41, s23
	v_sub_co_u32_e32 v1, vcc, s40, v1
	s_cmp_lg_u64 vcc, 0
	s_subb_u32 s33, s4, s37
	v_subrev_co_u32_e64 v3, s[4:5], s36, v1
	s_cmp_lg_u64 s[4:5], 0
	s_subb_u32 s4, s33, 0
	s_cmp_ge_u32 s4, s37
	v_readfirstlane_b32 s33, v3
	s_cselect_b32 s5, -1, 0
	s_cmp_ge_u32 s33, s36
	s_cselect_b32 s33, -1, 0
	s_cmp_eq_u32 s4, s37
	s_cselect_b32 s4, s33, s5
	s_add_u32 s5, s3, 1
	s_addc_u32 s33, s19, 0
	s_add_u32 s40, s3, 2
	s_addc_u32 s42, s19, 0
	s_cmp_lg_u32 s4, 0
	s_cselect_b32 s4, s40, s5
	s_cselect_b32 s5, s42, s33
	s_cmp_lg_u64 vcc, 0
	s_subb_u32 s23, s41, s23
	s_cmp_ge_u32 s23, s37
	v_readfirstlane_b32 s40, v1
	s_cselect_b32 s33, -1, 0
	s_cmp_ge_u32 s40, s36
	s_cselect_b32 s36, -1, 0
	s_cmp_eq_u32 s23, s37
	s_cselect_b32 s23, s36, s33
	s_cmp_lg_u32 s23, 0
	s_cselect_b32 s5, s5, s19
	s_cselect_b32 s4, s4, s3
	s_xor_b64 s[6:7], s[38:39], s[6:7]
	s_xor_b64 s[4:5], s[4:5], s[6:7]
	s_sub_u32 s6, s4, s6
	s_subb_u32 s7, s5, s7
	s_cbranch_execnz .LBB75_7
.LBB75_6:
	v_cvt_f32_u32_e32 v1, s34
	s_sub_i32 s3, 0, s34
	s_mov_b32 s7, 0
	v_rcp_iflag_f32_e32 v1, v1
	s_nop 0
	v_mul_f32_e32 v1, 0x4f7ffffe, v1
	v_cvt_u32_f32_e32 v1, v1
	s_nop 0
	v_readfirstlane_b32 s4, v1
	s_mul_i32 s3, s3, s4
	s_mul_hi_u32 s3, s4, s3
	s_add_i32 s4, s4, s3
	s_mul_hi_u32 s3, s26, s4
	s_mul_i32 s5, s3, s34
	s_sub_i32 s5, s26, s5
	s_add_i32 s4, s3, 1
	s_sub_i32 s6, s5, s34
	s_cmp_ge_u32 s5, s34
	s_cselect_b32 s3, s4, s3
	s_cselect_b32 s5, s6, s5
	s_add_i32 s4, s3, 1
	s_cmp_ge_u32 s5, s34
	s_cselect_b32 s6, s4, s3
.LBB75_7:
	s_mul_i32 s3, s6, s35
	s_mul_hi_u32 s4, s6, s34
	s_load_dwordx2 s[30:31], s[0:1], 0x78
	s_add_i32 s3, s4, s3
	s_mul_i32 s4, s7, s34
	s_add_i32 s3, s3, s4
	s_mul_i32 s4, s6, s34
	s_sub_u32 s33, s26, s4
	s_subb_u32 s3, s27, s3
	v_cmp_gt_i32_e32 vcc, s22, v0
	s_mul_hi_u32 s35, s6, s16
	s_mul_i32 s36, s7, s16
	s_mul_i32 s37, s6, s16
	s_mul_hi_u32 s34, s33, s17
	s_mul_i32 s7, s3, s17
	s_mul_i32 s19, s33, s17
	s_and_saveexec_b64 s[26:27], vcc
	s_cbranch_execz .LBB75_10
; %bb.8:
	s_ashr_i32 s3, s16, 31
	s_mul_i32 s3, s6, s3
	s_load_dword s4, s[0:1], 0x8c
	s_add_i32 s3, s35, s3
	s_add_i32 s39, s3, s36
	s_ashr_i32 s3, s17, 31
	s_mul_i32 s3, s33, s3
	s_add_i32 s3, s34, s3
	s_ashr_i32 s23, s22, 31
	s_add_i32 s40, s3, s7
	s_ashr_i32 s41, s18, 31
	s_waitcnt lgkmcnt(0)
	s_and_b32 s38, s4, 0xffff
	s_lshl_b64 s[4:5], s[28:29], 1
	s_add_u32 s4, s24, s4
	v_mov_b32_e32 v3, 0
	s_addc_u32 s5, s25, s5
	s_lshl_b32 s24, s38, 1
	v_lshl_add_u64 v[4:5], s[4:5], 0, v[2:3]
	s_add_u32 s4, s37, s19
	s_addc_u32 s5, s39, s40
	v_lshl_add_u64 v[6:7], s[22:23], 1, v[4:5]
	s_add_u32 s23, s20, s18
	s_addc_u32 s25, s21, s41
	s_add_u32 s4, s23, s4
	s_addc_u32 s5, s25, s5
	v_lshl_add_u64 v[8:9], s[4:5], 0, v[2:3]
	s_mul_i32 s4, s9, s2
	s_mul_hi_u32 s5, s8, s2
	s_add_i32 s5, s5, s4
	s_mul_i32 s4, s8, s2
	s_load_dword s3, s[30:31], 0x0
	s_lshl_b64 s[4:5], s[4:5], 2
	s_add_u32 s4, s12, s4
	v_lshlrev_b32_e32 v2, 3, v0
	s_addc_u32 s5, s13, s5
	v_lshl_add_u64 v[2:3], s[4:5], 0, v[2:3]
	s_mov_b32 s29, 0
	v_lshl_add_u64 v[8:9], v[8:9], 0, 1
	v_lshl_add_u64 v[2:3], v[2:3], 0, 4
	s_lshl_b32 s28, s38, 3
	s_mov_b64 s[8:9], 0
	s_mov_b32 s23, 0x7f800000
	s_mov_b32 s25, 0x43700000
	v_mov_b32_e32 v1, 0xc3700000
	s_mov_b64 s[12:13], 0
	v_mov_b32_e32 v10, v0
.LBB75_9:                               ; =>This Inner Loop Header: Depth=1
	v_lshl_add_u64 v[14:15], v[6:7], 0, s[12:13]
	v_lshl_add_u64 v[12:13], v[4:5], 0, s[12:13]
	global_load_ushort v11, v[14:15], off
	global_load_ushort v18, v[12:13], off
	global_load_dwordx2 v[16:17], v[2:3], off offset:-4
	v_lshl_add_u64 v[12:13], v[8:9], 0, s[12:13]
	v_add_u32_e32 v10, s38, v10
	s_add_u32 s12, s12, s24
	s_addc_u32 s13, s13, 0
	v_cmp_le_i32_e32 vcc, s22, v10
	s_or_b64 s[8:9], vcc, s[8:9]
	v_mov_b32_e32 v20, 0
	v_mov_b32_e32 v19, 0
	s_waitcnt vmcnt(2)
	v_cvt_f32_f16_e32 v14, v11
	s_waitcnt vmcnt(1)
	v_cvt_f32_f16_e32 v15, v18
	s_waitcnt vmcnt(0)
	v_mul_f32_e32 v14, v17, v14
	v_mul_f32_e32 v15, v17, v15
	v_fma_mix_f32 v14, v16, v18, -v14 op_sel_hi:[0,1,0]
	v_fma_mix_f32 v15, v16, v11, v15 op_sel_hi:[0,1,0]
	v_cvt_f32_f16_e32 v11, v14
	v_cvt_f32_f16_e32 v16, v15
	global_store_dwordx2 v[2:3], v[14:15], off offset:-4
	v_lshl_add_u64 v[2:3], v[2:3], 0, s[28:29]
	s_waitcnt lgkmcnt(0)
	v_div_scale_f32 v17, s[4:5], s3, s3, v11
	v_div_scale_f32 v21, s[4:5], s3, s3, v16
	v_rcp_f32_e32 v23, v17
	v_rcp_f32_e32 v24, v21
	v_div_scale_f32 v18, vcc, v11, s3, v11
	v_fma_f32 v25, -v17, v23, 1.0
	v_fma_f32 v26, -v21, v24, 1.0
	v_fmac_f32_e32 v23, v25, v23
	v_div_scale_f32 v22, s[4:5], v16, s3, v16
	v_fmac_f32_e32 v24, v26, v24
	v_mul_f32_e32 v25, v18, v23
	v_mul_f32_e32 v26, v22, v24
	v_fma_f32 v27, -v17, v25, v18
	v_fma_f32 v28, -v21, v26, v22
	v_fmac_f32_e32 v25, v27, v23
	v_fmac_f32_e32 v26, v28, v24
	v_fma_f32 v17, -v17, v25, v18
	v_fma_f32 v18, -v21, v26, v22
	v_div_fmas_f32 v17, v17, v23, v25
	s_mov_b64 vcc, s[4:5]
	v_div_fixup_f32 v11, v17, s3, v11
	v_div_fmas_f32 v17, v18, v24, v26
	v_cvt_f16_f32_e32 v11, v11
	v_div_fixup_f32 v16, v17, s3, v16
	v_cvt_f16_f32_e32 v16, v16
	v_cvt_f32_f16_e32 v11, v11
	v_cvt_f32_f16_e32 v16, v16
	v_med3_f32 v17, v11, s25, v1
	v_cmp_nlg_f32_e64 vcc, |v11|, s23
	s_nop 1
	v_cndmask_b32_e32 v11, v17, v11, vcc
	v_med3_f32 v17, v16, s25, v1
	v_cmp_nlg_f32_e64 vcc, |v16|, s23
	v_cvt_pk_fp8_f32 v19, v11, v11
	s_nop 0
	v_cndmask_b32_e32 v16, v17, v16, vcc
	v_cvt_pk_fp8_f32 v20, v16, v16
	v_lshlrev_b16_e32 v11, 8, v20
	v_or_b32_sdwa v11, v19, v11 dst_sel:DWORD dst_unused:UNUSED_PAD src0_sel:BYTE_0 src1_sel:DWORD
	global_store_short v[12:13], v11, off offset:-1
	s_andn2_b64 exec, exec, s[8:9]
	s_cbranch_execnz .LBB75_9
.LBB75_10:
	s_or_b64 exec, exec, s[26:27]
	v_cmp_gt_i32_e32 vcc, s18, v0
	s_and_saveexec_b64 s[4:5], vcc
	s_cbranch_execz .LBB75_13
; %bb.11:
	s_mul_i32 s3, s2, s11
	s_mul_hi_u32 s4, s2, s10
	s_add_i32 s3, s4, s3
	s_mul_i32 s2, s2, s10
	s_lshl_b64 s[2:3], s[2:3], 2
	s_add_u32 s2, s14, s2
	s_addc_u32 s3, s15, s3
	s_ashr_i32 s4, s16, 31
	s_mul_i32 s4, s6, s4
	s_add_i32 s4, s35, s4
	s_add_i32 s4, s4, s36
	s_add_u32 s5, s20, s37
	s_addc_u32 s4, s21, s4
	s_ashr_i32 s6, s17, 31
	s_mul_i32 s33, s33, s6
	s_add_i32 s6, s34, s33
	s_add_i32 s6, s6, s7
	s_load_dword s8, s[0:1], 0x8c
	s_add_u32 s0, s5, s19
	s_addc_u32 s1, s4, s6
	s_waitcnt lgkmcnt(0)
	s_load_dword s6, s[30:31], 0x0
	s_mov_b64 s[4:5], 0
	s_and_b32 s7, s8, 0xffff
	s_mov_b32 s8, 0x7f800000
	s_mov_b32 s9, 0x43700000
	v_mov_b32_e32 v2, 0xc3700000
.LBB75_12:                              ; =>This Inner Loop Header: Depth=1
	v_ashrrev_i32_e32 v1, 31, v0
	v_lshl_add_u64 v[4:5], v[0:1], 2, s[2:3]
	global_load_ushort v3, v[4:5], off
	s_waitcnt vmcnt(0)
	v_cvt_f32_f16_e32 v3, v3
	s_waitcnt lgkmcnt(0)
	v_div_scale_f32 v4, s[10:11], s6, s6, v3
	v_rcp_f32_e32 v5, v4
	v_div_scale_f32 v6, vcc, v3, s6, v3
	v_fma_f32 v7, -v4, v5, 1.0
	v_fmac_f32_e32 v5, v7, v5
	v_mul_f32_e32 v7, v6, v5
	v_fma_f32 v8, -v4, v7, v6
	v_fmac_f32_e32 v7, v8, v5
	v_fma_f32 v4, -v4, v7, v6
	v_div_fmas_f32 v4, v4, v5, v7
	v_div_fixup_f32 v3, v4, s6, v3
	v_cvt_f16_f32_e32 v3, v3
	v_mov_b32_e32 v6, 0
	v_cvt_f32_f16_e32 v3, v3
	v_med3_f32 v4, v3, s9, v2
	v_cmp_nlg_f32_e64 vcc, |v3|, s8
	s_nop 1
	v_cndmask_b32_e32 v3, v4, v3, vcc
	v_cvt_pk_fp8_f32 v6, v3, v3
	v_lshl_add_u64 v[4:5], s[0:1], 0, v[0:1]
	v_add_u32_e32 v0, s7, v0
	v_cmp_le_i32_e32 vcc, s18, v0
	s_or_b64 s[4:5], vcc, s[4:5]
	global_store_byte v[4:5], v6, off
	s_andn2_b64 exec, exec, s[4:5]
	s_cbranch_execnz .LBB75_12
.LBB75_13:
	s_endpgm
.LBB75_14:
                                        ; implicit-def: $sgpr6_sgpr7
	s_branch .LBB75_6
	.section	.rodata,"a",@progbits
	.p2align	6, 0x0
	.amdhsa_kernel _ZN4vllm38concat_and_cache_mla_rope_fused_kernelIfN3c104HalfELb0EthLNS_18Fp8KVCacheDataTypeE1EEEvPKlPT_S7_PKS6_PKT0_illlliPT3_S5_iiiiPKf
		.amdhsa_group_segment_fixed_size 0
		.amdhsa_private_segment_fixed_size 0
		.amdhsa_kernarg_size 384
		.amdhsa_user_sgpr_count 2
		.amdhsa_user_sgpr_dispatch_ptr 0
		.amdhsa_user_sgpr_queue_ptr 0
		.amdhsa_user_sgpr_kernarg_segment_ptr 1
		.amdhsa_user_sgpr_dispatch_id 0
		.amdhsa_user_sgpr_kernarg_preload_length 0
		.amdhsa_user_sgpr_kernarg_preload_offset 0
		.amdhsa_user_sgpr_private_segment_size 0
		.amdhsa_uses_dynamic_stack 0
		.amdhsa_enable_private_segment 0
		.amdhsa_system_sgpr_workgroup_id_x 1
		.amdhsa_system_sgpr_workgroup_id_y 0
		.amdhsa_system_sgpr_workgroup_id_z 0
		.amdhsa_system_sgpr_workgroup_info 0
		.amdhsa_system_vgpr_workitem_id 0
		.amdhsa_next_free_vgpr 29
		.amdhsa_next_free_sgpr 43
		.amdhsa_accum_offset 32
		.amdhsa_reserve_vcc 1
		.amdhsa_float_round_mode_32 0
		.amdhsa_float_round_mode_16_64 0
		.amdhsa_float_denorm_mode_32 3
		.amdhsa_float_denorm_mode_16_64 3
		.amdhsa_dx10_clamp 1
		.amdhsa_ieee_mode 1
		.amdhsa_fp16_overflow 0
		.amdhsa_tg_split 0
		.amdhsa_exception_fp_ieee_invalid_op 0
		.amdhsa_exception_fp_denorm_src 0
		.amdhsa_exception_fp_ieee_div_zero 0
		.amdhsa_exception_fp_ieee_overflow 0
		.amdhsa_exception_fp_ieee_underflow 0
		.amdhsa_exception_fp_ieee_inexact 0
		.amdhsa_exception_int_div_zero 0
	.end_amdhsa_kernel
	.section	.text._ZN4vllm38concat_and_cache_mla_rope_fused_kernelIfN3c104HalfELb0EthLNS_18Fp8KVCacheDataTypeE1EEEvPKlPT_S7_PKS6_PKT0_illlliPT3_S5_iiiiPKf,"axG",@progbits,_ZN4vllm38concat_and_cache_mla_rope_fused_kernelIfN3c104HalfELb0EthLNS_18Fp8KVCacheDataTypeE1EEEvPKlPT_S7_PKS6_PKT0_illlliPT3_S5_iiiiPKf,comdat
.Lfunc_end75:
	.size	_ZN4vllm38concat_and_cache_mla_rope_fused_kernelIfN3c104HalfELb0EthLNS_18Fp8KVCacheDataTypeE1EEEvPKlPT_S7_PKS6_PKT0_illlliPT3_S5_iiiiPKf, .Lfunc_end75-_ZN4vllm38concat_and_cache_mla_rope_fused_kernelIfN3c104HalfELb0EthLNS_18Fp8KVCacheDataTypeE1EEEvPKlPT_S7_PKS6_PKT0_illlliPT3_S5_iiiiPKf
                                        ; -- End function
	.section	.AMDGPU.csdata,"",@progbits
; Kernel info:
; codeLenInByte = 2356
; NumSgprs: 49
; NumVgprs: 29
; NumAgprs: 0
; TotalNumVgprs: 29
; ScratchSize: 0
; MemoryBound: 0
; FloatMode: 240
; IeeeMode: 1
; LDSByteSize: 0 bytes/workgroup (compile time only)
; SGPRBlocks: 6
; VGPRBlocks: 3
; NumSGPRsForWavesPerEU: 49
; NumVGPRsForWavesPerEU: 29
; AccumOffset: 32
; Occupancy: 8
; WaveLimiterHint : 1
; COMPUTE_PGM_RSRC2:SCRATCH_EN: 0
; COMPUTE_PGM_RSRC2:USER_SGPR: 2
; COMPUTE_PGM_RSRC2:TRAP_HANDLER: 0
; COMPUTE_PGM_RSRC2:TGID_X_EN: 1
; COMPUTE_PGM_RSRC2:TGID_Y_EN: 0
; COMPUTE_PGM_RSRC2:TGID_Z_EN: 0
; COMPUTE_PGM_RSRC2:TIDIG_COMP_CNT: 0
; COMPUTE_PGM_RSRC3_GFX90A:ACCUM_OFFSET: 7
; COMPUTE_PGM_RSRC3_GFX90A:TG_SPLIT: 0
	.section	.text._ZN4vllm38concat_and_cache_mla_rope_fused_kernelIfN3c108BFloat16ELb1EthLNS_18Fp8KVCacheDataTypeE1EEEvPKlPT_S7_PKS6_PKT0_illlliPT3_S5_iiiiPKf,"axG",@progbits,_ZN4vllm38concat_and_cache_mla_rope_fused_kernelIfN3c108BFloat16ELb1EthLNS_18Fp8KVCacheDataTypeE1EEEvPKlPT_S7_PKS6_PKT0_illlliPT3_S5_iiiiPKf,comdat
	.protected	_ZN4vllm38concat_and_cache_mla_rope_fused_kernelIfN3c108BFloat16ELb1EthLNS_18Fp8KVCacheDataTypeE1EEEvPKlPT_S7_PKS6_PKT0_illlliPT3_S5_iiiiPKf ; -- Begin function _ZN4vllm38concat_and_cache_mla_rope_fused_kernelIfN3c108BFloat16ELb1EthLNS_18Fp8KVCacheDataTypeE1EEEvPKlPT_S7_PKS6_PKT0_illlliPT3_S5_iiiiPKf
	.globl	_ZN4vllm38concat_and_cache_mla_rope_fused_kernelIfN3c108BFloat16ELb1EthLNS_18Fp8KVCacheDataTypeE1EEEvPKlPT_S7_PKS6_PKT0_illlliPT3_S5_iiiiPKf
	.p2align	8
	.type	_ZN4vllm38concat_and_cache_mla_rope_fused_kernelIfN3c108BFloat16ELb1EthLNS_18Fp8KVCacheDataTypeE1EEEvPKlPT_S7_PKS6_PKT0_illlliPT3_S5_iiiiPKf,@function
_ZN4vllm38concat_and_cache_mla_rope_fused_kernelIfN3c108BFloat16ELb1EthLNS_18Fp8KVCacheDataTypeE1EEEvPKlPT_S7_PKS6_PKT0_illlliPT3_S5_iiiiPKf: ; @_ZN4vllm38concat_and_cache_mla_rope_fused_kernelIfN3c108BFloat16ELb1EthLNS_18Fp8KVCacheDataTypeE1EEEvPKlPT_S7_PKS6_PKT0_illlliPT3_S5_iiiiPKf
; %bb.0:
	s_load_dwordx2 s[6:7], s[0:1], 0x60
	s_mov_b32 s3, 0
	s_lshl_b64 s[4:5], s[2:3], 3
	s_waitcnt lgkmcnt(0)
	s_add_u32 s6, s6, s4
	s_addc_u32 s7, s7, s5
	s_load_dwordx2 s[28:29], s[6:7], 0x0
	s_waitcnt lgkmcnt(0)
	v_cmp_lt_i64_e64 s[6:7], s[28:29], 0
	s_and_b64 vcc, exec, s[6:7]
	s_cbranch_vccnz .LBB76_13
; %bb.1:
	s_load_dword s3, s[0:1], 0x28
	s_load_dwordx2 s[6:7], s[0:1], 0x0
	s_load_dwordx4 s[12:15], s[0:1], 0x10
	s_waitcnt lgkmcnt(0)
	s_ashr_i32 s22, s3, 31
	s_add_u32 s16, s6, s4
	s_addc_u32 s17, s7, s5
	s_load_dwordx2 s[18:19], s[16:17], 0x0
	s_load_dwordx2 s[24:25], s[0:1], 0x20
	s_load_dwordx8 s[4:11], s[0:1], 0x30
	s_load_dwordx2 s[20:21], s[0:1], 0x58
	s_load_dword s23, s[0:1], 0x50
	s_waitcnt lgkmcnt(0)
	s_mul_i32 s16, s18, s22
	s_mul_hi_u32 s17, s18, s3
	s_mul_i32 s19, s19, s3
	s_add_i32 s16, s17, s16
	s_add_i32 s27, s16, s19
	s_lshr_b32 s16, s3, 31
	s_mul_i32 s26, s18, s3
	s_add_i32 s3, s3, s16
	s_ashr_i32 s22, s3, 1
	s_mul_i32 s3, s22, s23
	v_cmp_gt_i32_e32 vcc, s3, v0
	s_and_saveexec_b64 s[16:17], vcc
	s_cbranch_execz .LBB76_4
; %bb.2:
	s_load_dwordx2 s[30:31], s[0:1], 0x8
	s_load_dword s34, s[0:1], 0x8c
	s_lshl_b64 s[18:19], s[26:27], 1
	s_add_u32 s18, s24, s18
	s_mul_i32 s5, s2, s5
	s_mul_hi_u32 s33, s2, s4
	s_addc_u32 s19, s25, s19
	s_add_i32 s5, s33, s5
	s_mul_i32 s4, s2, s4
	s_ashr_i32 s23, s22, 31
	s_lshl_b64 s[4:5], s[4:5], 2
	s_waitcnt lgkmcnt(0)
	s_add_u32 s4, s30, s4
	s_addc_u32 s5, s31, s5
	s_abs_i32 s33, s22
	v_cvt_f32_u32_e32 v1, s33
	s_sub_i32 s30, 0, s33
	s_and_b32 s34, s34, 0xffff
	s_sub_i32 s35, 0, s22
	v_rcp_iflag_f32_e32 v1, v1
	s_nop 0
	v_mul_f32_e32 v1, 0x4f7ffffe, v1
	v_cvt_u32_f32_e32 v1, v1
	v_mul_lo_u32 v2, s30, v1
	v_mul_hi_u32 v2, v1, v2
	v_add_u32_e32 v1, v1, v2
	s_mov_b64 s[30:31], 0
	v_mov_b32_e32 v2, v0
.LBB76_3:                               ; =>This Inner Loop Header: Depth=1
	v_sub_u32_e32 v4, 0, v2
	v_max_i32_e32 v4, v2, v4
	v_mul_hi_u32 v5, v4, v1
	v_mul_lo_u32 v6, v5, s33
	v_sub_u32_e32 v4, v4, v6
	v_add_u32_e32 v7, 1, v5
	v_cmp_le_u32_e32 vcc, s33, v4
	v_subrev_u32_e32 v6, s33, v4
	v_ashrrev_i32_e32 v3, 31, v2
	v_cndmask_b32_e32 v5, v5, v7, vcc
	v_cndmask_b32_e32 v4, v4, v6, vcc
	v_add_u32_e32 v6, 1, v5
	v_cmp_le_u32_e32 vcc, s33, v4
	v_xor_b32_e32 v3, s23, v3
	s_nop 0
	v_cndmask_b32_e32 v4, v5, v6, vcc
	v_xor_b32_e32 v4, v4, v3
	v_sub_u32_e32 v3, v4, v3
	v_ashrrev_i32_e32 v8, 31, v3
	v_mad_u64_u32 v[4:5], s[36:37], s35, v3, v[2:3]
	v_mul_lo_u32 v10, v3, s7
	v_mad_u64_u32 v[6:7], s[36:37], v3, s6, 0
	v_mul_lo_u32 v3, v8, s6
	v_ashrrev_i32_e32 v5, 31, v4
	v_add3_u32 v7, v7, v10, v3
	v_lshl_add_u64 v[8:9], v[4:5], 1, s[18:19]
	v_lshl_add_u64 v[6:7], v[6:7], 2, s[4:5]
	;; [unrolled: 1-line block ×3, first 2 shown]
	global_load_ushort v3, v[8:9], off
	global_load_ushort v12, v[10:11], off
	v_lshl_add_u64 v[4:5], v[4:5], 2, v[6:7]
	v_lshl_add_u64 v[6:7], s[22:23], 2, v[4:5]
	global_load_dword v8, v[4:5], off
	global_load_dword v9, v[6:7], off
	v_add_u32_e32 v2, s34, v2
	v_cmp_le_i32_e32 vcc, s3, v2
	s_or_b64 s[30:31], vcc, s[30:31]
	s_waitcnt vmcnt(3)
	v_lshlrev_b32_e32 v3, 16, v3
	s_waitcnt vmcnt(2)
	v_lshlrev_b32_e32 v10, 16, v12
	s_waitcnt vmcnt(1)
	v_mul_f32_e32 v11, v8, v10
	s_waitcnt vmcnt(0)
	v_mul_f32_e32 v10, v9, v10
	v_fmac_f32_e32 v11, v9, v3
	v_fma_f32 v3, v8, v3, -v10
	global_store_dword v[4:5], v3, off
	global_store_dword v[6:7], v11, off
	s_andn2_b64 exec, exec, s[30:31]
	s_cbranch_execnz .LBB76_3
.LBB76_4:
	s_or_b64 exec, exec, s[16:17]
	s_load_dwordx4 s[16:19], s[0:1], 0x68
	s_waitcnt lgkmcnt(0)
	s_ashr_i32 s35, s19, 31
	s_mov_b32 s34, s19
	s_or_b64 s[4:5], s[28:29], s[34:35]
	s_mov_b32 s4, 0
	s_cmp_lg_u64 s[4:5], 0
	s_cbranch_scc0 .LBB76_14
; %bb.5:
	s_add_u32 s4, s34, s35
	s_mov_b32 s6, s35
	s_mov_b32 s7, s35
	s_addc_u32 s5, s35, s35
	s_xor_b64 s[36:37], s[4:5], s[6:7]
	v_cvt_f32_u32_e32 v1, s36
	v_cvt_f32_u32_e32 v2, s37
	s_sub_u32 s3, 0, s36
	s_subb_u32 s4, 0, s37
	v_fmamk_f32 v1, v2, 0x4f800000, v1
	v_rcp_f32_e32 v1, v1
	s_nop 0
	v_mul_f32_e32 v1, 0x5f7ffffc, v1
	v_mul_f32_e32 v2, 0x2f800000, v1
	v_trunc_f32_e32 v2, v2
	v_fmamk_f32 v1, v2, 0xcf800000, v1
	v_cvt_u32_f32_e32 v2, v2
	v_cvt_u32_f32_e32 v1, v1
	v_readfirstlane_b32 s5, v2
	v_readfirstlane_b32 s19, v1
	s_mul_i32 s23, s3, s5
	s_mul_hi_u32 s38, s3, s19
	s_mul_i32 s33, s4, s19
	s_add_i32 s23, s38, s23
	s_add_i32 s23, s23, s33
	s_mul_i32 s39, s3, s19
	s_mul_hi_u32 s33, s19, s23
	s_mul_i32 s38, s19, s23
	s_mul_hi_u32 s19, s19, s39
	s_add_u32 s19, s19, s38
	s_addc_u32 s33, 0, s33
	s_mul_hi_u32 s40, s5, s39
	s_mul_i32 s39, s5, s39
	s_add_u32 s19, s19, s39
	s_mul_hi_u32 s38, s5, s23
	s_addc_u32 s19, s33, s40
	s_addc_u32 s33, s38, 0
	s_mul_i32 s23, s5, s23
	s_add_u32 s19, s19, s23
	s_addc_u32 s23, 0, s33
	v_add_co_u32_e32 v1, vcc, s19, v1
	s_cmp_lg_u64 vcc, 0
	s_addc_u32 s5, s5, s23
	v_readfirstlane_b32 s23, v1
	s_mul_i32 s19, s3, s5
	s_mul_hi_u32 s33, s3, s23
	s_add_i32 s19, s33, s19
	s_mul_i32 s4, s4, s23
	s_add_i32 s19, s19, s4
	s_mul_i32 s3, s3, s23
	s_mul_hi_u32 s33, s5, s3
	s_mul_i32 s38, s5, s3
	s_mul_i32 s40, s23, s19
	s_mul_hi_u32 s3, s23, s3
	s_mul_hi_u32 s39, s23, s19
	s_add_u32 s3, s3, s40
	s_addc_u32 s23, 0, s39
	s_add_u32 s3, s3, s38
	s_mul_hi_u32 s4, s5, s19
	s_addc_u32 s3, s23, s33
	s_addc_u32 s4, s4, 0
	s_mul_i32 s19, s5, s19
	s_add_u32 s3, s3, s19
	s_addc_u32 s4, 0, s4
	v_add_co_u32_e32 v1, vcc, s3, v1
	s_cmp_lg_u64 vcc, 0
	s_addc_u32 s3, s5, s4
	s_ashr_i32 s38, s29, 31
	s_add_u32 s4, s28, s38
	s_mov_b32 s39, s38
	s_addc_u32 s5, s29, s38
	s_xor_b64 s[40:41], s[4:5], s[38:39]
	v_readfirstlane_b32 s19, v1
	s_mul_i32 s5, s40, s3
	s_mul_hi_u32 s23, s40, s19
	s_mul_hi_u32 s4, s40, s3
	s_add_u32 s5, s23, s5
	s_addc_u32 s4, 0, s4
	s_mul_hi_u32 s33, s41, s19
	s_mul_i32 s19, s41, s19
	s_add_u32 s5, s5, s19
	s_mul_hi_u32 s23, s41, s3
	s_addc_u32 s4, s4, s33
	s_addc_u32 s5, s23, 0
	s_mul_i32 s3, s41, s3
	s_add_u32 s3, s4, s3
	s_addc_u32 s19, 0, s5
	s_mul_i32 s4, s36, s19
	s_mul_hi_u32 s5, s36, s3
	s_add_i32 s4, s5, s4
	s_mul_i32 s5, s37, s3
	s_add_i32 s23, s4, s5
	s_mul_i32 s5, s36, s3
	v_mov_b32_e32 v1, s5
	s_sub_i32 s4, s41, s23
	v_sub_co_u32_e32 v1, vcc, s40, v1
	s_cmp_lg_u64 vcc, 0
	s_subb_u32 s33, s4, s37
	v_subrev_co_u32_e64 v2, s[4:5], s36, v1
	s_cmp_lg_u64 s[4:5], 0
	s_subb_u32 s4, s33, 0
	s_cmp_ge_u32 s4, s37
	v_readfirstlane_b32 s33, v2
	s_cselect_b32 s5, -1, 0
	s_cmp_ge_u32 s33, s36
	s_cselect_b32 s33, -1, 0
	s_cmp_eq_u32 s4, s37
	s_cselect_b32 s4, s33, s5
	s_add_u32 s5, s3, 1
	s_addc_u32 s33, s19, 0
	s_add_u32 s40, s3, 2
	s_addc_u32 s42, s19, 0
	s_cmp_lg_u32 s4, 0
	s_cselect_b32 s4, s40, s5
	s_cselect_b32 s5, s42, s33
	s_cmp_lg_u64 vcc, 0
	s_subb_u32 s23, s41, s23
	s_cmp_ge_u32 s23, s37
	v_readfirstlane_b32 s40, v1
	s_cselect_b32 s33, -1, 0
	s_cmp_ge_u32 s40, s36
	s_cselect_b32 s36, -1, 0
	s_cmp_eq_u32 s23, s37
	s_cselect_b32 s23, s36, s33
	s_cmp_lg_u32 s23, 0
	s_cselect_b32 s5, s5, s19
	s_cselect_b32 s4, s4, s3
	s_xor_b64 s[6:7], s[38:39], s[6:7]
	s_xor_b64 s[4:5], s[4:5], s[6:7]
	s_sub_u32 s6, s4, s6
	s_subb_u32 s7, s5, s7
	s_cbranch_execnz .LBB76_7
.LBB76_6:
	v_cvt_f32_u32_e32 v1, s34
	s_sub_i32 s3, 0, s34
	s_mov_b32 s7, 0
	v_rcp_iflag_f32_e32 v1, v1
	s_nop 0
	v_mul_f32_e32 v1, 0x4f7ffffe, v1
	v_cvt_u32_f32_e32 v1, v1
	s_nop 0
	v_readfirstlane_b32 s4, v1
	s_mul_i32 s3, s3, s4
	s_mul_hi_u32 s3, s4, s3
	s_add_i32 s4, s4, s3
	s_mul_hi_u32 s3, s28, s4
	s_mul_i32 s5, s3, s34
	s_sub_i32 s5, s28, s5
	s_add_i32 s4, s3, 1
	s_sub_i32 s6, s5, s34
	s_cmp_ge_u32 s5, s34
	s_cselect_b32 s3, s4, s3
	s_cselect_b32 s5, s6, s5
	s_add_i32 s4, s3, 1
	s_cmp_ge_u32 s5, s34
	s_cselect_b32 s6, s4, s3
.LBB76_7:
	s_mul_i32 s3, s6, s35
	s_mul_hi_u32 s4, s6, s34
	s_load_dwordx2 s[30:31], s[0:1], 0x78
	s_add_i32 s3, s4, s3
	s_mul_i32 s4, s7, s34
	s_add_i32 s3, s3, s4
	s_mul_i32 s4, s6, s34
	s_sub_u32 s33, s28, s4
	s_subb_u32 s3, s29, s3
	v_cmp_gt_i32_e32 vcc, s22, v0
	s_mul_hi_u32 s43, s6, s16
	s_mul_i32 s44, s7, s16
	s_mul_i32 s45, s6, s16
	s_mul_hi_u32 s42, s33, s17
	s_mul_i32 s7, s3, s17
	s_mul_i32 s19, s33, s17
	s_and_saveexec_b64 s[28:29], vcc
	s_cbranch_execz .LBB76_10
; %bb.8:
	s_ashr_i32 s3, s16, 31
	s_ashr_i32 s4, s17, 31
	s_mul_i32 s3, s6, s3
	s_mul_i32 s4, s33, s4
	s_add_i32 s3, s43, s3
	s_add_i32 s4, s42, s4
	s_ashr_i32 s23, s22, 31
	s_add_i32 s3, s3, s44
	s_add_i32 s4, s4, s7
	s_add_u32 s38, s45, s19
	s_load_dword s5, s[0:1], 0x8c
	s_addc_u32 s39, s3, s4
	s_add_u32 s3, s38, s20
	s_addc_u32 s4, s39, s21
	s_ashr_i32 s40, s18, 31
	s_add_u32 s34, s3, s18
	s_addc_u32 s35, s4, s40
	s_waitcnt lgkmcnt(0)
	s_and_b32 s46, s5, 0xffff
	s_lshl_b64 s[4:5], s[26:27], 1
	v_mov_b32_e32 v1, 0
	s_add_u32 s4, s24, s4
	v_lshlrev_b32_e32 v2, 1, v0
	v_mov_b32_e32 v3, v1
	s_addc_u32 s5, s25, s5
	v_lshl_add_u64 v[2:3], s[4:5], 0, v[2:3]
	s_mul_i32 s4, s9, s2
	s_mul_hi_u32 s5, s8, s2
	s_add_i32 s5, s5, s4
	s_mul_i32 s4, s8, s2
	s_lshl_b32 s36, s46, 1
	s_lshl_b64 s[24:25], s[22:23], 1
	s_lshl_b64 s[26:27], s[22:23], 2
	;; [unrolled: 1-line block ×3, first 2 shown]
	s_add_u32 s4, s12, s4
	v_lshlrev_b32_e32 v4, 2, v0
	v_mov_b32_e32 v5, v1
	s_addc_u32 s5, s13, s5
	s_lshl_b32 s8, s46, 2
	v_lshl_add_u64 v[4:5], s[4:5], 0, v[4:5]
	s_add_u32 s4, s38, s22
	s_load_dword s3, s[30:31], 0x0
	s_addc_u32 s5, s39, s23
	s_add_u32 s4, s4, s18
	s_addc_u32 s5, s5, s40
	s_mov_b32 s37, 0
	s_add_u32 s12, s20, s4
	s_mov_b32 s9, s37
	s_addc_u32 s13, s21, s5
	s_mov_b64 s[38:39], 0
	s_mov_b32 s23, 0x7f800000
	s_mov_b32 s47, 0x43700000
	v_mov_b32_e32 v6, 0xc3700000
	s_mov_b64 s[40:41], 0
.LBB76_9:                               ; =>This Inner Loop Header: Depth=1
	global_load_ushort v7, v[2:3], off
	v_lshl_add_u64 v[8:9], v[2:3], 0, s[24:25]
	v_lshl_add_u64 v[10:11], v[4:5], 0, s[26:27]
	global_load_dword v14, v[4:5], off
	global_load_ushort v15, v[8:9], off
	global_load_dword v16, v[10:11], off
	s_add_u32 s40, s40, s46
	v_add_u32_e32 v19, s40, v0
	v_cmp_le_i32_e32 vcc, s22, v19
	s_addc_u32 s41, s41, 0
	v_lshl_add_u64 v[12:13], s[12:13], 0, v[0:1]
	s_add_u32 s12, s12, s46
	s_addc_u32 s13, s13, 0
	v_lshl_add_u64 v[8:9], s[34:35], 0, v[0:1]
	s_add_u32 s34, s34, s46
	s_addc_u32 s35, s35, 0
	s_or_b64 s[38:39], vcc, s[38:39]
	v_mov_b32_e32 v17, 0
	v_mov_b32_e32 v18, 0
	v_lshl_add_u64 v[2:3], v[2:3], 0, s[36:37]
	s_waitcnt vmcnt(3)
	v_lshlrev_b32_e32 v7, 16, v7
	s_waitcnt vmcnt(1)
	v_lshlrev_b32_e32 v15, 16, v15
	s_waitcnt vmcnt(0)
	v_mul_f32_e32 v19, v16, v15
	v_mul_f32_e32 v15, v14, v15
	v_fma_f32 v14, v14, v7, -v19
	v_fmac_f32_e32 v15, v16, v7
	v_cvt_f32_f16_e32 v7, v14
	global_store_dword v[4:5], v14, off
	v_cvt_f32_f16_e32 v14, v15
	v_lshl_add_u64 v[4:5], v[4:5], 0, s[8:9]
	s_waitcnt lgkmcnt(0)
	v_div_scale_f32 v16, s[4:5], s3, s3, v7
	v_div_scale_f32 v20, s[4:5], s3, s3, v14
	v_rcp_f32_e32 v22, v16
	v_rcp_f32_e32 v23, v20
	v_div_scale_f32 v19, vcc, v7, s3, v7
	v_fma_f32 v24, -v16, v22, 1.0
	v_fma_f32 v25, -v20, v23, 1.0
	v_fmac_f32_e32 v22, v24, v22
	v_div_scale_f32 v21, s[4:5], v14, s3, v14
	v_fmac_f32_e32 v23, v25, v23
	v_mul_f32_e32 v24, v19, v22
	v_mul_f32_e32 v25, v21, v23
	v_fma_f32 v26, -v16, v24, v19
	v_fma_f32 v27, -v20, v25, v21
	v_fmac_f32_e32 v24, v26, v22
	v_fmac_f32_e32 v25, v27, v23
	v_fma_f32 v16, -v16, v24, v19
	v_fma_f32 v19, -v20, v25, v21
	v_div_fmas_f32 v16, v16, v22, v24
	s_mov_b64 vcc, s[4:5]
	v_div_fixup_f32 v7, v16, s3, v7
	v_div_fmas_f32 v16, v19, v23, v25
	v_cvt_f16_f32_e32 v7, v7
	v_div_fixup_f32 v14, v16, s3, v14
	v_cvt_f16_f32_e32 v14, v14
	global_store_dword v[10:11], v15, off
	v_cvt_f32_f16_e32 v7, v7
	v_cvt_f32_f16_e32 v14, v14
	v_med3_f32 v16, v7, s47, v6
	v_cmp_nlg_f32_e64 vcc, |v7|, s23
	s_nop 1
	v_cndmask_b32_e32 v7, v16, v7, vcc
	v_med3_f32 v16, v14, s47, v6
	v_cmp_nlg_f32_e64 vcc, |v14|, s23
	v_cvt_pk_fp8_f32 v17, v7, v7
	s_nop 0
	v_cndmask_b32_e32 v7, v16, v14, vcc
	v_cvt_pk_fp8_f32 v18, v7, v7
	global_store_byte v[8:9], v17, off
	global_store_byte v[12:13], v18, off
	s_andn2_b64 exec, exec, s[38:39]
	s_cbranch_execnz .LBB76_9
.LBB76_10:
	s_or_b64 exec, exec, s[28:29]
	v_cmp_gt_i32_e32 vcc, s18, v0
	s_and_saveexec_b64 s[4:5], vcc
	s_cbranch_execz .LBB76_13
; %bb.11:
	s_mul_i32 s3, s2, s11
	s_mul_hi_u32 s4, s2, s10
	s_add_i32 s3, s4, s3
	s_mul_i32 s2, s2, s10
	s_lshl_b64 s[2:3], s[2:3], 2
	s_add_u32 s2, s14, s2
	s_addc_u32 s3, s15, s3
	s_ashr_i32 s4, s16, 31
	s_mul_i32 s4, s6, s4
	s_add_i32 s4, s43, s4
	s_add_i32 s4, s4, s44
	s_add_u32 s5, s20, s45
	s_addc_u32 s4, s21, s4
	s_ashr_i32 s6, s17, 31
	s_mul_i32 s33, s33, s6
	s_add_i32 s6, s42, s33
	s_add_i32 s6, s6, s7
	s_load_dword s8, s[0:1], 0x8c
	s_add_u32 s0, s5, s19
	s_addc_u32 s1, s4, s6
	s_waitcnt lgkmcnt(0)
	s_load_dword s6, s[30:31], 0x0
	s_mov_b64 s[4:5], 0
	s_and_b32 s7, s8, 0xffff
	s_mov_b32 s8, 0x7f800000
	s_mov_b32 s9, 0x43700000
	v_mov_b32_e32 v2, 0xc3700000
.LBB76_12:                              ; =>This Inner Loop Header: Depth=1
	v_ashrrev_i32_e32 v1, 31, v0
	v_lshl_add_u64 v[4:5], v[0:1], 2, s[2:3]
	global_load_ushort v3, v[4:5], off
	s_waitcnt vmcnt(0)
	v_cvt_f32_f16_e32 v3, v3
	s_waitcnt lgkmcnt(0)
	v_div_scale_f32 v4, s[10:11], s6, s6, v3
	v_rcp_f32_e32 v5, v4
	v_div_scale_f32 v6, vcc, v3, s6, v3
	v_fma_f32 v7, -v4, v5, 1.0
	v_fmac_f32_e32 v5, v7, v5
	v_mul_f32_e32 v7, v6, v5
	v_fma_f32 v8, -v4, v7, v6
	v_fmac_f32_e32 v7, v8, v5
	v_fma_f32 v4, -v4, v7, v6
	v_div_fmas_f32 v4, v4, v5, v7
	v_div_fixup_f32 v3, v4, s6, v3
	v_cvt_f16_f32_e32 v3, v3
	v_mov_b32_e32 v6, 0
	v_cvt_f32_f16_e32 v3, v3
	v_med3_f32 v4, v3, s9, v2
	v_cmp_nlg_f32_e64 vcc, |v3|, s8
	s_nop 1
	v_cndmask_b32_e32 v3, v4, v3, vcc
	v_cvt_pk_fp8_f32 v6, v3, v3
	v_lshl_add_u64 v[4:5], s[0:1], 0, v[0:1]
	v_add_u32_e32 v0, s7, v0
	v_cmp_le_i32_e32 vcc, s18, v0
	s_or_b64 s[4:5], vcc, s[4:5]
	global_store_byte v[4:5], v6, off
	s_andn2_b64 exec, exec, s[4:5]
	s_cbranch_execnz .LBB76_12
.LBB76_13:
	s_endpgm
.LBB76_14:
                                        ; implicit-def: $sgpr6_sgpr7
	s_branch .LBB76_6
	.section	.rodata,"a",@progbits
	.p2align	6, 0x0
	.amdhsa_kernel _ZN4vllm38concat_and_cache_mla_rope_fused_kernelIfN3c108BFloat16ELb1EthLNS_18Fp8KVCacheDataTypeE1EEEvPKlPT_S7_PKS6_PKT0_illlliPT3_S5_iiiiPKf
		.amdhsa_group_segment_fixed_size 0
		.amdhsa_private_segment_fixed_size 0
		.amdhsa_kernarg_size 384
		.amdhsa_user_sgpr_count 2
		.amdhsa_user_sgpr_dispatch_ptr 0
		.amdhsa_user_sgpr_queue_ptr 0
		.amdhsa_user_sgpr_kernarg_segment_ptr 1
		.amdhsa_user_sgpr_dispatch_id 0
		.amdhsa_user_sgpr_kernarg_preload_length 0
		.amdhsa_user_sgpr_kernarg_preload_offset 0
		.amdhsa_user_sgpr_private_segment_size 0
		.amdhsa_uses_dynamic_stack 0
		.amdhsa_enable_private_segment 0
		.amdhsa_system_sgpr_workgroup_id_x 1
		.amdhsa_system_sgpr_workgroup_id_y 0
		.amdhsa_system_sgpr_workgroup_id_z 0
		.amdhsa_system_sgpr_workgroup_info 0
		.amdhsa_system_vgpr_workitem_id 0
		.amdhsa_next_free_vgpr 28
		.amdhsa_next_free_sgpr 48
		.amdhsa_accum_offset 28
		.amdhsa_reserve_vcc 1
		.amdhsa_float_round_mode_32 0
		.amdhsa_float_round_mode_16_64 0
		.amdhsa_float_denorm_mode_32 3
		.amdhsa_float_denorm_mode_16_64 3
		.amdhsa_dx10_clamp 1
		.amdhsa_ieee_mode 1
		.amdhsa_fp16_overflow 0
		.amdhsa_tg_split 0
		.amdhsa_exception_fp_ieee_invalid_op 0
		.amdhsa_exception_fp_denorm_src 0
		.amdhsa_exception_fp_ieee_div_zero 0
		.amdhsa_exception_fp_ieee_overflow 0
		.amdhsa_exception_fp_ieee_underflow 0
		.amdhsa_exception_fp_ieee_inexact 0
		.amdhsa_exception_int_div_zero 0
	.end_amdhsa_kernel
	.section	.text._ZN4vllm38concat_and_cache_mla_rope_fused_kernelIfN3c108BFloat16ELb1EthLNS_18Fp8KVCacheDataTypeE1EEEvPKlPT_S7_PKS6_PKT0_illlliPT3_S5_iiiiPKf,"axG",@progbits,_ZN4vllm38concat_and_cache_mla_rope_fused_kernelIfN3c108BFloat16ELb1EthLNS_18Fp8KVCacheDataTypeE1EEEvPKlPT_S7_PKS6_PKT0_illlliPT3_S5_iiiiPKf,comdat
.Lfunc_end76:
	.size	_ZN4vllm38concat_and_cache_mla_rope_fused_kernelIfN3c108BFloat16ELb1EthLNS_18Fp8KVCacheDataTypeE1EEEvPKlPT_S7_PKS6_PKT0_illlliPT3_S5_iiiiPKf, .Lfunc_end76-_ZN4vllm38concat_and_cache_mla_rope_fused_kernelIfN3c108BFloat16ELb1EthLNS_18Fp8KVCacheDataTypeE1EEEvPKlPT_S7_PKS6_PKT0_illlliPT3_S5_iiiiPKf
                                        ; -- End function
	.section	.AMDGPU.csdata,"",@progbits
; Kernel info:
; codeLenInByte = 2400
; NumSgprs: 54
; NumVgprs: 28
; NumAgprs: 0
; TotalNumVgprs: 28
; ScratchSize: 0
; MemoryBound: 0
; FloatMode: 240
; IeeeMode: 1
; LDSByteSize: 0 bytes/workgroup (compile time only)
; SGPRBlocks: 6
; VGPRBlocks: 3
; NumSGPRsForWavesPerEU: 54
; NumVGPRsForWavesPerEU: 28
; AccumOffset: 28
; Occupancy: 8
; WaveLimiterHint : 1
; COMPUTE_PGM_RSRC2:SCRATCH_EN: 0
; COMPUTE_PGM_RSRC2:USER_SGPR: 2
; COMPUTE_PGM_RSRC2:TRAP_HANDLER: 0
; COMPUTE_PGM_RSRC2:TGID_X_EN: 1
; COMPUTE_PGM_RSRC2:TGID_Y_EN: 0
; COMPUTE_PGM_RSRC2:TGID_Z_EN: 0
; COMPUTE_PGM_RSRC2:TIDIG_COMP_CNT: 0
; COMPUTE_PGM_RSRC3_GFX90A:ACCUM_OFFSET: 6
; COMPUTE_PGM_RSRC3_GFX90A:TG_SPLIT: 0
	.section	.text._ZN4vllm38concat_and_cache_mla_rope_fused_kernelIfN3c108BFloat16ELb0EthLNS_18Fp8KVCacheDataTypeE1EEEvPKlPT_S7_PKS6_PKT0_illlliPT3_S5_iiiiPKf,"axG",@progbits,_ZN4vllm38concat_and_cache_mla_rope_fused_kernelIfN3c108BFloat16ELb0EthLNS_18Fp8KVCacheDataTypeE1EEEvPKlPT_S7_PKS6_PKT0_illlliPT3_S5_iiiiPKf,comdat
	.protected	_ZN4vllm38concat_and_cache_mla_rope_fused_kernelIfN3c108BFloat16ELb0EthLNS_18Fp8KVCacheDataTypeE1EEEvPKlPT_S7_PKS6_PKT0_illlliPT3_S5_iiiiPKf ; -- Begin function _ZN4vllm38concat_and_cache_mla_rope_fused_kernelIfN3c108BFloat16ELb0EthLNS_18Fp8KVCacheDataTypeE1EEEvPKlPT_S7_PKS6_PKT0_illlliPT3_S5_iiiiPKf
	.globl	_ZN4vllm38concat_and_cache_mla_rope_fused_kernelIfN3c108BFloat16ELb0EthLNS_18Fp8KVCacheDataTypeE1EEEvPKlPT_S7_PKS6_PKT0_illlliPT3_S5_iiiiPKf
	.p2align	8
	.type	_ZN4vllm38concat_and_cache_mla_rope_fused_kernelIfN3c108BFloat16ELb0EthLNS_18Fp8KVCacheDataTypeE1EEEvPKlPT_S7_PKS6_PKT0_illlliPT3_S5_iiiiPKf,@function
_ZN4vllm38concat_and_cache_mla_rope_fused_kernelIfN3c108BFloat16ELb0EthLNS_18Fp8KVCacheDataTypeE1EEEvPKlPT_S7_PKS6_PKT0_illlliPT3_S5_iiiiPKf: ; @_ZN4vllm38concat_and_cache_mla_rope_fused_kernelIfN3c108BFloat16ELb0EthLNS_18Fp8KVCacheDataTypeE1EEEvPKlPT_S7_PKS6_PKT0_illlliPT3_S5_iiiiPKf
; %bb.0:
	s_load_dwordx2 s[6:7], s[0:1], 0x60
	s_mov_b32 s3, 0
	s_lshl_b64 s[4:5], s[2:3], 3
	s_waitcnt lgkmcnt(0)
	s_add_u32 s6, s6, s4
	s_addc_u32 s7, s7, s5
	s_load_dwordx2 s[26:27], s[6:7], 0x0
	s_waitcnt lgkmcnt(0)
	v_cmp_lt_i64_e64 s[6:7], s[26:27], 0
	s_and_b64 vcc, exec, s[6:7]
	s_cbranch_vccnz .LBB77_13
; %bb.1:
	s_load_dword s3, s[0:1], 0x28
	s_load_dwordx2 s[6:7], s[0:1], 0x0
	s_load_dwordx4 s[12:15], s[0:1], 0x10
	v_lshlrev_b32_e32 v2, 1, v0
	s_waitcnt lgkmcnt(0)
	s_ashr_i32 s22, s3, 31
	s_add_u32 s16, s6, s4
	s_addc_u32 s17, s7, s5
	s_load_dwordx2 s[18:19], s[16:17], 0x0
	s_load_dwordx2 s[24:25], s[0:1], 0x20
	s_load_dwordx8 s[4:11], s[0:1], 0x30
	s_load_dwordx2 s[20:21], s[0:1], 0x58
	s_load_dword s23, s[0:1], 0x50
	s_waitcnt lgkmcnt(0)
	s_mul_i32 s16, s18, s22
	s_mul_hi_u32 s17, s18, s3
	s_mul_i32 s19, s19, s3
	s_add_i32 s16, s17, s16
	s_add_i32 s29, s16, s19
	s_lshr_b32 s16, s3, 31
	s_mul_i32 s28, s18, s3
	s_add_i32 s3, s3, s16
	s_ashr_i32 s22, s3, 1
	s_mul_i32 s3, s22, s23
	v_cmp_gt_i32_e32 vcc, s3, v0
	s_and_saveexec_b64 s[16:17], vcc
	s_cbranch_execz .LBB77_4
; %bb.2:
	s_load_dwordx2 s[30:31], s[0:1], 0x8
	s_load_dword s34, s[0:1], 0x8c
	s_lshl_b64 s[18:19], s[28:29], 1
	s_add_u32 s18, s24, s18
	s_mul_i32 s5, s2, s5
	s_mul_hi_u32 s33, s2, s4
	s_addc_u32 s19, s25, s19
	s_add_i32 s5, s33, s5
	s_mul_i32 s4, s2, s4
	s_ashr_i32 s23, s22, 31
	s_lshl_b64 s[4:5], s[4:5], 2
	s_waitcnt lgkmcnt(0)
	s_add_u32 s4, s30, s4
	s_addc_u32 s5, s31, s5
	s_abs_i32 s33, s22
	v_cvt_f32_u32_e32 v1, s33
	s_sub_i32 s30, 0, s33
	s_and_b32 s34, s34, 0xffff
	s_sub_i32 s35, 0, s22
	v_rcp_iflag_f32_e32 v1, v1
	s_lshl_b32 s37, s34, 1
	v_mov_b32_e32 v4, v2
	v_mov_b32_e32 v6, v0
	v_mul_f32_e32 v1, 0x4f7ffffe, v1
	v_cvt_u32_f32_e32 v1, v1
	v_mul_lo_u32 v3, s30, v1
	v_mul_hi_u32 v3, v1, v3
	s_lshl_b32 s30, s22, 1
	v_add_u32_e32 v1, v1, v3
	s_sub_i32 s36, 0, s30
	s_mov_b64 s[30:31], 0
.LBB77_3:                               ; =>This Inner Loop Header: Depth=1
	v_sub_u32_e32 v5, 0, v6
	v_max_i32_e32 v5, v6, v5
	v_mul_hi_u32 v7, v5, v1
	v_mul_lo_u32 v8, v7, s33
	v_sub_u32_e32 v5, v5, v8
	v_add_u32_e32 v9, 1, v7
	v_cmp_le_u32_e32 vcc, s33, v5
	v_subrev_u32_e32 v8, s33, v5
	v_ashrrev_i32_e32 v3, 31, v6
	v_cndmask_b32_e32 v7, v7, v9, vcc
	v_cndmask_b32_e32 v5, v5, v8, vcc
	v_add_u32_e32 v8, 1, v7
	v_cmp_le_u32_e32 vcc, s33, v5
	v_xor_b32_e32 v3, s23, v3
	s_nop 0
	v_cndmask_b32_e32 v5, v7, v8, vcc
	v_xor_b32_e32 v5, v5, v3
	v_sub_u32_e32 v3, v5, v3
	v_ashrrev_i32_e32 v5, 31, v3
	v_mad_u64_u32 v[8:9], s[38:39], s35, v3, v[6:7]
	v_mul_lo_u32 v7, v3, s7
	v_mad_u64_u32 v[10:11], s[38:39], v3, s6, 0
	v_mad_u64_u32 v[12:13], s[38:39], s36, v3, v[4:5]
	v_mul_lo_u32 v3, v5, s6
	v_ashrrev_i32_e32 v9, 31, v8
	v_add3_u32 v11, v11, v7, v3
	v_ashrrev_i32_e32 v13, 31, v12
	v_lshl_add_u64 v[8:9], v[8:9], 1, s[18:19]
	v_lshl_add_u64 v[10:11], v[10:11], 2, s[4:5]
	v_lshl_add_u64 v[14:15], s[22:23], 1, v[8:9]
	global_load_ushort v3, v[8:9], off
	global_load_ushort v5, v[14:15], off
	v_lshl_add_u64 v[8:9], v[12:13], 2, v[10:11]
	global_load_dwordx2 v[10:11], v[8:9], off
	v_add_u32_e32 v6, s34, v6
	v_cmp_le_i32_e32 vcc, s3, v6
	v_add_u32_e32 v4, s37, v4
	s_or_b64 s[30:31], vcc, s[30:31]
	s_waitcnt vmcnt(2)
	v_lshlrev_b32_e32 v3, 16, v3
	s_waitcnt vmcnt(1)
	v_lshlrev_b32_e32 v5, 16, v5
	s_waitcnt vmcnt(0)
	v_mul_f32_e32 v7, v11, v5
	v_mul_f32_e32 v13, v10, v5
	v_fma_f32 v12, v10, v3, -v7
	v_fmac_f32_e32 v13, v11, v3
	global_store_dwordx2 v[8:9], v[12:13], off
	s_andn2_b64 exec, exec, s[30:31]
	s_cbranch_execnz .LBB77_3
.LBB77_4:
	s_or_b64 exec, exec, s[16:17]
	s_load_dwordx4 s[16:19], s[0:1], 0x68
	s_waitcnt lgkmcnt(0)
	s_ashr_i32 s35, s19, 31
	s_mov_b32 s34, s19
	s_or_b64 s[4:5], s[26:27], s[34:35]
	s_mov_b32 s4, 0
	s_cmp_lg_u64 s[4:5], 0
	s_cbranch_scc0 .LBB77_14
; %bb.5:
	s_add_u32 s4, s34, s35
	s_mov_b32 s6, s35
	s_mov_b32 s7, s35
	s_addc_u32 s5, s35, s35
	s_xor_b64 s[36:37], s[4:5], s[6:7]
	v_cvt_f32_u32_e32 v1, s36
	v_cvt_f32_u32_e32 v3, s37
	s_sub_u32 s3, 0, s36
	s_subb_u32 s4, 0, s37
	v_fmamk_f32 v1, v3, 0x4f800000, v1
	v_rcp_f32_e32 v1, v1
	s_nop 0
	v_mul_f32_e32 v1, 0x5f7ffffc, v1
	v_mul_f32_e32 v3, 0x2f800000, v1
	v_trunc_f32_e32 v3, v3
	v_fmamk_f32 v1, v3, 0xcf800000, v1
	v_cvt_u32_f32_e32 v3, v3
	v_cvt_u32_f32_e32 v1, v1
	v_readfirstlane_b32 s5, v3
	v_readfirstlane_b32 s19, v1
	s_mul_i32 s23, s3, s5
	s_mul_hi_u32 s38, s3, s19
	s_mul_i32 s33, s4, s19
	s_add_i32 s23, s38, s23
	s_add_i32 s23, s23, s33
	s_mul_i32 s39, s3, s19
	s_mul_hi_u32 s33, s19, s23
	s_mul_i32 s38, s19, s23
	s_mul_hi_u32 s19, s19, s39
	s_add_u32 s19, s19, s38
	s_addc_u32 s33, 0, s33
	s_mul_hi_u32 s40, s5, s39
	s_mul_i32 s39, s5, s39
	s_add_u32 s19, s19, s39
	s_mul_hi_u32 s38, s5, s23
	s_addc_u32 s19, s33, s40
	s_addc_u32 s33, s38, 0
	s_mul_i32 s23, s5, s23
	s_add_u32 s19, s19, s23
	s_addc_u32 s23, 0, s33
	v_add_co_u32_e32 v1, vcc, s19, v1
	s_cmp_lg_u64 vcc, 0
	s_addc_u32 s5, s5, s23
	v_readfirstlane_b32 s23, v1
	s_mul_i32 s19, s3, s5
	s_mul_hi_u32 s33, s3, s23
	s_add_i32 s19, s33, s19
	s_mul_i32 s4, s4, s23
	s_add_i32 s19, s19, s4
	s_mul_i32 s3, s3, s23
	s_mul_hi_u32 s33, s5, s3
	s_mul_i32 s38, s5, s3
	s_mul_i32 s40, s23, s19
	s_mul_hi_u32 s3, s23, s3
	s_mul_hi_u32 s39, s23, s19
	s_add_u32 s3, s3, s40
	s_addc_u32 s23, 0, s39
	s_add_u32 s3, s3, s38
	s_mul_hi_u32 s4, s5, s19
	s_addc_u32 s3, s23, s33
	s_addc_u32 s4, s4, 0
	s_mul_i32 s19, s5, s19
	s_add_u32 s3, s3, s19
	s_addc_u32 s4, 0, s4
	v_add_co_u32_e32 v1, vcc, s3, v1
	s_cmp_lg_u64 vcc, 0
	s_addc_u32 s3, s5, s4
	s_ashr_i32 s38, s27, 31
	s_add_u32 s4, s26, s38
	s_mov_b32 s39, s38
	s_addc_u32 s5, s27, s38
	s_xor_b64 s[40:41], s[4:5], s[38:39]
	v_readfirstlane_b32 s19, v1
	s_mul_i32 s5, s40, s3
	s_mul_hi_u32 s23, s40, s19
	s_mul_hi_u32 s4, s40, s3
	s_add_u32 s5, s23, s5
	s_addc_u32 s4, 0, s4
	s_mul_hi_u32 s33, s41, s19
	s_mul_i32 s19, s41, s19
	s_add_u32 s5, s5, s19
	s_mul_hi_u32 s23, s41, s3
	s_addc_u32 s4, s4, s33
	s_addc_u32 s5, s23, 0
	s_mul_i32 s3, s41, s3
	s_add_u32 s3, s4, s3
	s_addc_u32 s19, 0, s5
	s_mul_i32 s4, s36, s19
	s_mul_hi_u32 s5, s36, s3
	s_add_i32 s4, s5, s4
	s_mul_i32 s5, s37, s3
	s_add_i32 s23, s4, s5
	s_mul_i32 s5, s36, s3
	v_mov_b32_e32 v1, s5
	s_sub_i32 s4, s41, s23
	v_sub_co_u32_e32 v1, vcc, s40, v1
	s_cmp_lg_u64 vcc, 0
	s_subb_u32 s33, s4, s37
	v_subrev_co_u32_e64 v3, s[4:5], s36, v1
	s_cmp_lg_u64 s[4:5], 0
	s_subb_u32 s4, s33, 0
	s_cmp_ge_u32 s4, s37
	v_readfirstlane_b32 s33, v3
	s_cselect_b32 s5, -1, 0
	s_cmp_ge_u32 s33, s36
	s_cselect_b32 s33, -1, 0
	s_cmp_eq_u32 s4, s37
	s_cselect_b32 s4, s33, s5
	s_add_u32 s5, s3, 1
	s_addc_u32 s33, s19, 0
	s_add_u32 s40, s3, 2
	s_addc_u32 s42, s19, 0
	s_cmp_lg_u32 s4, 0
	s_cselect_b32 s4, s40, s5
	s_cselect_b32 s5, s42, s33
	s_cmp_lg_u64 vcc, 0
	s_subb_u32 s23, s41, s23
	s_cmp_ge_u32 s23, s37
	v_readfirstlane_b32 s40, v1
	s_cselect_b32 s33, -1, 0
	s_cmp_ge_u32 s40, s36
	s_cselect_b32 s36, -1, 0
	s_cmp_eq_u32 s23, s37
	s_cselect_b32 s23, s36, s33
	s_cmp_lg_u32 s23, 0
	s_cselect_b32 s5, s5, s19
	s_cselect_b32 s4, s4, s3
	s_xor_b64 s[6:7], s[38:39], s[6:7]
	s_xor_b64 s[4:5], s[4:5], s[6:7]
	s_sub_u32 s6, s4, s6
	s_subb_u32 s7, s5, s7
	s_cbranch_execnz .LBB77_7
.LBB77_6:
	v_cvt_f32_u32_e32 v1, s34
	s_sub_i32 s3, 0, s34
	s_mov_b32 s7, 0
	v_rcp_iflag_f32_e32 v1, v1
	s_nop 0
	v_mul_f32_e32 v1, 0x4f7ffffe, v1
	v_cvt_u32_f32_e32 v1, v1
	s_nop 0
	v_readfirstlane_b32 s4, v1
	s_mul_i32 s3, s3, s4
	s_mul_hi_u32 s3, s4, s3
	s_add_i32 s4, s4, s3
	s_mul_hi_u32 s3, s26, s4
	s_mul_i32 s5, s3, s34
	s_sub_i32 s5, s26, s5
	s_add_i32 s4, s3, 1
	s_sub_i32 s6, s5, s34
	s_cmp_ge_u32 s5, s34
	s_cselect_b32 s3, s4, s3
	s_cselect_b32 s5, s6, s5
	s_add_i32 s4, s3, 1
	s_cmp_ge_u32 s5, s34
	s_cselect_b32 s6, s4, s3
.LBB77_7:
	s_mul_i32 s3, s6, s35
	s_mul_hi_u32 s4, s6, s34
	s_load_dwordx2 s[30:31], s[0:1], 0x78
	s_add_i32 s3, s4, s3
	s_mul_i32 s4, s7, s34
	s_add_i32 s3, s3, s4
	s_mul_i32 s4, s6, s34
	s_sub_u32 s33, s26, s4
	s_subb_u32 s3, s27, s3
	v_cmp_gt_i32_e32 vcc, s22, v0
	s_mul_hi_u32 s35, s6, s16
	s_mul_i32 s36, s7, s16
	s_mul_i32 s37, s6, s16
	s_mul_hi_u32 s34, s33, s17
	s_mul_i32 s7, s3, s17
	s_mul_i32 s19, s33, s17
	s_and_saveexec_b64 s[26:27], vcc
	s_cbranch_execz .LBB77_10
; %bb.8:
	s_ashr_i32 s3, s16, 31
	s_mul_i32 s3, s6, s3
	s_load_dword s4, s[0:1], 0x8c
	s_add_i32 s3, s35, s3
	s_add_i32 s39, s3, s36
	s_ashr_i32 s3, s17, 31
	s_mul_i32 s3, s33, s3
	s_add_i32 s3, s34, s3
	s_ashr_i32 s23, s22, 31
	s_add_i32 s40, s3, s7
	s_ashr_i32 s41, s18, 31
	s_waitcnt lgkmcnt(0)
	s_and_b32 s38, s4, 0xffff
	s_lshl_b64 s[4:5], s[28:29], 1
	s_add_u32 s4, s24, s4
	v_mov_b32_e32 v3, 0
	s_addc_u32 s5, s25, s5
	v_lshl_add_u64 v[4:5], s[4:5], 0, v[2:3]
	s_mul_i32 s4, s9, s2
	s_mul_hi_u32 s5, s8, s2
	s_add_i32 s5, s5, s4
	s_mul_i32 s4, s8, s2
	s_lshl_b32 s28, s38, 1
	s_lshl_b64 s[24:25], s[22:23], 1
	s_lshl_b64 s[4:5], s[4:5], 2
	s_add_u32 s4, s12, s4
	v_lshlrev_b32_e32 v6, 3, v0
	v_mov_b32_e32 v7, v3
	s_addc_u32 s5, s13, s5
	s_lshl_b32 s8, s38, 3
	v_lshl_add_u64 v[6:7], s[4:5], 0, v[6:7]
	s_add_u32 s4, s37, s19
	s_addc_u32 s5, s39, s40
	s_add_u32 s12, s20, s18
	s_load_dword s3, s[30:31], 0x0
	s_addc_u32 s13, s21, s41
	s_add_u32 s4, s12, s4
	s_addc_u32 s5, s13, s5
	s_mov_b32 s29, 0
	v_lshl_add_u64 v[2:3], s[4:5], 0, v[2:3]
	v_lshl_add_u64 v[6:7], v[6:7], 0, 4
	s_mov_b32 s9, s29
	v_lshl_add_u64 v[2:3], v[2:3], 0, 1
	s_mov_b64 s[12:13], 0
	s_mov_b32 s23, 0x7f800000
	s_mov_b32 s39, 0x43700000
	v_mov_b32_e32 v1, 0xc3700000
	v_mov_b32_e32 v8, v0
.LBB77_9:                               ; =>This Inner Loop Header: Depth=1
	v_lshl_add_u64 v[10:11], v[4:5], 0, s[24:25]
	global_load_ushort v9, v[4:5], off
	global_load_dwordx2 v[12:13], v[6:7], off offset:-4
	global_load_ushort v15, v[10:11], off
	v_mov_b32_e32 v17, 0
	v_add_u32_e32 v8, s38, v8
	v_cmp_le_i32_e32 vcc, s22, v8
	s_or_b64 s[12:13], vcc, s[12:13]
	v_mov_b32_e32 v20, 0
	v_lshl_add_u64 v[4:5], v[4:5], 0, s[28:29]
	s_waitcnt vmcnt(2)
	v_lshlrev_b32_e32 v11, 16, v9
	s_waitcnt vmcnt(1)
	v_mov_b32_e32 v14, v13
	s_waitcnt vmcnt(0)
	v_lshlrev_b32_e32 v10, 16, v15
	v_mov_b32_e32 v16, v11
	v_pk_mul_f32 v[14:15], v[14:15], v[10:11]
	v_pk_mul_f32 v[18:19], v[12:13], v[10:11]
	v_pk_fma_f32 v[14:15], v[12:13], v[16:17], v[14:15] op_sel_hi:[1,0,1] neg_lo:[0,0,1] neg_hi:[0,0,1]
	v_mov_b32_e32 v16, v19
	v_pk_fma_f32 v[10:11], v[12:13], v[10:11], v[16:17]
	v_cvt_f32_f16_e32 v9, v14
	v_mov_b32_e32 v15, v10
	v_cvt_f32_f16_e32 v10, v10
	global_store_dwordx2 v[6:7], v[14:15], off offset:-4
	s_waitcnt lgkmcnt(0)
	v_div_scale_f32 v11, s[4:5], s3, s3, v9
	v_rcp_f32_e32 v13, v11
	v_div_scale_f32 v14, s[4:5], s3, s3, v10
	v_rcp_f32_e32 v16, v14
	v_fma_f32 v18, -v11, v13, 1.0
	v_div_scale_f32 v12, vcc, v9, s3, v9
	v_fmac_f32_e32 v13, v18, v13
	v_fma_f32 v18, -v14, v16, 1.0
	v_div_scale_f32 v15, s[4:5], v10, s3, v10
	v_mul_f32_e32 v19, v12, v13
	v_fmac_f32_e32 v16, v18, v16
	v_fma_f32 v18, -v11, v19, v12
	v_mul_f32_e32 v21, v15, v16
	v_fmac_f32_e32 v19, v18, v13
	v_fma_f32 v18, -v14, v21, v15
	v_fma_f32 v11, -v11, v19, v12
	v_fmac_f32_e32 v21, v18, v16
	v_div_fmas_f32 v11, v11, v13, v19
	v_fma_f32 v12, -v14, v21, v15
	s_mov_b64 vcc, s[4:5]
	v_div_fixup_f32 v9, v11, s3, v9
	v_div_fmas_f32 v11, v12, v16, v21
	v_cvt_f16_f32_e32 v9, v9
	v_div_fixup_f32 v10, v11, s3, v10
	v_cvt_f16_f32_e32 v10, v10
	v_lshl_add_u64 v[6:7], v[6:7], 0, s[8:9]
	v_cvt_f32_f16_e32 v9, v9
	v_cvt_f32_f16_e32 v10, v10
	v_med3_f32 v11, v9, s39, v1
	v_cmp_nlg_f32_e64 vcc, |v9|, s23
	s_nop 1
	v_cndmask_b32_e32 v9, v11, v9, vcc
	v_med3_f32 v11, v10, s39, v1
	v_cmp_nlg_f32_e64 vcc, |v10|, s23
	v_cvt_pk_fp8_f32 v17, v9, v9
	s_nop 0
	v_cndmask_b32_e32 v10, v11, v10, vcc
	v_cvt_pk_fp8_f32 v20, v10, v10
	v_lshlrev_b16_e32 v9, 8, v20
	v_or_b32_sdwa v9, v17, v9 dst_sel:DWORD dst_unused:UNUSED_PAD src0_sel:BYTE_0 src1_sel:DWORD
	global_store_short v[2:3], v9, off offset:-1
	v_lshl_add_u64 v[2:3], v[2:3], 0, s[28:29]
	s_andn2_b64 exec, exec, s[12:13]
	s_cbranch_execnz .LBB77_9
.LBB77_10:
	s_or_b64 exec, exec, s[26:27]
	v_cmp_gt_i32_e32 vcc, s18, v0
	s_and_saveexec_b64 s[4:5], vcc
	s_cbranch_execz .LBB77_13
; %bb.11:
	s_mul_i32 s3, s2, s11
	s_mul_hi_u32 s4, s2, s10
	s_add_i32 s3, s4, s3
	s_mul_i32 s2, s2, s10
	s_lshl_b64 s[2:3], s[2:3], 2
	s_add_u32 s2, s14, s2
	s_addc_u32 s3, s15, s3
	s_ashr_i32 s4, s16, 31
	s_mul_i32 s4, s6, s4
	s_add_i32 s4, s35, s4
	s_add_i32 s4, s4, s36
	s_add_u32 s5, s20, s37
	s_addc_u32 s4, s21, s4
	s_ashr_i32 s6, s17, 31
	s_mul_i32 s33, s33, s6
	s_add_i32 s6, s34, s33
	s_add_i32 s6, s6, s7
	s_load_dword s8, s[0:1], 0x8c
	s_add_u32 s0, s5, s19
	s_addc_u32 s1, s4, s6
	s_waitcnt lgkmcnt(0)
	s_load_dword s6, s[30:31], 0x0
	s_mov_b64 s[4:5], 0
	s_and_b32 s7, s8, 0xffff
	s_mov_b32 s8, 0x7f800000
	s_mov_b32 s9, 0x43700000
	v_mov_b32_e32 v2, 0xc3700000
.LBB77_12:                              ; =>This Inner Loop Header: Depth=1
	v_ashrrev_i32_e32 v1, 31, v0
	v_lshl_add_u64 v[4:5], v[0:1], 2, s[2:3]
	global_load_ushort v3, v[4:5], off
	s_waitcnt vmcnt(0)
	v_cvt_f32_f16_e32 v3, v3
	s_waitcnt lgkmcnt(0)
	v_div_scale_f32 v4, s[10:11], s6, s6, v3
	v_rcp_f32_e32 v5, v4
	v_div_scale_f32 v6, vcc, v3, s6, v3
	v_fma_f32 v7, -v4, v5, 1.0
	v_fmac_f32_e32 v5, v7, v5
	v_mul_f32_e32 v7, v6, v5
	v_fma_f32 v8, -v4, v7, v6
	v_fmac_f32_e32 v7, v8, v5
	v_fma_f32 v4, -v4, v7, v6
	v_div_fmas_f32 v4, v4, v5, v7
	v_div_fixup_f32 v3, v4, s6, v3
	v_cvt_f16_f32_e32 v3, v3
	v_mov_b32_e32 v6, 0
	v_cvt_f32_f16_e32 v3, v3
	v_med3_f32 v4, v3, s9, v2
	v_cmp_nlg_f32_e64 vcc, |v3|, s8
	s_nop 1
	v_cndmask_b32_e32 v3, v4, v3, vcc
	v_cvt_pk_fp8_f32 v6, v3, v3
	v_lshl_add_u64 v[4:5], s[0:1], 0, v[0:1]
	v_add_u32_e32 v0, s7, v0
	v_cmp_le_i32_e32 vcc, s18, v0
	s_or_b64 s[4:5], vcc, s[4:5]
	global_store_byte v[4:5], v6, off
	s_andn2_b64 exec, exec, s[4:5]
	s_cbranch_execnz .LBB77_12
.LBB77_13:
	s_endpgm
.LBB77_14:
                                        ; implicit-def: $sgpr6_sgpr7
	s_branch .LBB77_6
	.section	.rodata,"a",@progbits
	.p2align	6, 0x0
	.amdhsa_kernel _ZN4vllm38concat_and_cache_mla_rope_fused_kernelIfN3c108BFloat16ELb0EthLNS_18Fp8KVCacheDataTypeE1EEEvPKlPT_S7_PKS6_PKT0_illlliPT3_S5_iiiiPKf
		.amdhsa_group_segment_fixed_size 0
		.amdhsa_private_segment_fixed_size 0
		.amdhsa_kernarg_size 384
		.amdhsa_user_sgpr_count 2
		.amdhsa_user_sgpr_dispatch_ptr 0
		.amdhsa_user_sgpr_queue_ptr 0
		.amdhsa_user_sgpr_kernarg_segment_ptr 1
		.amdhsa_user_sgpr_dispatch_id 0
		.amdhsa_user_sgpr_kernarg_preload_length 0
		.amdhsa_user_sgpr_kernarg_preload_offset 0
		.amdhsa_user_sgpr_private_segment_size 0
		.amdhsa_uses_dynamic_stack 0
		.amdhsa_enable_private_segment 0
		.amdhsa_system_sgpr_workgroup_id_x 1
		.amdhsa_system_sgpr_workgroup_id_y 0
		.amdhsa_system_sgpr_workgroup_id_z 0
		.amdhsa_system_sgpr_workgroup_info 0
		.amdhsa_system_vgpr_workitem_id 0
		.amdhsa_next_free_vgpr 22
		.amdhsa_next_free_sgpr 43
		.amdhsa_accum_offset 24
		.amdhsa_reserve_vcc 1
		.amdhsa_float_round_mode_32 0
		.amdhsa_float_round_mode_16_64 0
		.amdhsa_float_denorm_mode_32 3
		.amdhsa_float_denorm_mode_16_64 3
		.amdhsa_dx10_clamp 1
		.amdhsa_ieee_mode 1
		.amdhsa_fp16_overflow 0
		.amdhsa_tg_split 0
		.amdhsa_exception_fp_ieee_invalid_op 0
		.amdhsa_exception_fp_denorm_src 0
		.amdhsa_exception_fp_ieee_div_zero 0
		.amdhsa_exception_fp_ieee_overflow 0
		.amdhsa_exception_fp_ieee_underflow 0
		.amdhsa_exception_fp_ieee_inexact 0
		.amdhsa_exception_int_div_zero 0
	.end_amdhsa_kernel
	.section	.text._ZN4vllm38concat_and_cache_mla_rope_fused_kernelIfN3c108BFloat16ELb0EthLNS_18Fp8KVCacheDataTypeE1EEEvPKlPT_S7_PKS6_PKT0_illlliPT3_S5_iiiiPKf,"axG",@progbits,_ZN4vllm38concat_and_cache_mla_rope_fused_kernelIfN3c108BFloat16ELb0EthLNS_18Fp8KVCacheDataTypeE1EEEvPKlPT_S7_PKS6_PKT0_illlliPT3_S5_iiiiPKf,comdat
.Lfunc_end77:
	.size	_ZN4vllm38concat_and_cache_mla_rope_fused_kernelIfN3c108BFloat16ELb0EthLNS_18Fp8KVCacheDataTypeE1EEEvPKlPT_S7_PKS6_PKT0_illlliPT3_S5_iiiiPKf, .Lfunc_end77-_ZN4vllm38concat_and_cache_mla_rope_fused_kernelIfN3c108BFloat16ELb0EthLNS_18Fp8KVCacheDataTypeE1EEEvPKlPT_S7_PKS6_PKT0_illlliPT3_S5_iiiiPKf
                                        ; -- End function
	.section	.AMDGPU.csdata,"",@progbits
; Kernel info:
; codeLenInByte = 2368
; NumSgprs: 49
; NumVgprs: 22
; NumAgprs: 0
; TotalNumVgprs: 22
; ScratchSize: 0
; MemoryBound: 0
; FloatMode: 240
; IeeeMode: 1
; LDSByteSize: 0 bytes/workgroup (compile time only)
; SGPRBlocks: 6
; VGPRBlocks: 2
; NumSGPRsForWavesPerEU: 49
; NumVGPRsForWavesPerEU: 22
; AccumOffset: 24
; Occupancy: 8
; WaveLimiterHint : 1
; COMPUTE_PGM_RSRC2:SCRATCH_EN: 0
; COMPUTE_PGM_RSRC2:USER_SGPR: 2
; COMPUTE_PGM_RSRC2:TRAP_HANDLER: 0
; COMPUTE_PGM_RSRC2:TGID_X_EN: 1
; COMPUTE_PGM_RSRC2:TGID_Y_EN: 0
; COMPUTE_PGM_RSRC2:TGID_Z_EN: 0
; COMPUTE_PGM_RSRC2:TIDIG_COMP_CNT: 0
; COMPUTE_PGM_RSRC3_GFX90A:ACCUM_OFFSET: 5
; COMPUTE_PGM_RSRC3_GFX90A:TG_SPLIT: 0
	.section	.text._ZN4vllm38concat_and_cache_mla_rope_fused_kernelIN3c104HalfEfLb1EthLNS_18Fp8KVCacheDataTypeE1EEEvPKlPT_S7_PKS6_PKT0_illlliPT3_S5_iiiiPKf,"axG",@progbits,_ZN4vllm38concat_and_cache_mla_rope_fused_kernelIN3c104HalfEfLb1EthLNS_18Fp8KVCacheDataTypeE1EEEvPKlPT_S7_PKS6_PKT0_illlliPT3_S5_iiiiPKf,comdat
	.protected	_ZN4vllm38concat_and_cache_mla_rope_fused_kernelIN3c104HalfEfLb1EthLNS_18Fp8KVCacheDataTypeE1EEEvPKlPT_S7_PKS6_PKT0_illlliPT3_S5_iiiiPKf ; -- Begin function _ZN4vllm38concat_and_cache_mla_rope_fused_kernelIN3c104HalfEfLb1EthLNS_18Fp8KVCacheDataTypeE1EEEvPKlPT_S7_PKS6_PKT0_illlliPT3_S5_iiiiPKf
	.globl	_ZN4vllm38concat_and_cache_mla_rope_fused_kernelIN3c104HalfEfLb1EthLNS_18Fp8KVCacheDataTypeE1EEEvPKlPT_S7_PKS6_PKT0_illlliPT3_S5_iiiiPKf
	.p2align	8
	.type	_ZN4vllm38concat_and_cache_mla_rope_fused_kernelIN3c104HalfEfLb1EthLNS_18Fp8KVCacheDataTypeE1EEEvPKlPT_S7_PKS6_PKT0_illlliPT3_S5_iiiiPKf,@function
_ZN4vllm38concat_and_cache_mla_rope_fused_kernelIN3c104HalfEfLb1EthLNS_18Fp8KVCacheDataTypeE1EEEvPKlPT_S7_PKS6_PKT0_illlliPT3_S5_iiiiPKf: ; @_ZN4vllm38concat_and_cache_mla_rope_fused_kernelIN3c104HalfEfLb1EthLNS_18Fp8KVCacheDataTypeE1EEEvPKlPT_S7_PKS6_PKT0_illlliPT3_S5_iiiiPKf
; %bb.0:
	s_load_dwordx2 s[6:7], s[0:1], 0x60
	s_mov_b32 s3, 0
	s_lshl_b64 s[4:5], s[2:3], 3
	s_waitcnt lgkmcnt(0)
	s_add_u32 s6, s6, s4
	s_addc_u32 s7, s7, s5
	s_load_dwordx2 s[28:29], s[6:7], 0x0
	s_waitcnt lgkmcnt(0)
	v_cmp_lt_i64_e64 s[6:7], s[28:29], 0
	s_and_b64 vcc, exec, s[6:7]
	s_cbranch_vccnz .LBB78_13
; %bb.1:
	s_load_dword s3, s[0:1], 0x28
	s_load_dwordx2 s[6:7], s[0:1], 0x0
	s_load_dwordx4 s[12:15], s[0:1], 0x10
	s_waitcnt lgkmcnt(0)
	s_ashr_i32 s22, s3, 31
	s_add_u32 s16, s6, s4
	s_addc_u32 s17, s7, s5
	s_load_dwordx2 s[18:19], s[16:17], 0x0
	s_load_dwordx2 s[24:25], s[0:1], 0x20
	s_load_dwordx8 s[4:11], s[0:1], 0x30
	s_load_dwordx2 s[20:21], s[0:1], 0x58
	s_load_dword s23, s[0:1], 0x50
	s_waitcnt lgkmcnt(0)
	s_mul_i32 s16, s18, s22
	s_mul_hi_u32 s17, s18, s3
	s_mul_i32 s19, s19, s3
	s_add_i32 s16, s17, s16
	s_add_i32 s27, s16, s19
	s_lshr_b32 s16, s3, 31
	s_mul_i32 s26, s18, s3
	s_add_i32 s3, s3, s16
	s_ashr_i32 s22, s3, 1
	s_mul_i32 s3, s22, s23
	v_cmp_gt_i32_e32 vcc, s3, v0
	s_and_saveexec_b64 s[16:17], vcc
	s_cbranch_execz .LBB78_4
; %bb.2:
	s_load_dwordx2 s[30:31], s[0:1], 0x8
	s_load_dword s34, s[0:1], 0x8c
	s_lshl_b64 s[18:19], s[26:27], 2
	s_add_u32 s18, s24, s18
	s_mul_i32 s5, s2, s5
	s_mul_hi_u32 s33, s2, s4
	s_addc_u32 s19, s25, s19
	s_add_i32 s5, s33, s5
	s_mul_i32 s4, s2, s4
	s_ashr_i32 s23, s22, 31
	s_lshl_b64 s[4:5], s[4:5], 1
	s_waitcnt lgkmcnt(0)
	s_add_u32 s4, s30, s4
	s_addc_u32 s5, s31, s5
	s_abs_i32 s33, s22
	v_cvt_f32_u32_e32 v1, s33
	s_sub_i32 s30, 0, s33
	s_and_b32 s34, s34, 0xffff
	s_sub_i32 s35, 0, s22
	v_rcp_iflag_f32_e32 v1, v1
	s_nop 0
	v_mul_f32_e32 v1, 0x4f7ffffe, v1
	v_cvt_u32_f32_e32 v1, v1
	v_mul_lo_u32 v2, s30, v1
	v_mul_hi_u32 v2, v1, v2
	v_add_u32_e32 v1, v1, v2
	s_mov_b64 s[30:31], 0
	v_mov_b32_e32 v2, v0
.LBB78_3:                               ; =>This Inner Loop Header: Depth=1
	v_sub_u32_e32 v4, 0, v2
	v_max_i32_e32 v4, v2, v4
	v_mul_hi_u32 v5, v4, v1
	v_mul_lo_u32 v6, v5, s33
	v_sub_u32_e32 v4, v4, v6
	v_add_u32_e32 v7, 1, v5
	v_cmp_le_u32_e32 vcc, s33, v4
	v_subrev_u32_e32 v6, s33, v4
	v_ashrrev_i32_e32 v3, 31, v2
	v_cndmask_b32_e32 v5, v5, v7, vcc
	v_cndmask_b32_e32 v4, v4, v6, vcc
	v_add_u32_e32 v6, 1, v5
	v_cmp_le_u32_e32 vcc, s33, v4
	v_xor_b32_e32 v3, s23, v3
	s_nop 0
	v_cndmask_b32_e32 v4, v5, v6, vcc
	v_xor_b32_e32 v4, v4, v3
	v_sub_u32_e32 v3, v4, v3
	v_mad_u64_u32 v[4:5], s[36:37], s35, v3, v[2:3]
	v_ashrrev_i32_e32 v8, 31, v3
	v_ashrrev_i32_e32 v5, 31, v4
	v_mul_lo_u32 v10, v3, s7
	v_mad_u64_u32 v[6:7], s[36:37], v3, s6, 0
	v_mul_lo_u32 v3, v8, s6
	v_lshl_add_u64 v[8:9], v[4:5], 2, s[18:19]
	v_add3_u32 v7, v7, v10, v3
	v_lshl_add_u64 v[10:11], s[22:23], 2, v[8:9]
	global_load_dword v3, v[8:9], off
	global_load_dword v12, v[10:11], off
	v_lshl_add_u64 v[6:7], v[6:7], 1, s[4:5]
	v_lshl_add_u64 v[4:5], v[4:5], 1, v[6:7]
	v_lshl_add_u64 v[6:7], s[22:23], 1, v[4:5]
	global_load_ushort v8, v[4:5], off
	global_load_ushort v9, v[6:7], off
	v_add_u32_e32 v2, s34, v2
	v_cmp_le_i32_e32 vcc, s3, v2
	s_or_b64 s[30:31], vcc, s[30:31]
	s_waitcnt vmcnt(3)
	v_cvt_f16_f32_e32 v3, v3
	s_waitcnt vmcnt(2)
	v_cvt_f16_f32_e32 v10, v12
	s_waitcnt vmcnt(0)
	v_mul_f16_e32 v11, v9, v3
	v_mul_f16_e32 v9, v9, v10
	v_fma_f16 v3, v8, v3, -v9
	v_fma_f16 v10, v8, v10, v11
	global_store_short v[4:5], v3, off
	global_store_short v[6:7], v10, off
	s_andn2_b64 exec, exec, s[30:31]
	s_cbranch_execnz .LBB78_3
.LBB78_4:
	s_or_b64 exec, exec, s[16:17]
	s_load_dwordx4 s[16:19], s[0:1], 0x68
	s_waitcnt lgkmcnt(0)
	s_ashr_i32 s35, s19, 31
	s_mov_b32 s34, s19
	s_or_b64 s[4:5], s[28:29], s[34:35]
	s_mov_b32 s4, 0
	s_cmp_lg_u64 s[4:5], 0
	s_cbranch_scc0 .LBB78_14
; %bb.5:
	s_add_u32 s4, s34, s35
	s_mov_b32 s6, s35
	s_mov_b32 s7, s35
	s_addc_u32 s5, s35, s35
	s_xor_b64 s[36:37], s[4:5], s[6:7]
	v_cvt_f32_u32_e32 v1, s36
	v_cvt_f32_u32_e32 v2, s37
	s_sub_u32 s3, 0, s36
	s_subb_u32 s4, 0, s37
	v_fmamk_f32 v1, v2, 0x4f800000, v1
	v_rcp_f32_e32 v1, v1
	s_nop 0
	v_mul_f32_e32 v1, 0x5f7ffffc, v1
	v_mul_f32_e32 v2, 0x2f800000, v1
	v_trunc_f32_e32 v2, v2
	v_fmamk_f32 v1, v2, 0xcf800000, v1
	v_cvt_u32_f32_e32 v2, v2
	v_cvt_u32_f32_e32 v1, v1
	v_readfirstlane_b32 s5, v2
	v_readfirstlane_b32 s19, v1
	s_mul_i32 s23, s3, s5
	s_mul_hi_u32 s38, s3, s19
	s_mul_i32 s33, s4, s19
	s_add_i32 s23, s38, s23
	s_add_i32 s23, s23, s33
	s_mul_i32 s39, s3, s19
	s_mul_hi_u32 s33, s19, s23
	s_mul_i32 s38, s19, s23
	s_mul_hi_u32 s19, s19, s39
	s_add_u32 s19, s19, s38
	s_addc_u32 s33, 0, s33
	s_mul_hi_u32 s40, s5, s39
	s_mul_i32 s39, s5, s39
	s_add_u32 s19, s19, s39
	s_mul_hi_u32 s38, s5, s23
	s_addc_u32 s19, s33, s40
	s_addc_u32 s33, s38, 0
	s_mul_i32 s23, s5, s23
	s_add_u32 s19, s19, s23
	s_addc_u32 s23, 0, s33
	v_add_co_u32_e32 v1, vcc, s19, v1
	s_cmp_lg_u64 vcc, 0
	s_addc_u32 s5, s5, s23
	v_readfirstlane_b32 s23, v1
	s_mul_i32 s19, s3, s5
	s_mul_hi_u32 s33, s3, s23
	s_add_i32 s19, s33, s19
	s_mul_i32 s4, s4, s23
	s_add_i32 s19, s19, s4
	s_mul_i32 s3, s3, s23
	s_mul_hi_u32 s33, s5, s3
	s_mul_i32 s38, s5, s3
	s_mul_i32 s40, s23, s19
	s_mul_hi_u32 s3, s23, s3
	s_mul_hi_u32 s39, s23, s19
	s_add_u32 s3, s3, s40
	s_addc_u32 s23, 0, s39
	s_add_u32 s3, s3, s38
	s_mul_hi_u32 s4, s5, s19
	s_addc_u32 s3, s23, s33
	s_addc_u32 s4, s4, 0
	s_mul_i32 s19, s5, s19
	s_add_u32 s3, s3, s19
	s_addc_u32 s4, 0, s4
	v_add_co_u32_e32 v1, vcc, s3, v1
	s_cmp_lg_u64 vcc, 0
	s_addc_u32 s3, s5, s4
	s_ashr_i32 s38, s29, 31
	s_add_u32 s4, s28, s38
	s_mov_b32 s39, s38
	s_addc_u32 s5, s29, s38
	s_xor_b64 s[40:41], s[4:5], s[38:39]
	v_readfirstlane_b32 s19, v1
	s_mul_i32 s5, s40, s3
	s_mul_hi_u32 s23, s40, s19
	s_mul_hi_u32 s4, s40, s3
	s_add_u32 s5, s23, s5
	s_addc_u32 s4, 0, s4
	s_mul_hi_u32 s33, s41, s19
	s_mul_i32 s19, s41, s19
	s_add_u32 s5, s5, s19
	s_mul_hi_u32 s23, s41, s3
	s_addc_u32 s4, s4, s33
	s_addc_u32 s5, s23, 0
	s_mul_i32 s3, s41, s3
	s_add_u32 s3, s4, s3
	s_addc_u32 s19, 0, s5
	s_mul_i32 s4, s36, s19
	s_mul_hi_u32 s5, s36, s3
	s_add_i32 s4, s5, s4
	s_mul_i32 s5, s37, s3
	s_add_i32 s23, s4, s5
	s_mul_i32 s5, s36, s3
	v_mov_b32_e32 v1, s5
	s_sub_i32 s4, s41, s23
	v_sub_co_u32_e32 v1, vcc, s40, v1
	s_cmp_lg_u64 vcc, 0
	s_subb_u32 s33, s4, s37
	v_subrev_co_u32_e64 v2, s[4:5], s36, v1
	s_cmp_lg_u64 s[4:5], 0
	s_subb_u32 s4, s33, 0
	s_cmp_ge_u32 s4, s37
	v_readfirstlane_b32 s33, v2
	s_cselect_b32 s5, -1, 0
	s_cmp_ge_u32 s33, s36
	s_cselect_b32 s33, -1, 0
	s_cmp_eq_u32 s4, s37
	s_cselect_b32 s4, s33, s5
	s_add_u32 s5, s3, 1
	s_addc_u32 s33, s19, 0
	s_add_u32 s40, s3, 2
	s_addc_u32 s42, s19, 0
	s_cmp_lg_u32 s4, 0
	s_cselect_b32 s4, s40, s5
	s_cselect_b32 s5, s42, s33
	s_cmp_lg_u64 vcc, 0
	s_subb_u32 s23, s41, s23
	s_cmp_ge_u32 s23, s37
	v_readfirstlane_b32 s40, v1
	s_cselect_b32 s33, -1, 0
	s_cmp_ge_u32 s40, s36
	s_cselect_b32 s36, -1, 0
	s_cmp_eq_u32 s23, s37
	s_cselect_b32 s23, s36, s33
	s_cmp_lg_u32 s23, 0
	s_cselect_b32 s5, s5, s19
	s_cselect_b32 s4, s4, s3
	s_xor_b64 s[6:7], s[38:39], s[6:7]
	s_xor_b64 s[4:5], s[4:5], s[6:7]
	s_sub_u32 s6, s4, s6
	s_subb_u32 s7, s5, s7
	s_cbranch_execnz .LBB78_7
.LBB78_6:
	v_cvt_f32_u32_e32 v1, s34
	s_sub_i32 s3, 0, s34
	s_mov_b32 s7, 0
	v_rcp_iflag_f32_e32 v1, v1
	s_nop 0
	v_mul_f32_e32 v1, 0x4f7ffffe, v1
	v_cvt_u32_f32_e32 v1, v1
	s_nop 0
	v_readfirstlane_b32 s4, v1
	s_mul_i32 s3, s3, s4
	s_mul_hi_u32 s3, s4, s3
	s_add_i32 s4, s4, s3
	s_mul_hi_u32 s3, s28, s4
	s_mul_i32 s5, s3, s34
	s_sub_i32 s5, s28, s5
	s_add_i32 s4, s3, 1
	s_sub_i32 s6, s5, s34
	s_cmp_ge_u32 s5, s34
	s_cselect_b32 s3, s4, s3
	s_cselect_b32 s5, s6, s5
	s_add_i32 s4, s3, 1
	s_cmp_ge_u32 s5, s34
	s_cselect_b32 s6, s4, s3
.LBB78_7:
	s_mul_i32 s3, s6, s35
	s_mul_hi_u32 s4, s6, s34
	s_load_dwordx2 s[30:31], s[0:1], 0x78
	s_add_i32 s3, s4, s3
	s_mul_i32 s4, s7, s34
	s_add_i32 s3, s3, s4
	s_mul_i32 s4, s6, s34
	s_sub_u32 s33, s28, s4
	s_subb_u32 s3, s29, s3
	v_cmp_gt_i32_e32 vcc, s22, v0
	s_mul_hi_u32 s43, s6, s16
	s_mul_i32 s44, s7, s16
	s_mul_i32 s45, s6, s16
	s_mul_hi_u32 s42, s33, s17
	s_mul_i32 s7, s3, s17
	s_mul_i32 s19, s33, s17
	s_and_saveexec_b64 s[28:29], vcc
	s_cbranch_execz .LBB78_10
; %bb.8:
	s_ashr_i32 s3, s16, 31
	s_ashr_i32 s4, s17, 31
	s_mul_i32 s3, s6, s3
	s_mul_i32 s4, s33, s4
	s_add_i32 s3, s43, s3
	s_add_i32 s4, s42, s4
	s_ashr_i32 s23, s22, 31
	s_add_i32 s3, s3, s44
	s_add_i32 s4, s4, s7
	s_add_u32 s38, s45, s19
	s_load_dword s5, s[0:1], 0x8c
	s_addc_u32 s39, s3, s4
	s_add_u32 s3, s38, s20
	s_addc_u32 s4, s39, s21
	s_ashr_i32 s40, s18, 31
	s_add_u32 s34, s3, s18
	s_addc_u32 s35, s4, s40
	s_waitcnt lgkmcnt(0)
	s_and_b32 s46, s5, 0xffff
	s_lshl_b64 s[4:5], s[26:27], 2
	v_mov_b32_e32 v1, 0
	s_add_u32 s4, s24, s4
	v_lshlrev_b32_e32 v2, 2, v0
	v_mov_b32_e32 v3, v1
	s_addc_u32 s5, s25, s5
	v_lshl_add_u64 v[2:3], s[4:5], 0, v[2:3]
	s_mul_i32 s4, s9, s2
	s_mul_hi_u32 s5, s8, s2
	s_add_i32 s5, s5, s4
	s_mul_i32 s4, s8, s2
	s_lshl_b32 s36, s46, 2
	s_lshl_b64 s[24:25], s[22:23], 2
	s_lshl_b64 s[26:27], s[22:23], 1
	;; [unrolled: 1-line block ×3, first 2 shown]
	s_add_u32 s4, s12, s4
	v_lshlrev_b32_e32 v4, 1, v0
	v_mov_b32_e32 v5, v1
	s_addc_u32 s5, s13, s5
	s_lshl_b32 s8, s46, 1
	v_lshl_add_u64 v[4:5], s[4:5], 0, v[4:5]
	s_add_u32 s4, s38, s22
	s_load_dword s3, s[30:31], 0x0
	s_addc_u32 s5, s39, s23
	s_add_u32 s4, s4, s18
	s_addc_u32 s5, s5, s40
	s_mov_b32 s37, 0
	s_add_u32 s12, s20, s4
	s_mov_b32 s9, s37
	s_addc_u32 s13, s21, s5
	s_mov_b64 s[38:39], 0
	s_mov_b32 s23, 0x7f800000
	s_mov_b32 s47, 0x43700000
	v_mov_b32_e32 v6, 0xc3700000
	s_mov_b64 s[40:41], 0
.LBB78_9:                               ; =>This Inner Loop Header: Depth=1
	global_load_dword v7, v[2:3], off
	v_lshl_add_u64 v[8:9], v[2:3], 0, s[24:25]
	v_lshl_add_u64 v[10:11], v[4:5], 0, s[26:27]
	global_load_ushort v14, v[4:5], off
	global_load_dword v15, v[8:9], off
	global_load_ushort v16, v[10:11], off
	s_add_u32 s40, s40, s46
	v_add_u32_e32 v19, s40, v0
	v_cmp_le_i32_e32 vcc, s22, v19
	s_addc_u32 s41, s41, 0
	v_lshl_add_u64 v[12:13], s[12:13], 0, v[0:1]
	s_add_u32 s12, s12, s46
	s_addc_u32 s13, s13, 0
	v_lshl_add_u64 v[8:9], s[34:35], 0, v[0:1]
	s_add_u32 s34, s34, s46
	s_addc_u32 s35, s35, 0
	s_or_b64 s[38:39], vcc, s[38:39]
	v_mov_b32_e32 v17, 0
	v_mov_b32_e32 v18, 0
	v_lshl_add_u64 v[2:3], v[2:3], 0, s[36:37]
	s_waitcnt vmcnt(3)
	v_cvt_f16_f32_e32 v7, v7
	s_waitcnt vmcnt(1)
	v_cvt_f16_f32_e32 v15, v15
	s_waitcnt vmcnt(0)
	v_mul_f16_e32 v19, v16, v7
	v_mul_f16_e32 v16, v16, v15
	v_fma_f16 v15, v14, v15, v19
	v_fma_f16 v7, v14, v7, -v16
	v_cvt_f32_f16_e32 v14, v15
	global_store_short v[4:5], v7, off
	v_cvt_f32_f16_e32 v7, v7
	v_lshl_add_u64 v[4:5], v[4:5], 0, s[8:9]
	s_waitcnt lgkmcnt(0)
	v_div_scale_f32 v16, s[4:5], s3, s3, v14
	v_div_scale_f32 v20, s[48:49], s3, s3, v7
	v_rcp_f32_e32 v22, v16
	v_rcp_f32_e32 v23, v20
	v_div_scale_f32 v19, s[4:5], v14, s3, v14
	v_fma_f32 v24, -v16, v22, 1.0
	v_fma_f32 v25, -v20, v23, 1.0
	v_div_scale_f32 v21, vcc, v7, s3, v7
	v_fmac_f32_e32 v22, v24, v22
	v_fmac_f32_e32 v23, v25, v23
	v_mul_f32_e32 v24, v19, v22
	v_mul_f32_e32 v25, v21, v23
	v_fma_f32 v26, -v16, v24, v19
	v_fma_f32 v27, -v20, v25, v21
	v_fmac_f32_e32 v24, v26, v22
	v_fmac_f32_e32 v25, v27, v23
	v_fma_f32 v16, -v16, v24, v19
	v_fma_f32 v19, -v20, v25, v21
	v_div_fmas_f32 v19, v19, v23, v25
	s_mov_b64 vcc, s[4:5]
	v_div_fixup_f32 v7, v19, s3, v7
	v_div_fmas_f32 v16, v16, v22, v24
	v_cvt_f16_f32_e32 v7, v7
	v_div_fixup_f32 v14, v16, s3, v14
	v_cvt_f16_f32_e32 v14, v14
	global_store_short v[10:11], v15, off
	v_cvt_f32_f16_e32 v7, v7
	v_cvt_f32_f16_e32 v14, v14
	v_med3_f32 v16, v7, s47, v6
	v_cmp_nlg_f32_e64 vcc, |v7|, s23
	s_nop 1
	v_cndmask_b32_e32 v7, v16, v7, vcc
	v_med3_f32 v16, v14, s47, v6
	v_cmp_nlg_f32_e64 vcc, |v14|, s23
	v_cvt_pk_fp8_f32 v17, v7, v7
	s_nop 0
	v_cndmask_b32_e32 v7, v16, v14, vcc
	v_cvt_pk_fp8_f32 v18, v7, v7
	global_store_byte v[8:9], v17, off
	global_store_byte v[12:13], v18, off
	s_andn2_b64 exec, exec, s[38:39]
	s_cbranch_execnz .LBB78_9
.LBB78_10:
	s_or_b64 exec, exec, s[28:29]
	v_cmp_gt_i32_e32 vcc, s18, v0
	s_and_saveexec_b64 s[4:5], vcc
	s_cbranch_execz .LBB78_13
; %bb.11:
	s_mul_i32 s3, s2, s11
	s_mul_hi_u32 s4, s2, s10
	s_add_i32 s3, s4, s3
	s_mul_i32 s2, s2, s10
	s_lshl_b64 s[2:3], s[2:3], 1
	s_add_u32 s2, s14, s2
	s_addc_u32 s3, s15, s3
	s_ashr_i32 s4, s16, 31
	s_mul_i32 s4, s6, s4
	s_add_i32 s4, s43, s4
	s_add_i32 s4, s4, s44
	s_add_u32 s5, s20, s45
	s_addc_u32 s4, s21, s4
	s_ashr_i32 s6, s17, 31
	s_mul_i32 s33, s33, s6
	s_add_i32 s6, s42, s33
	s_add_i32 s6, s6, s7
	s_load_dword s8, s[0:1], 0x8c
	s_add_u32 s0, s5, s19
	s_addc_u32 s1, s4, s6
	s_waitcnt lgkmcnt(0)
	s_load_dword s6, s[30:31], 0x0
	s_mov_b64 s[4:5], 0
	s_and_b32 s7, s8, 0xffff
	s_mov_b32 s8, 0x7f800000
	s_mov_b32 s9, 0x43700000
	v_mov_b32_e32 v2, 0xc3700000
.LBB78_12:                              ; =>This Inner Loop Header: Depth=1
	v_ashrrev_i32_e32 v1, 31, v0
	v_lshl_add_u64 v[4:5], v[0:1], 1, s[2:3]
	global_load_ushort v3, v[4:5], off
	s_waitcnt vmcnt(0)
	v_cvt_f32_f16_e32 v3, v3
	s_waitcnt lgkmcnt(0)
	v_div_scale_f32 v4, s[10:11], s6, s6, v3
	v_rcp_f32_e32 v5, v4
	v_div_scale_f32 v6, vcc, v3, s6, v3
	v_fma_f32 v7, -v4, v5, 1.0
	v_fmac_f32_e32 v5, v7, v5
	v_mul_f32_e32 v7, v6, v5
	v_fma_f32 v8, -v4, v7, v6
	v_fmac_f32_e32 v7, v8, v5
	v_fma_f32 v4, -v4, v7, v6
	v_div_fmas_f32 v4, v4, v5, v7
	v_div_fixup_f32 v3, v4, s6, v3
	v_cvt_f16_f32_e32 v3, v3
	v_mov_b32_e32 v6, 0
	v_cvt_f32_f16_e32 v3, v3
	v_med3_f32 v4, v3, s9, v2
	v_cmp_nlg_f32_e64 vcc, |v3|, s8
	s_nop 1
	v_cndmask_b32_e32 v3, v4, v3, vcc
	v_cvt_pk_fp8_f32 v6, v3, v3
	v_lshl_add_u64 v[4:5], s[0:1], 0, v[0:1]
	v_add_u32_e32 v0, s7, v0
	v_cmp_le_i32_e32 vcc, s18, v0
	s_or_b64 s[4:5], vcc, s[4:5]
	global_store_byte v[4:5], v6, off
	s_andn2_b64 exec, exec, s[4:5]
	s_cbranch_execnz .LBB78_12
.LBB78_13:
	s_endpgm
.LBB78_14:
                                        ; implicit-def: $sgpr6_sgpr7
	s_branch .LBB78_6
	.section	.rodata,"a",@progbits
	.p2align	6, 0x0
	.amdhsa_kernel _ZN4vllm38concat_and_cache_mla_rope_fused_kernelIN3c104HalfEfLb1EthLNS_18Fp8KVCacheDataTypeE1EEEvPKlPT_S7_PKS6_PKT0_illlliPT3_S5_iiiiPKf
		.amdhsa_group_segment_fixed_size 0
		.amdhsa_private_segment_fixed_size 0
		.amdhsa_kernarg_size 384
		.amdhsa_user_sgpr_count 2
		.amdhsa_user_sgpr_dispatch_ptr 0
		.amdhsa_user_sgpr_queue_ptr 0
		.amdhsa_user_sgpr_kernarg_segment_ptr 1
		.amdhsa_user_sgpr_dispatch_id 0
		.amdhsa_user_sgpr_kernarg_preload_length 0
		.amdhsa_user_sgpr_kernarg_preload_offset 0
		.amdhsa_user_sgpr_private_segment_size 0
		.amdhsa_uses_dynamic_stack 0
		.amdhsa_enable_private_segment 0
		.amdhsa_system_sgpr_workgroup_id_x 1
		.amdhsa_system_sgpr_workgroup_id_y 0
		.amdhsa_system_sgpr_workgroup_id_z 0
		.amdhsa_system_sgpr_workgroup_info 0
		.amdhsa_system_vgpr_workitem_id 0
		.amdhsa_next_free_vgpr 28
		.amdhsa_next_free_sgpr 50
		.amdhsa_accum_offset 28
		.amdhsa_reserve_vcc 1
		.amdhsa_float_round_mode_32 0
		.amdhsa_float_round_mode_16_64 0
		.amdhsa_float_denorm_mode_32 3
		.amdhsa_float_denorm_mode_16_64 3
		.amdhsa_dx10_clamp 1
		.amdhsa_ieee_mode 1
		.amdhsa_fp16_overflow 0
		.amdhsa_tg_split 0
		.amdhsa_exception_fp_ieee_invalid_op 0
		.amdhsa_exception_fp_denorm_src 0
		.amdhsa_exception_fp_ieee_div_zero 0
		.amdhsa_exception_fp_ieee_overflow 0
		.amdhsa_exception_fp_ieee_underflow 0
		.amdhsa_exception_fp_ieee_inexact 0
		.amdhsa_exception_int_div_zero 0
	.end_amdhsa_kernel
	.section	.text._ZN4vllm38concat_and_cache_mla_rope_fused_kernelIN3c104HalfEfLb1EthLNS_18Fp8KVCacheDataTypeE1EEEvPKlPT_S7_PKS6_PKT0_illlliPT3_S5_iiiiPKf,"axG",@progbits,_ZN4vllm38concat_and_cache_mla_rope_fused_kernelIN3c104HalfEfLb1EthLNS_18Fp8KVCacheDataTypeE1EEEvPKlPT_S7_PKS6_PKT0_illlliPT3_S5_iiiiPKf,comdat
.Lfunc_end78:
	.size	_ZN4vllm38concat_and_cache_mla_rope_fused_kernelIN3c104HalfEfLb1EthLNS_18Fp8KVCacheDataTypeE1EEEvPKlPT_S7_PKS6_PKT0_illlliPT3_S5_iiiiPKf, .Lfunc_end78-_ZN4vllm38concat_and_cache_mla_rope_fused_kernelIN3c104HalfEfLb1EthLNS_18Fp8KVCacheDataTypeE1EEEvPKlPT_S7_PKS6_PKT0_illlliPT3_S5_iiiiPKf
                                        ; -- End function
	.section	.AMDGPU.csdata,"",@progbits
; Kernel info:
; codeLenInByte = 2404
; NumSgprs: 56
; NumVgprs: 28
; NumAgprs: 0
; TotalNumVgprs: 28
; ScratchSize: 0
; MemoryBound: 0
; FloatMode: 240
; IeeeMode: 1
; LDSByteSize: 0 bytes/workgroup (compile time only)
; SGPRBlocks: 6
; VGPRBlocks: 3
; NumSGPRsForWavesPerEU: 56
; NumVGPRsForWavesPerEU: 28
; AccumOffset: 28
; Occupancy: 8
; WaveLimiterHint : 1
; COMPUTE_PGM_RSRC2:SCRATCH_EN: 0
; COMPUTE_PGM_RSRC2:USER_SGPR: 2
; COMPUTE_PGM_RSRC2:TRAP_HANDLER: 0
; COMPUTE_PGM_RSRC2:TGID_X_EN: 1
; COMPUTE_PGM_RSRC2:TGID_Y_EN: 0
; COMPUTE_PGM_RSRC2:TGID_Z_EN: 0
; COMPUTE_PGM_RSRC2:TIDIG_COMP_CNT: 0
; COMPUTE_PGM_RSRC3_GFX90A:ACCUM_OFFSET: 6
; COMPUTE_PGM_RSRC3_GFX90A:TG_SPLIT: 0
	.section	.text._ZN4vllm38concat_and_cache_mla_rope_fused_kernelIN3c104HalfEfLb0EthLNS_18Fp8KVCacheDataTypeE1EEEvPKlPT_S7_PKS6_PKT0_illlliPT3_S5_iiiiPKf,"axG",@progbits,_ZN4vllm38concat_and_cache_mla_rope_fused_kernelIN3c104HalfEfLb0EthLNS_18Fp8KVCacheDataTypeE1EEEvPKlPT_S7_PKS6_PKT0_illlliPT3_S5_iiiiPKf,comdat
	.protected	_ZN4vllm38concat_and_cache_mla_rope_fused_kernelIN3c104HalfEfLb0EthLNS_18Fp8KVCacheDataTypeE1EEEvPKlPT_S7_PKS6_PKT0_illlliPT3_S5_iiiiPKf ; -- Begin function _ZN4vllm38concat_and_cache_mla_rope_fused_kernelIN3c104HalfEfLb0EthLNS_18Fp8KVCacheDataTypeE1EEEvPKlPT_S7_PKS6_PKT0_illlliPT3_S5_iiiiPKf
	.globl	_ZN4vllm38concat_and_cache_mla_rope_fused_kernelIN3c104HalfEfLb0EthLNS_18Fp8KVCacheDataTypeE1EEEvPKlPT_S7_PKS6_PKT0_illlliPT3_S5_iiiiPKf
	.p2align	8
	.type	_ZN4vllm38concat_and_cache_mla_rope_fused_kernelIN3c104HalfEfLb0EthLNS_18Fp8KVCacheDataTypeE1EEEvPKlPT_S7_PKS6_PKT0_illlliPT3_S5_iiiiPKf,@function
_ZN4vllm38concat_and_cache_mla_rope_fused_kernelIN3c104HalfEfLb0EthLNS_18Fp8KVCacheDataTypeE1EEEvPKlPT_S7_PKS6_PKT0_illlliPT3_S5_iiiiPKf: ; @_ZN4vllm38concat_and_cache_mla_rope_fused_kernelIN3c104HalfEfLb0EthLNS_18Fp8KVCacheDataTypeE1EEEvPKlPT_S7_PKS6_PKT0_illlliPT3_S5_iiiiPKf
; %bb.0:
	s_load_dwordx2 s[6:7], s[0:1], 0x60
	s_mov_b32 s3, 0
	s_lshl_b64 s[4:5], s[2:3], 3
	s_waitcnt lgkmcnt(0)
	s_add_u32 s6, s6, s4
	s_addc_u32 s7, s7, s5
	s_load_dwordx2 s[26:27], s[6:7], 0x0
	s_waitcnt lgkmcnt(0)
	v_cmp_lt_i64_e64 s[6:7], s[26:27], 0
	s_and_b64 vcc, exec, s[6:7]
	s_cbranch_vccnz .LBB79_13
; %bb.1:
	s_load_dword s3, s[0:1], 0x28
	s_load_dwordx2 s[6:7], s[0:1], 0x0
	s_load_dwordx4 s[12:15], s[0:1], 0x10
	v_lshlrev_b32_e32 v2, 1, v0
	s_waitcnt lgkmcnt(0)
	s_ashr_i32 s22, s3, 31
	s_add_u32 s16, s6, s4
	s_addc_u32 s17, s7, s5
	s_load_dwordx2 s[18:19], s[16:17], 0x0
	s_load_dwordx2 s[24:25], s[0:1], 0x20
	s_load_dwordx8 s[4:11], s[0:1], 0x30
	s_load_dwordx2 s[20:21], s[0:1], 0x58
	s_load_dword s23, s[0:1], 0x50
	s_waitcnt lgkmcnt(0)
	s_mul_i32 s16, s18, s22
	s_mul_hi_u32 s17, s18, s3
	s_mul_i32 s19, s19, s3
	s_add_i32 s16, s17, s16
	s_add_i32 s29, s16, s19
	s_lshr_b32 s16, s3, 31
	s_mul_i32 s28, s18, s3
	s_add_i32 s3, s3, s16
	s_ashr_i32 s22, s3, 1
	s_mul_i32 s3, s22, s23
	v_cmp_gt_i32_e32 vcc, s3, v0
	s_and_saveexec_b64 s[16:17], vcc
	s_cbranch_execz .LBB79_4
; %bb.2:
	s_load_dwordx2 s[30:31], s[0:1], 0x8
	s_load_dword s34, s[0:1], 0x8c
	s_lshl_b64 s[18:19], s[28:29], 2
	s_add_u32 s18, s24, s18
	s_mul_i32 s5, s2, s5
	s_mul_hi_u32 s33, s2, s4
	s_addc_u32 s19, s25, s19
	s_add_i32 s5, s33, s5
	s_mul_i32 s4, s2, s4
	s_ashr_i32 s23, s22, 31
	s_lshl_b64 s[4:5], s[4:5], 1
	s_waitcnt lgkmcnt(0)
	s_add_u32 s4, s30, s4
	s_addc_u32 s5, s31, s5
	s_abs_i32 s33, s22
	v_cvt_f32_u32_e32 v1, s33
	s_sub_i32 s30, 0, s33
	s_and_b32 s34, s34, 0xffff
	s_sub_i32 s35, 0, s22
	v_rcp_iflag_f32_e32 v1, v1
	s_lshl_b32 s37, s34, 1
	v_mov_b32_e32 v4, v2
	v_mov_b32_e32 v6, v0
	v_mul_f32_e32 v1, 0x4f7ffffe, v1
	v_cvt_u32_f32_e32 v1, v1
	v_mul_lo_u32 v3, s30, v1
	v_mul_hi_u32 v3, v1, v3
	s_lshl_b32 s30, s22, 1
	v_add_u32_e32 v1, v1, v3
	s_sub_i32 s36, 0, s30
	s_mov_b64 s[30:31], 0
.LBB79_3:                               ; =>This Inner Loop Header: Depth=1
	v_sub_u32_e32 v5, 0, v6
	v_max_i32_e32 v5, v6, v5
	v_mul_hi_u32 v7, v5, v1
	v_mul_lo_u32 v8, v7, s33
	v_sub_u32_e32 v5, v5, v8
	v_add_u32_e32 v9, 1, v7
	v_cmp_le_u32_e32 vcc, s33, v5
	v_subrev_u32_e32 v8, s33, v5
	v_ashrrev_i32_e32 v3, 31, v6
	v_cndmask_b32_e32 v7, v7, v9, vcc
	v_cndmask_b32_e32 v5, v5, v8, vcc
	v_add_u32_e32 v8, 1, v7
	v_cmp_le_u32_e32 vcc, s33, v5
	v_xor_b32_e32 v3, s23, v3
	s_nop 0
	v_cndmask_b32_e32 v5, v7, v8, vcc
	v_xor_b32_e32 v5, v5, v3
	v_sub_u32_e32 v3, v5, v3
	v_mad_u64_u32 v[8:9], s[38:39], s35, v3, v[6:7]
	v_ashrrev_i32_e32 v5, 31, v3
	v_ashrrev_i32_e32 v9, 31, v8
	v_mul_lo_u32 v7, v3, s7
	v_mad_u64_u32 v[10:11], s[38:39], v3, s6, 0
	v_mad_u64_u32 v[12:13], s[38:39], s36, v3, v[4:5]
	v_mul_lo_u32 v3, v5, s6
	v_lshl_add_u64 v[8:9], v[8:9], 2, s[18:19]
	v_add3_u32 v11, v11, v7, v3
	v_lshl_add_u64 v[14:15], s[22:23], 2, v[8:9]
	global_load_dword v3, v[8:9], off
	global_load_dword v5, v[14:15], off
	v_ashrrev_i32_e32 v13, 31, v12
	v_lshl_add_u64 v[10:11], v[10:11], 1, s[4:5]
	v_lshl_add_u64 v[8:9], v[12:13], 1, v[10:11]
	global_load_dword v7, v[8:9], off
	v_add_u32_e32 v6, s34, v6
	v_cmp_le_i32_e32 vcc, s3, v6
	v_add_u32_e32 v4, s37, v4
	s_or_b64 s[30:31], vcc, s[30:31]
	s_waitcnt vmcnt(2)
	v_cvt_f16_f32_e32 v3, v3
	s_waitcnt vmcnt(1)
	v_cvt_f16_f32_e32 v5, v5
	s_waitcnt vmcnt(0)
	v_mul_f16_sdwa v10, v7, v3 dst_sel:DWORD dst_unused:UNUSED_PAD src0_sel:WORD_1 src1_sel:DWORD
	v_mul_f16_sdwa v11, v7, v5 dst_sel:DWORD dst_unused:UNUSED_PAD src0_sel:WORD_1 src1_sel:DWORD
	v_fma_f16 v5, v7, v5, v10
	v_fma_f16 v3, v7, v3, -v11
	v_pack_b32_f16 v3, v3, v5
	global_store_dword v[8:9], v3, off
	s_andn2_b64 exec, exec, s[30:31]
	s_cbranch_execnz .LBB79_3
.LBB79_4:
	s_or_b64 exec, exec, s[16:17]
	s_load_dwordx4 s[16:19], s[0:1], 0x68
	s_waitcnt lgkmcnt(0)
	s_ashr_i32 s35, s19, 31
	s_mov_b32 s34, s19
	s_or_b64 s[4:5], s[26:27], s[34:35]
	s_mov_b32 s4, 0
	s_cmp_lg_u64 s[4:5], 0
	s_cbranch_scc0 .LBB79_14
; %bb.5:
	s_add_u32 s4, s34, s35
	s_mov_b32 s6, s35
	s_mov_b32 s7, s35
	s_addc_u32 s5, s35, s35
	s_xor_b64 s[36:37], s[4:5], s[6:7]
	v_cvt_f32_u32_e32 v1, s36
	v_cvt_f32_u32_e32 v3, s37
	s_sub_u32 s3, 0, s36
	s_subb_u32 s4, 0, s37
	v_fmamk_f32 v1, v3, 0x4f800000, v1
	v_rcp_f32_e32 v1, v1
	s_nop 0
	v_mul_f32_e32 v1, 0x5f7ffffc, v1
	v_mul_f32_e32 v3, 0x2f800000, v1
	v_trunc_f32_e32 v3, v3
	v_fmamk_f32 v1, v3, 0xcf800000, v1
	v_cvt_u32_f32_e32 v3, v3
	v_cvt_u32_f32_e32 v1, v1
	v_readfirstlane_b32 s5, v3
	v_readfirstlane_b32 s19, v1
	s_mul_i32 s23, s3, s5
	s_mul_hi_u32 s38, s3, s19
	s_mul_i32 s33, s4, s19
	s_add_i32 s23, s38, s23
	s_add_i32 s23, s23, s33
	s_mul_i32 s39, s3, s19
	s_mul_hi_u32 s33, s19, s23
	s_mul_i32 s38, s19, s23
	s_mul_hi_u32 s19, s19, s39
	s_add_u32 s19, s19, s38
	s_addc_u32 s33, 0, s33
	s_mul_hi_u32 s40, s5, s39
	s_mul_i32 s39, s5, s39
	s_add_u32 s19, s19, s39
	s_mul_hi_u32 s38, s5, s23
	s_addc_u32 s19, s33, s40
	s_addc_u32 s33, s38, 0
	s_mul_i32 s23, s5, s23
	s_add_u32 s19, s19, s23
	s_addc_u32 s23, 0, s33
	v_add_co_u32_e32 v1, vcc, s19, v1
	s_cmp_lg_u64 vcc, 0
	s_addc_u32 s5, s5, s23
	v_readfirstlane_b32 s23, v1
	s_mul_i32 s19, s3, s5
	s_mul_hi_u32 s33, s3, s23
	s_add_i32 s19, s33, s19
	s_mul_i32 s4, s4, s23
	s_add_i32 s19, s19, s4
	s_mul_i32 s3, s3, s23
	s_mul_hi_u32 s33, s5, s3
	s_mul_i32 s38, s5, s3
	s_mul_i32 s40, s23, s19
	s_mul_hi_u32 s3, s23, s3
	s_mul_hi_u32 s39, s23, s19
	s_add_u32 s3, s3, s40
	s_addc_u32 s23, 0, s39
	s_add_u32 s3, s3, s38
	s_mul_hi_u32 s4, s5, s19
	s_addc_u32 s3, s23, s33
	s_addc_u32 s4, s4, 0
	s_mul_i32 s19, s5, s19
	s_add_u32 s3, s3, s19
	s_addc_u32 s4, 0, s4
	v_add_co_u32_e32 v1, vcc, s3, v1
	s_cmp_lg_u64 vcc, 0
	s_addc_u32 s3, s5, s4
	s_ashr_i32 s38, s27, 31
	s_add_u32 s4, s26, s38
	s_mov_b32 s39, s38
	s_addc_u32 s5, s27, s38
	s_xor_b64 s[40:41], s[4:5], s[38:39]
	v_readfirstlane_b32 s19, v1
	s_mul_i32 s5, s40, s3
	s_mul_hi_u32 s23, s40, s19
	s_mul_hi_u32 s4, s40, s3
	s_add_u32 s5, s23, s5
	s_addc_u32 s4, 0, s4
	s_mul_hi_u32 s33, s41, s19
	s_mul_i32 s19, s41, s19
	s_add_u32 s5, s5, s19
	s_mul_hi_u32 s23, s41, s3
	s_addc_u32 s4, s4, s33
	s_addc_u32 s5, s23, 0
	s_mul_i32 s3, s41, s3
	s_add_u32 s3, s4, s3
	s_addc_u32 s19, 0, s5
	s_mul_i32 s4, s36, s19
	s_mul_hi_u32 s5, s36, s3
	s_add_i32 s4, s5, s4
	s_mul_i32 s5, s37, s3
	s_add_i32 s23, s4, s5
	s_mul_i32 s5, s36, s3
	v_mov_b32_e32 v1, s5
	s_sub_i32 s4, s41, s23
	v_sub_co_u32_e32 v1, vcc, s40, v1
	s_cmp_lg_u64 vcc, 0
	s_subb_u32 s33, s4, s37
	v_subrev_co_u32_e64 v3, s[4:5], s36, v1
	s_cmp_lg_u64 s[4:5], 0
	s_subb_u32 s4, s33, 0
	s_cmp_ge_u32 s4, s37
	v_readfirstlane_b32 s33, v3
	s_cselect_b32 s5, -1, 0
	s_cmp_ge_u32 s33, s36
	s_cselect_b32 s33, -1, 0
	s_cmp_eq_u32 s4, s37
	s_cselect_b32 s4, s33, s5
	s_add_u32 s5, s3, 1
	s_addc_u32 s33, s19, 0
	s_add_u32 s40, s3, 2
	s_addc_u32 s42, s19, 0
	s_cmp_lg_u32 s4, 0
	s_cselect_b32 s4, s40, s5
	s_cselect_b32 s5, s42, s33
	s_cmp_lg_u64 vcc, 0
	s_subb_u32 s23, s41, s23
	s_cmp_ge_u32 s23, s37
	v_readfirstlane_b32 s40, v1
	s_cselect_b32 s33, -1, 0
	s_cmp_ge_u32 s40, s36
	s_cselect_b32 s36, -1, 0
	s_cmp_eq_u32 s23, s37
	s_cselect_b32 s23, s36, s33
	s_cmp_lg_u32 s23, 0
	s_cselect_b32 s5, s5, s19
	s_cselect_b32 s4, s4, s3
	s_xor_b64 s[6:7], s[38:39], s[6:7]
	s_xor_b64 s[4:5], s[4:5], s[6:7]
	s_sub_u32 s6, s4, s6
	s_subb_u32 s7, s5, s7
	s_cbranch_execnz .LBB79_7
.LBB79_6:
	v_cvt_f32_u32_e32 v1, s34
	s_sub_i32 s3, 0, s34
	s_mov_b32 s7, 0
	v_rcp_iflag_f32_e32 v1, v1
	s_nop 0
	v_mul_f32_e32 v1, 0x4f7ffffe, v1
	v_cvt_u32_f32_e32 v1, v1
	s_nop 0
	v_readfirstlane_b32 s4, v1
	s_mul_i32 s3, s3, s4
	s_mul_hi_u32 s3, s4, s3
	s_add_i32 s4, s4, s3
	s_mul_hi_u32 s3, s26, s4
	s_mul_i32 s5, s3, s34
	s_sub_i32 s5, s26, s5
	s_add_i32 s4, s3, 1
	s_sub_i32 s6, s5, s34
	s_cmp_ge_u32 s5, s34
	s_cselect_b32 s3, s4, s3
	s_cselect_b32 s5, s6, s5
	s_add_i32 s4, s3, 1
	s_cmp_ge_u32 s5, s34
	s_cselect_b32 s6, s4, s3
.LBB79_7:
	s_mul_i32 s3, s6, s35
	s_mul_hi_u32 s4, s6, s34
	s_load_dwordx2 s[30:31], s[0:1], 0x78
	s_add_i32 s3, s4, s3
	s_mul_i32 s4, s7, s34
	s_add_i32 s3, s3, s4
	s_mul_i32 s4, s6, s34
	s_sub_u32 s33, s26, s4
	s_subb_u32 s3, s27, s3
	v_cmp_gt_i32_e32 vcc, s22, v0
	s_mul_hi_u32 s35, s6, s16
	s_mul_i32 s36, s7, s16
	s_mul_i32 s37, s6, s16
	s_mul_hi_u32 s34, s33, s17
	s_mul_i32 s7, s3, s17
	s_mul_i32 s19, s33, s17
	s_and_saveexec_b64 s[26:27], vcc
	s_cbranch_execz .LBB79_10
; %bb.8:
	s_ashr_i32 s3, s16, 31
	s_mul_i32 s3, s6, s3
	s_load_dword s4, s[0:1], 0x8c
	s_add_i32 s3, s35, s3
	s_add_i32 s39, s3, s36
	s_ashr_i32 s3, s17, 31
	s_mul_i32 s3, s33, s3
	s_add_i32 s3, s34, s3
	s_ashr_i32 s23, s22, 31
	s_add_i32 s40, s3, s7
	s_ashr_i32 s41, s18, 31
	s_waitcnt lgkmcnt(0)
	s_and_b32 s38, s4, 0xffff
	s_lshl_b64 s[4:5], s[28:29], 2
	s_add_u32 s4, s24, s4
	v_lshlrev_b32_e32 v8, 2, v0
	v_mov_b32_e32 v9, 0
	s_addc_u32 s5, s25, s5
	s_lshl_b32 s24, s38, 2
	v_lshl_add_u64 v[4:5], s[4:5], 0, v[8:9]
	s_add_u32 s4, s37, s19
	s_addc_u32 s5, s39, s40
	v_lshl_add_u64 v[6:7], s[22:23], 2, v[4:5]
	s_add_u32 s23, s20, s18
	s_addc_u32 s25, s21, s41
	s_add_u32 s4, s23, s4
	v_mov_b32_e32 v3, v9
	s_addc_u32 s5, s25, s5
	v_lshl_add_u64 v[2:3], s[4:5], 0, v[2:3]
	s_mul_i32 s4, s9, s2
	s_mul_hi_u32 s5, s8, s2
	s_load_dword s3, s[30:31], 0x0
	s_add_i32 s5, s5, s4
	s_mul_i32 s4, s8, s2
	s_lshl_b32 s28, s38, 1
	s_lshl_b64 s[4:5], s[4:5], 1
	s_add_u32 s4, s12, s4
	s_addc_u32 s5, s13, s5
	s_mov_b32 s29, 0
	v_lshl_add_u64 v[2:3], v[2:3], 0, 1
	v_lshl_add_u64 v[8:9], s[4:5], 0, v[8:9]
	s_mov_b64 s[8:9], 0
	s_mov_b32 s23, 0x7f800000
	s_mov_b32 s25, 0x43700000
	v_mov_b32_e32 v1, 0xc3700000
	s_mov_b64 s[12:13], 0
	v_mov_b32_e32 v10, v0
.LBB79_9:                               ; =>This Inner Loop Header: Depth=1
	v_lshl_add_u64 v[14:15], v[6:7], 0, s[12:13]
	v_lshl_add_u64 v[12:13], v[4:5], 0, s[12:13]
	;; [unrolled: 1-line block ×3, first 2 shown]
	global_load_dword v11, v[14:15], off
	global_load_dword v18, v[12:13], off
	;; [unrolled: 1-line block ×3, first 2 shown]
	v_add_u32_e32 v10, s38, v10
	s_add_u32 s12, s12, s24
	s_addc_u32 s13, s13, 0
	v_cmp_le_i32_e32 vcc, s22, v10
	s_or_b64 s[8:9], vcc, s[8:9]
	v_mov_b32_e32 v13, 0
	v_mov_b32_e32 v12, 0
	s_waitcnt vmcnt(2)
	v_cvt_f16_f32_e32 v11, v11
	s_waitcnt vmcnt(1)
	v_cvt_f16_f32_e32 v14, v18
	s_waitcnt vmcnt(0)
	v_mul_f16_sdwa v15, v19, v11 dst_sel:DWORD dst_unused:UNUSED_PAD src0_sel:WORD_1 src1_sel:DWORD
	v_mul_f16_sdwa v18, v19, v14 dst_sel:DWORD dst_unused:UNUSED_PAD src0_sel:WORD_1 src1_sel:DWORD
	v_fma_f16 v14, v19, v14, -v15
	v_fma_f16 v11, v19, v11, v18
	v_cvt_f32_f16_e32 v15, v14
	v_pack_b32_f16 v14, v14, v11
	v_cvt_f32_f16_e32 v11, v11
	global_store_dword v[16:17], v14, off
	s_waitcnt lgkmcnt(0)
	v_div_scale_f32 v18, s[4:5], s3, s3, v15
	v_div_scale_f32 v20, s[4:5], s3, s3, v11
	v_rcp_f32_e32 v22, v18
	v_rcp_f32_e32 v23, v20
	v_div_scale_f32 v19, vcc, v15, s3, v15
	v_fma_f32 v24, -v18, v22, 1.0
	v_fma_f32 v25, -v20, v23, 1.0
	v_fmac_f32_e32 v22, v24, v22
	v_div_scale_f32 v21, s[4:5], v11, s3, v11
	v_fmac_f32_e32 v23, v25, v23
	v_mul_f32_e32 v24, v19, v22
	v_mul_f32_e32 v25, v21, v23
	v_fma_f32 v26, -v18, v24, v19
	v_fma_f32 v27, -v20, v25, v21
	v_fmac_f32_e32 v24, v26, v22
	v_fmac_f32_e32 v25, v27, v23
	v_fma_f32 v18, -v18, v24, v19
	v_fma_f32 v19, -v20, v25, v21
	v_div_fmas_f32 v18, v18, v22, v24
	s_mov_b64 vcc, s[4:5]
	v_div_fixup_f32 v15, v18, s3, v15
	v_div_fmas_f32 v18, v19, v23, v25
	v_cvt_f16_f32_e32 v15, v15
	v_div_fixup_f32 v11, v18, s3, v11
	v_cvt_f16_f32_e32 v11, v11
	v_cvt_f32_f16_e32 v15, v15
	v_cvt_f32_f16_e32 v11, v11
	v_med3_f32 v18, v15, s25, v1
	v_cmp_nlg_f32_e64 vcc, |v15|, s23
	s_nop 1
	v_cndmask_b32_e32 v15, v18, v15, vcc
	v_med3_f32 v18, v11, s25, v1
	v_cmp_nlg_f32_e64 vcc, |v11|, s23
	v_cvt_pk_fp8_f32 v12, v15, v15
	s_nop 0
	v_cndmask_b32_e32 v11, v18, v11, vcc
	v_cvt_pk_fp8_f32 v13, v11, v11
	v_lshlrev_b16_e32 v11, 8, v13
	v_or_b32_sdwa v11, v12, v11 dst_sel:DWORD dst_unused:UNUSED_PAD src0_sel:BYTE_0 src1_sel:DWORD
	global_store_short v[2:3], v11, off offset:-1
	v_lshl_add_u64 v[2:3], v[2:3], 0, s[28:29]
	s_andn2_b64 exec, exec, s[8:9]
	s_cbranch_execnz .LBB79_9
.LBB79_10:
	s_or_b64 exec, exec, s[26:27]
	v_cmp_gt_i32_e32 vcc, s18, v0
	s_and_saveexec_b64 s[4:5], vcc
	s_cbranch_execz .LBB79_13
; %bb.11:
	s_mul_i32 s3, s2, s11
	s_mul_hi_u32 s4, s2, s10
	s_add_i32 s3, s4, s3
	s_mul_i32 s2, s2, s10
	s_lshl_b64 s[2:3], s[2:3], 1
	s_add_u32 s2, s14, s2
	s_addc_u32 s3, s15, s3
	s_ashr_i32 s4, s16, 31
	s_mul_i32 s4, s6, s4
	s_add_i32 s4, s35, s4
	s_add_i32 s4, s4, s36
	s_add_u32 s5, s20, s37
	s_addc_u32 s4, s21, s4
	s_ashr_i32 s6, s17, 31
	s_mul_i32 s33, s33, s6
	s_add_i32 s6, s34, s33
	s_add_i32 s6, s6, s7
	s_load_dword s8, s[0:1], 0x8c
	s_add_u32 s0, s5, s19
	s_addc_u32 s1, s4, s6
	s_waitcnt lgkmcnt(0)
	s_load_dword s6, s[30:31], 0x0
	s_mov_b64 s[4:5], 0
	s_and_b32 s7, s8, 0xffff
	s_mov_b32 s8, 0x7f800000
	s_mov_b32 s9, 0x43700000
	v_mov_b32_e32 v2, 0xc3700000
.LBB79_12:                              ; =>This Inner Loop Header: Depth=1
	v_ashrrev_i32_e32 v1, 31, v0
	v_lshl_add_u64 v[4:5], v[0:1], 1, s[2:3]
	global_load_ushort v3, v[4:5], off
	s_waitcnt vmcnt(0)
	v_cvt_f32_f16_e32 v3, v3
	s_waitcnt lgkmcnt(0)
	v_div_scale_f32 v4, s[10:11], s6, s6, v3
	v_rcp_f32_e32 v5, v4
	v_div_scale_f32 v6, vcc, v3, s6, v3
	v_fma_f32 v7, -v4, v5, 1.0
	v_fmac_f32_e32 v5, v7, v5
	v_mul_f32_e32 v7, v6, v5
	v_fma_f32 v8, -v4, v7, v6
	v_fmac_f32_e32 v7, v8, v5
	v_fma_f32 v4, -v4, v7, v6
	v_div_fmas_f32 v4, v4, v5, v7
	v_div_fixup_f32 v3, v4, s6, v3
	v_cvt_f16_f32_e32 v3, v3
	v_mov_b32_e32 v6, 0
	v_cvt_f32_f16_e32 v3, v3
	v_med3_f32 v4, v3, s9, v2
	v_cmp_nlg_f32_e64 vcc, |v3|, s8
	s_nop 1
	v_cndmask_b32_e32 v3, v4, v3, vcc
	v_cvt_pk_fp8_f32 v6, v3, v3
	v_lshl_add_u64 v[4:5], s[0:1], 0, v[0:1]
	v_add_u32_e32 v0, s7, v0
	v_cmp_le_i32_e32 vcc, s18, v0
	s_or_b64 s[4:5], vcc, s[4:5]
	global_store_byte v[4:5], v6, off
	s_andn2_b64 exec, exec, s[4:5]
	s_cbranch_execnz .LBB79_12
.LBB79_13:
	s_endpgm
.LBB79_14:
                                        ; implicit-def: $sgpr6_sgpr7
	s_branch .LBB79_6
	.section	.rodata,"a",@progbits
	.p2align	6, 0x0
	.amdhsa_kernel _ZN4vllm38concat_and_cache_mla_rope_fused_kernelIN3c104HalfEfLb0EthLNS_18Fp8KVCacheDataTypeE1EEEvPKlPT_S7_PKS6_PKT0_illlliPT3_S5_iiiiPKf
		.amdhsa_group_segment_fixed_size 0
		.amdhsa_private_segment_fixed_size 0
		.amdhsa_kernarg_size 384
		.amdhsa_user_sgpr_count 2
		.amdhsa_user_sgpr_dispatch_ptr 0
		.amdhsa_user_sgpr_queue_ptr 0
		.amdhsa_user_sgpr_kernarg_segment_ptr 1
		.amdhsa_user_sgpr_dispatch_id 0
		.amdhsa_user_sgpr_kernarg_preload_length 0
		.amdhsa_user_sgpr_kernarg_preload_offset 0
		.amdhsa_user_sgpr_private_segment_size 0
		.amdhsa_uses_dynamic_stack 0
		.amdhsa_enable_private_segment 0
		.amdhsa_system_sgpr_workgroup_id_x 1
		.amdhsa_system_sgpr_workgroup_id_y 0
		.amdhsa_system_sgpr_workgroup_id_z 0
		.amdhsa_system_sgpr_workgroup_info 0
		.amdhsa_system_vgpr_workitem_id 0
		.amdhsa_next_free_vgpr 28
		.amdhsa_next_free_sgpr 43
		.amdhsa_accum_offset 28
		.amdhsa_reserve_vcc 1
		.amdhsa_float_round_mode_32 0
		.amdhsa_float_round_mode_16_64 0
		.amdhsa_float_denorm_mode_32 3
		.amdhsa_float_denorm_mode_16_64 3
		.amdhsa_dx10_clamp 1
		.amdhsa_ieee_mode 1
		.amdhsa_fp16_overflow 0
		.amdhsa_tg_split 0
		.amdhsa_exception_fp_ieee_invalid_op 0
		.amdhsa_exception_fp_denorm_src 0
		.amdhsa_exception_fp_ieee_div_zero 0
		.amdhsa_exception_fp_ieee_overflow 0
		.amdhsa_exception_fp_ieee_underflow 0
		.amdhsa_exception_fp_ieee_inexact 0
		.amdhsa_exception_int_div_zero 0
	.end_amdhsa_kernel
	.section	.text._ZN4vllm38concat_and_cache_mla_rope_fused_kernelIN3c104HalfEfLb0EthLNS_18Fp8KVCacheDataTypeE1EEEvPKlPT_S7_PKS6_PKT0_illlliPT3_S5_iiiiPKf,"axG",@progbits,_ZN4vllm38concat_and_cache_mla_rope_fused_kernelIN3c104HalfEfLb0EthLNS_18Fp8KVCacheDataTypeE1EEEvPKlPT_S7_PKS6_PKT0_illlliPT3_S5_iiiiPKf,comdat
.Lfunc_end79:
	.size	_ZN4vllm38concat_and_cache_mla_rope_fused_kernelIN3c104HalfEfLb0EthLNS_18Fp8KVCacheDataTypeE1EEEvPKlPT_S7_PKS6_PKT0_illlliPT3_S5_iiiiPKf, .Lfunc_end79-_ZN4vllm38concat_and_cache_mla_rope_fused_kernelIN3c104HalfEfLb0EthLNS_18Fp8KVCacheDataTypeE1EEEvPKlPT_S7_PKS6_PKT0_illlliPT3_S5_iiiiPKf
                                        ; -- End function
	.section	.AMDGPU.csdata,"",@progbits
; Kernel info:
; codeLenInByte = 2384
; NumSgprs: 49
; NumVgprs: 28
; NumAgprs: 0
; TotalNumVgprs: 28
; ScratchSize: 0
; MemoryBound: 0
; FloatMode: 240
; IeeeMode: 1
; LDSByteSize: 0 bytes/workgroup (compile time only)
; SGPRBlocks: 6
; VGPRBlocks: 3
; NumSGPRsForWavesPerEU: 49
; NumVGPRsForWavesPerEU: 28
; AccumOffset: 28
; Occupancy: 8
; WaveLimiterHint : 1
; COMPUTE_PGM_RSRC2:SCRATCH_EN: 0
; COMPUTE_PGM_RSRC2:USER_SGPR: 2
; COMPUTE_PGM_RSRC2:TRAP_HANDLER: 0
; COMPUTE_PGM_RSRC2:TGID_X_EN: 1
; COMPUTE_PGM_RSRC2:TGID_Y_EN: 0
; COMPUTE_PGM_RSRC2:TGID_Z_EN: 0
; COMPUTE_PGM_RSRC2:TIDIG_COMP_CNT: 0
; COMPUTE_PGM_RSRC3_GFX90A:ACCUM_OFFSET: 6
; COMPUTE_PGM_RSRC3_GFX90A:TG_SPLIT: 0
	.section	.text._ZN4vllm38concat_and_cache_mla_rope_fused_kernelIN3c104HalfES2_Lb1EthLNS_18Fp8KVCacheDataTypeE1EEEvPKlPT_S7_PKS6_PKT0_illlliPT3_S5_iiiiPKf,"axG",@progbits,_ZN4vllm38concat_and_cache_mla_rope_fused_kernelIN3c104HalfES2_Lb1EthLNS_18Fp8KVCacheDataTypeE1EEEvPKlPT_S7_PKS6_PKT0_illlliPT3_S5_iiiiPKf,comdat
	.protected	_ZN4vllm38concat_and_cache_mla_rope_fused_kernelIN3c104HalfES2_Lb1EthLNS_18Fp8KVCacheDataTypeE1EEEvPKlPT_S7_PKS6_PKT0_illlliPT3_S5_iiiiPKf ; -- Begin function _ZN4vllm38concat_and_cache_mla_rope_fused_kernelIN3c104HalfES2_Lb1EthLNS_18Fp8KVCacheDataTypeE1EEEvPKlPT_S7_PKS6_PKT0_illlliPT3_S5_iiiiPKf
	.globl	_ZN4vllm38concat_and_cache_mla_rope_fused_kernelIN3c104HalfES2_Lb1EthLNS_18Fp8KVCacheDataTypeE1EEEvPKlPT_S7_PKS6_PKT0_illlliPT3_S5_iiiiPKf
	.p2align	8
	.type	_ZN4vllm38concat_and_cache_mla_rope_fused_kernelIN3c104HalfES2_Lb1EthLNS_18Fp8KVCacheDataTypeE1EEEvPKlPT_S7_PKS6_PKT0_illlliPT3_S5_iiiiPKf,@function
_ZN4vllm38concat_and_cache_mla_rope_fused_kernelIN3c104HalfES2_Lb1EthLNS_18Fp8KVCacheDataTypeE1EEEvPKlPT_S7_PKS6_PKT0_illlliPT3_S5_iiiiPKf: ; @_ZN4vllm38concat_and_cache_mla_rope_fused_kernelIN3c104HalfES2_Lb1EthLNS_18Fp8KVCacheDataTypeE1EEEvPKlPT_S7_PKS6_PKT0_illlliPT3_S5_iiiiPKf
; %bb.0:
	s_load_dwordx2 s[6:7], s[0:1], 0x60
	s_mov_b32 s3, 0
	s_lshl_b64 s[4:5], s[2:3], 3
	s_waitcnt lgkmcnt(0)
	s_add_u32 s6, s6, s4
	s_addc_u32 s7, s7, s5
	s_load_dwordx2 s[30:31], s[6:7], 0x0
	s_waitcnt lgkmcnt(0)
	v_cmp_lt_i64_e64 s[6:7], s[30:31], 0
	s_and_b64 vcc, exec, s[6:7]
	s_cbranch_vccnz .LBB80_13
; %bb.1:
	s_load_dword s3, s[0:1], 0x28
	s_load_dwordx2 s[6:7], s[0:1], 0x0
	s_load_dwordx4 s[12:15], s[0:1], 0x10
	s_waitcnt lgkmcnt(0)
	s_ashr_i32 s22, s3, 31
	s_add_u32 s16, s6, s4
	s_addc_u32 s17, s7, s5
	s_load_dwordx2 s[18:19], s[16:17], 0x0
	s_load_dwordx2 s[26:27], s[0:1], 0x20
	s_load_dwordx8 s[4:11], s[0:1], 0x30
	s_load_dwordx2 s[20:21], s[0:1], 0x58
	s_load_dword s25, s[0:1], 0x50
	s_waitcnt lgkmcnt(0)
	s_mul_i32 s16, s18, s22
	s_mul_hi_u32 s17, s18, s3
	s_mul_i32 s19, s19, s3
	s_add_i32 s16, s17, s16
	s_add_i32 s17, s16, s19
	s_mul_i32 s16, s18, s3
	s_lshl_b64 s[28:29], s[16:17], 1
	s_add_u32 s22, s26, s28
	s_addc_u32 s23, s27, s29
	s_lshr_b32 s16, s3, 31
	s_add_i32 s3, s3, s16
	s_ashr_i32 s24, s3, 1
	s_mul_i32 s3, s24, s25
	v_cmp_gt_i32_e32 vcc, s3, v0
	s_and_saveexec_b64 s[16:17], vcc
	s_cbranch_execz .LBB80_4
; %bb.2:
	s_load_dwordx2 s[18:19], s[0:1], 0x8
	s_load_dword s34, s[0:1], 0x8c
	s_mul_i32 s5, s2, s5
	s_mul_hi_u32 s33, s2, s4
	s_add_i32 s5, s33, s5
	s_mul_i32 s4, s2, s4
	s_ashr_i32 s25, s24, 31
	s_lshl_b64 s[4:5], s[4:5], 1
	s_waitcnt lgkmcnt(0)
	s_add_u32 s4, s18, s4
	s_addc_u32 s5, s19, s5
	s_abs_i32 s33, s24
	v_cvt_f32_u32_e32 v1, s33
	s_sub_i32 s38, 0, s33
	s_mov_b64 s[18:19], 0
	s_and_b32 s36, s34, 0xffff
	v_rcp_iflag_f32_e32 v1, v1
	s_sub_i32 s37, 0, s24
	s_lshl_b64 s[34:35], s[24:25], 1
	v_mul_f32_e32 v1, 0x4f7ffffe, v1
	v_cvt_u32_f32_e32 v1, v1
	v_mul_lo_u32 v2, s38, v1
	v_mul_hi_u32 v2, v1, v2
	v_add_u32_e32 v1, v1, v2
	v_mov_b32_e32 v2, v0
.LBB80_3:                               ; =>This Inner Loop Header: Depth=1
	v_sub_u32_e32 v4, 0, v2
	v_max_i32_e32 v4, v2, v4
	v_mul_hi_u32 v5, v4, v1
	v_mul_lo_u32 v6, v5, s33
	v_sub_u32_e32 v4, v4, v6
	v_add_u32_e32 v7, 1, v5
	v_cmp_le_u32_e32 vcc, s33, v4
	v_subrev_u32_e32 v6, s33, v4
	v_ashrrev_i32_e32 v3, 31, v2
	v_cndmask_b32_e32 v5, v5, v7, vcc
	v_cndmask_b32_e32 v4, v4, v6, vcc
	v_add_u32_e32 v6, 1, v5
	v_cmp_le_u32_e32 vcc, s33, v4
	v_xor_b32_e32 v3, s25, v3
	s_nop 0
	v_cndmask_b32_e32 v4, v5, v6, vcc
	v_xor_b32_e32 v4, v4, v3
	v_sub_u32_e32 v3, v4, v3
	v_ashrrev_i32_e32 v8, 31, v3
	v_mad_u64_u32 v[4:5], s[38:39], s37, v3, v[2:3]
	v_mul_lo_u32 v9, v3, s7
	v_mad_u64_u32 v[6:7], s[38:39], v3, s6, 0
	v_mul_lo_u32 v3, v8, s6
	v_ashrrev_i32_e32 v5, 31, v4
	v_add3_u32 v7, v7, v9, v3
	v_lshlrev_b64 v[4:5], 1, v[4:5]
	v_lshl_add_u64 v[6:7], v[6:7], 1, s[4:5]
	v_lshl_add_u64 v[8:9], s[22:23], 0, v[4:5]
	;; [unrolled: 1-line block ×4, first 2 shown]
	global_load_ushort v3, v[8:9], off
	global_load_ushort v12, v[10:11], off
	v_lshl_add_u64 v[6:7], v[4:5], 0, s[34:35]
	global_load_ushort v8, v[4:5], off
	global_load_ushort v9, v[6:7], off
	v_add_u32_e32 v2, s36, v2
	v_cmp_le_i32_e32 vcc, s3, v2
	s_or_b64 s[18:19], vcc, s[18:19]
	s_waitcnt vmcnt(0)
	v_mul_f16_e32 v10, v12, v9
	v_mul_f16_e32 v9, v3, v9
	v_fma_f16 v3, v3, v8, -v10
	v_fma_f16 v8, v12, v8, v9
	global_store_short v[4:5], v3, off
	global_store_short v[6:7], v8, off
	s_andn2_b64 exec, exec, s[18:19]
	s_cbranch_execnz .LBB80_3
.LBB80_4:
	s_or_b64 exec, exec, s[16:17]
	s_load_dwordx4 s[16:19], s[0:1], 0x68
	s_waitcnt lgkmcnt(0)
	s_ashr_i32 s37, s19, 31
	s_mov_b32 s36, s19
	s_or_b64 s[4:5], s[30:31], s[36:37]
	s_mov_b32 s4, 0
	s_cmp_lg_u64 s[4:5], 0
	s_cbranch_scc0 .LBB80_14
; %bb.5:
	s_add_u32 s4, s36, s37
	s_mov_b32 s6, s37
	s_mov_b32 s7, s37
	s_addc_u32 s5, s37, s37
	s_xor_b64 s[38:39], s[4:5], s[6:7]
	v_cvt_f32_u32_e32 v1, s38
	v_cvt_f32_u32_e32 v2, s39
	s_sub_u32 s3, 0, s38
	s_subb_u32 s4, 0, s39
	v_fmamk_f32 v1, v2, 0x4f800000, v1
	v_rcp_f32_e32 v1, v1
	s_nop 0
	v_mul_f32_e32 v1, 0x5f7ffffc, v1
	v_mul_f32_e32 v2, 0x2f800000, v1
	v_trunc_f32_e32 v2, v2
	v_fmamk_f32 v1, v2, 0xcf800000, v1
	v_cvt_u32_f32_e32 v2, v2
	v_cvt_u32_f32_e32 v1, v1
	v_readfirstlane_b32 s5, v2
	v_readfirstlane_b32 s19, v1
	s_mul_i32 s25, s3, s5
	s_mul_hi_u32 s40, s3, s19
	s_mul_i32 s33, s4, s19
	s_add_i32 s25, s40, s25
	s_add_i32 s25, s25, s33
	s_mul_i32 s41, s3, s19
	s_mul_hi_u32 s33, s19, s25
	s_mul_i32 s40, s19, s25
	s_mul_hi_u32 s19, s19, s41
	s_add_u32 s19, s19, s40
	s_addc_u32 s33, 0, s33
	s_mul_hi_u32 s42, s5, s41
	s_mul_i32 s41, s5, s41
	s_add_u32 s19, s19, s41
	s_mul_hi_u32 s40, s5, s25
	s_addc_u32 s19, s33, s42
	s_addc_u32 s33, s40, 0
	s_mul_i32 s25, s5, s25
	s_add_u32 s19, s19, s25
	s_addc_u32 s25, 0, s33
	v_add_co_u32_e32 v1, vcc, s19, v1
	s_cmp_lg_u64 vcc, 0
	s_addc_u32 s5, s5, s25
	v_readfirstlane_b32 s25, v1
	s_mul_i32 s19, s3, s5
	s_mul_hi_u32 s33, s3, s25
	s_add_i32 s19, s33, s19
	s_mul_i32 s4, s4, s25
	s_add_i32 s19, s19, s4
	s_mul_i32 s3, s3, s25
	s_mul_hi_u32 s33, s5, s3
	s_mul_i32 s40, s5, s3
	s_mul_i32 s42, s25, s19
	s_mul_hi_u32 s3, s25, s3
	s_mul_hi_u32 s41, s25, s19
	s_add_u32 s3, s3, s42
	s_addc_u32 s25, 0, s41
	s_add_u32 s3, s3, s40
	s_mul_hi_u32 s4, s5, s19
	s_addc_u32 s3, s25, s33
	s_addc_u32 s4, s4, 0
	s_mul_i32 s19, s5, s19
	s_add_u32 s3, s3, s19
	s_addc_u32 s4, 0, s4
	v_add_co_u32_e32 v1, vcc, s3, v1
	s_cmp_lg_u64 vcc, 0
	s_addc_u32 s3, s5, s4
	s_ashr_i32 s40, s31, 31
	s_add_u32 s4, s30, s40
	s_mov_b32 s41, s40
	s_addc_u32 s5, s31, s40
	s_xor_b64 s[42:43], s[4:5], s[40:41]
	v_readfirstlane_b32 s19, v1
	s_mul_i32 s5, s42, s3
	s_mul_hi_u32 s25, s42, s19
	s_mul_hi_u32 s4, s42, s3
	s_add_u32 s5, s25, s5
	s_addc_u32 s4, 0, s4
	s_mul_hi_u32 s33, s43, s19
	s_mul_i32 s19, s43, s19
	s_add_u32 s5, s5, s19
	s_mul_hi_u32 s25, s43, s3
	s_addc_u32 s4, s4, s33
	s_addc_u32 s5, s25, 0
	s_mul_i32 s3, s43, s3
	s_add_u32 s3, s4, s3
	s_addc_u32 s19, 0, s5
	s_mul_i32 s4, s38, s19
	s_mul_hi_u32 s5, s38, s3
	s_add_i32 s4, s5, s4
	s_mul_i32 s5, s39, s3
	s_add_i32 s25, s4, s5
	s_mul_i32 s5, s38, s3
	v_mov_b32_e32 v1, s5
	s_sub_i32 s4, s43, s25
	v_sub_co_u32_e32 v1, vcc, s42, v1
	s_cmp_lg_u64 vcc, 0
	s_subb_u32 s33, s4, s39
	v_subrev_co_u32_e64 v2, s[4:5], s38, v1
	s_cmp_lg_u64 s[4:5], 0
	s_subb_u32 s4, s33, 0
	s_cmp_ge_u32 s4, s39
	v_readfirstlane_b32 s33, v2
	s_cselect_b32 s5, -1, 0
	s_cmp_ge_u32 s33, s38
	s_cselect_b32 s33, -1, 0
	s_cmp_eq_u32 s4, s39
	s_cselect_b32 s4, s33, s5
	s_add_u32 s5, s3, 1
	s_addc_u32 s33, s19, 0
	s_add_u32 s42, s3, 2
	s_addc_u32 s44, s19, 0
	s_cmp_lg_u32 s4, 0
	s_cselect_b32 s4, s42, s5
	s_cselect_b32 s5, s44, s33
	s_cmp_lg_u64 vcc, 0
	s_subb_u32 s25, s43, s25
	s_cmp_ge_u32 s25, s39
	v_readfirstlane_b32 s42, v1
	s_cselect_b32 s33, -1, 0
	s_cmp_ge_u32 s42, s38
	s_cselect_b32 s38, -1, 0
	s_cmp_eq_u32 s25, s39
	s_cselect_b32 s25, s38, s33
	s_cmp_lg_u32 s25, 0
	s_cselect_b32 s5, s5, s19
	s_cselect_b32 s4, s4, s3
	s_xor_b64 s[6:7], s[40:41], s[6:7]
	s_xor_b64 s[4:5], s[4:5], s[6:7]
	s_sub_u32 s6, s4, s6
	s_subb_u32 s7, s5, s7
	s_cbranch_execnz .LBB80_7
.LBB80_6:
	v_cvt_f32_u32_e32 v1, s36
	s_sub_i32 s3, 0, s36
	s_mov_b32 s7, 0
	v_rcp_iflag_f32_e32 v1, v1
	s_nop 0
	v_mul_f32_e32 v1, 0x4f7ffffe, v1
	v_cvt_u32_f32_e32 v1, v1
	s_nop 0
	v_readfirstlane_b32 s4, v1
	s_mul_i32 s3, s3, s4
	s_mul_hi_u32 s3, s4, s3
	s_add_i32 s4, s4, s3
	s_mul_hi_u32 s3, s30, s4
	s_mul_i32 s5, s3, s36
	s_sub_i32 s5, s30, s5
	s_add_i32 s4, s3, 1
	s_sub_i32 s6, s5, s36
	s_cmp_ge_u32 s5, s36
	s_cselect_b32 s3, s4, s3
	s_cselect_b32 s5, s6, s5
	s_add_i32 s4, s3, 1
	s_cmp_ge_u32 s5, s36
	s_cselect_b32 s6, s4, s3
.LBB80_7:
	s_mul_i32 s3, s6, s37
	s_mul_hi_u32 s4, s6, s36
	s_load_dwordx2 s[34:35], s[0:1], 0x78
	s_add_i32 s3, s4, s3
	s_mul_i32 s4, s7, s36
	s_add_i32 s3, s3, s4
	s_mul_i32 s4, s6, s36
	s_sub_u32 s33, s30, s4
	s_subb_u32 s3, s31, s3
	v_cmp_gt_i32_e32 vcc, s24, v0
	s_mul_hi_u32 s39, s6, s16
	s_mul_i32 s40, s7, s16
	s_mul_i32 s41, s6, s16
	s_mul_hi_u32 s38, s33, s17
	s_mul_i32 s7, s3, s17
	s_mul_i32 s19, s33, s17
	s_and_saveexec_b64 s[30:31], vcc
	s_cbranch_execz .LBB80_10
; %bb.8:
	s_mul_i32 s3, s2, s9
	s_mul_hi_u32 s4, s2, s8
	s_add_i32 s5, s4, s3
	s_mul_i32 s4, s2, s8
	s_ashr_i32 s25, s24, 31
	s_lshl_b64 s[4:5], s[4:5], 1
	s_add_u32 s8, s12, s4
	s_addc_u32 s9, s13, s5
	s_ashr_i32 s3, s16, 31
	s_load_dword s36, s[0:1], 0x8c
	s_mul_i32 s3, s6, s3
	s_add_i32 s3, s39, s3
	s_add_i32 s43, s3, s40
	s_ashr_i32 s3, s17, 31
	s_mul_i32 s3, s33, s3
	s_add_i32 s3, s38, s3
	s_waitcnt lgkmcnt(0)
	s_and_b32 s36, s36, 0xffff
	s_add_i32 s46, s3, s7
	s_ashr_i32 s47, s18, 31
	s_lshl_b32 s42, s36, 1
	s_lshl_b64 s[44:45], s[24:25], 1
	s_add_u32 s28, s28, s44
	s_addc_u32 s29, s29, s45
	s_add_u32 s26, s26, s28
	s_addc_u32 s27, s27, s29
	;; [unrolled: 2-line block ×5, first 2 shown]
	s_load_dword s3, s[34:35], 0x0
	s_add_u32 s4, s4, s18
	s_addc_u32 s5, s5, s47
	s_add_u32 s4, s20, s4
	v_mov_b32_e32 v1, 0
	s_addc_u32 s5, s21, s5
	s_mov_b32 s37, 0
	v_lshlrev_b32_e32 v2, 1, v0
	v_mov_b32_e32 v3, v1
	v_lshl_add_u64 v[4:5], s[4:5], 0, v[0:1]
	s_mov_b64 s[28:29], 0
	s_mov_b32 s43, 0x7f800000
	s_mov_b32 s44, 0x43700000
	v_mov_b32_e32 v1, 0xc3700000
	v_mov_b32_e32 v8, v0
.LBB80_9:                               ; =>This Inner Loop Header: Depth=1
	v_lshl_add_u64 v[12:13], s[26:27], 0, v[2:3]
	v_lshl_add_u64 v[10:11], s[22:23], 0, v[2:3]
	;; [unrolled: 1-line block ×4, first 2 shown]
	global_load_ushort v9, v[12:13], off
	global_load_ushort v16, v[6:7], off
	;; [unrolled: 1-line block ×4, first 2 shown]
	s_add_u32 s22, s22, s42
	s_addc_u32 s23, s23, 0
	s_add_u32 s26, s26, s42
	s_addc_u32 s27, s27, 0
	;; [unrolled: 2-line block ×3, first 2 shown]
	v_add_u32_e32 v8, s36, v8
	s_add_u32 s8, s8, s42
	v_cmp_le_i32_e32 vcc, s24, v8
	s_addc_u32 s9, s9, 0
	s_or_b64 s[28:29], vcc, s[28:29]
	v_mov_b32_e32 v12, 0
	v_mov_b32_e32 v13, 0
	v_lshl_add_u64 v[10:11], v[4:5], 0, s[24:25]
	s_waitcnt vmcnt(2)
	v_mul_f16_e32 v19, v9, v16
	s_waitcnt vmcnt(1)
	v_mul_f16_e32 v16, v17, v16
	s_waitcnt vmcnt(0)
	v_fma_f16 v17, v17, v18, -v19
	v_fma_f16 v9, v9, v18, v16
	v_cvt_f32_f16_e32 v16, v17
	global_store_short v[14:15], v17, off
	v_cvt_f32_f16_e32 v14, v9
	s_waitcnt lgkmcnt(0)
	v_div_scale_f32 v15, s[4:5], s3, s3, v16
	v_div_scale_f32 v18, s[4:5], s3, s3, v14
	v_rcp_f32_e32 v20, v15
	v_rcp_f32_e32 v21, v18
	v_div_scale_f32 v17, vcc, v16, s3, v16
	v_fma_f32 v22, -v15, v20, 1.0
	v_fma_f32 v23, -v18, v21, 1.0
	v_fmac_f32_e32 v20, v22, v20
	v_div_scale_f32 v19, s[4:5], v14, s3, v14
	v_fmac_f32_e32 v21, v23, v21
	v_mul_f32_e32 v22, v17, v20
	v_mul_f32_e32 v23, v19, v21
	v_fma_f32 v24, -v15, v22, v17
	v_fma_f32 v25, -v18, v23, v19
	v_fmac_f32_e32 v22, v24, v20
	v_fmac_f32_e32 v23, v25, v21
	v_fma_f32 v15, -v15, v22, v17
	v_fma_f32 v17, -v18, v23, v19
	v_div_fmas_f32 v15, v15, v20, v22
	s_mov_b64 vcc, s[4:5]
	v_div_fixup_f32 v15, v15, s3, v16
	v_div_fmas_f32 v16, v17, v21, v23
	v_cvt_f16_f32_e32 v15, v15
	v_div_fixup_f32 v14, v16, s3, v14
	v_cvt_f16_f32_e32 v14, v14
	v_cvt_f32_f16_e32 v15, v15
	v_cvt_f32_f16_e32 v14, v14
	v_med3_f32 v16, v15, s44, v1
	v_cmp_nlg_f32_e64 vcc, |v15|, s43
	s_nop 1
	v_cndmask_b32_e32 v15, v16, v15, vcc
	v_med3_f32 v16, v14, s44, v1
	v_cmp_nlg_f32_e64 vcc, |v14|, s43
	v_cvt_pk_fp8_f32 v12, v15, v15
	global_store_short v[6:7], v9, off
	global_store_byte v[4:5], v12, off
	v_cndmask_b32_e32 v14, v16, v14, vcc
	v_cvt_pk_fp8_f32 v13, v14, v14
	v_lshl_add_u64 v[4:5], v[4:5], 0, s[36:37]
	global_store_byte v[10:11], v13, off
	s_andn2_b64 exec, exec, s[28:29]
	s_cbranch_execnz .LBB80_9
.LBB80_10:
	s_or_b64 exec, exec, s[30:31]
	v_cmp_gt_i32_e32 vcc, s18, v0
	s_and_saveexec_b64 s[4:5], vcc
	s_cbranch_execz .LBB80_13
; %bb.11:
	s_mul_i32 s3, s2, s11
	s_mul_hi_u32 s4, s2, s10
	s_add_i32 s3, s4, s3
	s_mul_i32 s2, s2, s10
	s_lshl_b64 s[2:3], s[2:3], 1
	s_add_u32 s2, s14, s2
	s_addc_u32 s3, s15, s3
	s_ashr_i32 s4, s16, 31
	s_mul_i32 s4, s6, s4
	s_add_i32 s4, s39, s4
	s_add_i32 s4, s4, s40
	s_add_u32 s5, s20, s41
	s_addc_u32 s4, s21, s4
	s_ashr_i32 s6, s17, 31
	s_mul_i32 s33, s33, s6
	s_add_i32 s6, s38, s33
	s_add_i32 s6, s6, s7
	s_load_dword s8, s[0:1], 0x8c
	s_add_u32 s0, s5, s19
	s_addc_u32 s1, s4, s6
	s_waitcnt lgkmcnt(0)
	s_load_dword s6, s[34:35], 0x0
	s_mov_b64 s[4:5], 0
	s_and_b32 s7, s8, 0xffff
	s_mov_b32 s8, 0x7f800000
	s_mov_b32 s9, 0x43700000
	v_mov_b32_e32 v2, 0xc3700000
.LBB80_12:                              ; =>This Inner Loop Header: Depth=1
	v_ashrrev_i32_e32 v1, 31, v0
	v_lshl_add_u64 v[4:5], v[0:1], 1, s[2:3]
	global_load_ushort v3, v[4:5], off
	s_waitcnt vmcnt(0)
	v_cvt_f32_f16_e32 v3, v3
	s_waitcnt lgkmcnt(0)
	v_div_scale_f32 v4, s[10:11], s6, s6, v3
	v_rcp_f32_e32 v5, v4
	v_div_scale_f32 v6, vcc, v3, s6, v3
	v_fma_f32 v7, -v4, v5, 1.0
	v_fmac_f32_e32 v5, v7, v5
	v_mul_f32_e32 v7, v6, v5
	v_fma_f32 v8, -v4, v7, v6
	v_fmac_f32_e32 v7, v8, v5
	v_fma_f32 v4, -v4, v7, v6
	v_div_fmas_f32 v4, v4, v5, v7
	v_div_fixup_f32 v3, v4, s6, v3
	v_cvt_f16_f32_e32 v3, v3
	v_mov_b32_e32 v6, 0
	v_cvt_f32_f16_e32 v3, v3
	v_med3_f32 v4, v3, s9, v2
	v_cmp_nlg_f32_e64 vcc, |v3|, s8
	s_nop 1
	v_cndmask_b32_e32 v3, v4, v3, vcc
	v_cvt_pk_fp8_f32 v6, v3, v3
	v_lshl_add_u64 v[4:5], s[0:1], 0, v[0:1]
	v_add_u32_e32 v0, s7, v0
	v_cmp_le_i32_e32 vcc, s18, v0
	s_or_b64 s[4:5], vcc, s[4:5]
	global_store_byte v[4:5], v6, off
	s_andn2_b64 exec, exec, s[4:5]
	s_cbranch_execnz .LBB80_12
.LBB80_13:
	s_endpgm
.LBB80_14:
                                        ; implicit-def: $sgpr6_sgpr7
	s_branch .LBB80_6
	.section	.rodata,"a",@progbits
	.p2align	6, 0x0
	.amdhsa_kernel _ZN4vllm38concat_and_cache_mla_rope_fused_kernelIN3c104HalfES2_Lb1EthLNS_18Fp8KVCacheDataTypeE1EEEvPKlPT_S7_PKS6_PKT0_illlliPT3_S5_iiiiPKf
		.amdhsa_group_segment_fixed_size 0
		.amdhsa_private_segment_fixed_size 0
		.amdhsa_kernarg_size 384
		.amdhsa_user_sgpr_count 2
		.amdhsa_user_sgpr_dispatch_ptr 0
		.amdhsa_user_sgpr_queue_ptr 0
		.amdhsa_user_sgpr_kernarg_segment_ptr 1
		.amdhsa_user_sgpr_dispatch_id 0
		.amdhsa_user_sgpr_kernarg_preload_length 0
		.amdhsa_user_sgpr_kernarg_preload_offset 0
		.amdhsa_user_sgpr_private_segment_size 0
		.amdhsa_uses_dynamic_stack 0
		.amdhsa_enable_private_segment 0
		.amdhsa_system_sgpr_workgroup_id_x 1
		.amdhsa_system_sgpr_workgroup_id_y 0
		.amdhsa_system_sgpr_workgroup_id_z 0
		.amdhsa_system_sgpr_workgroup_info 0
		.amdhsa_system_vgpr_workitem_id 0
		.amdhsa_next_free_vgpr 26
		.amdhsa_next_free_sgpr 48
		.amdhsa_accum_offset 28
		.amdhsa_reserve_vcc 1
		.amdhsa_float_round_mode_32 0
		.amdhsa_float_round_mode_16_64 0
		.amdhsa_float_denorm_mode_32 3
		.amdhsa_float_denorm_mode_16_64 3
		.amdhsa_dx10_clamp 1
		.amdhsa_ieee_mode 1
		.amdhsa_fp16_overflow 0
		.amdhsa_tg_split 0
		.amdhsa_exception_fp_ieee_invalid_op 0
		.amdhsa_exception_fp_denorm_src 0
		.amdhsa_exception_fp_ieee_div_zero 0
		.amdhsa_exception_fp_ieee_overflow 0
		.amdhsa_exception_fp_ieee_underflow 0
		.amdhsa_exception_fp_ieee_inexact 0
		.amdhsa_exception_int_div_zero 0
	.end_amdhsa_kernel
	.section	.text._ZN4vllm38concat_and_cache_mla_rope_fused_kernelIN3c104HalfES2_Lb1EthLNS_18Fp8KVCacheDataTypeE1EEEvPKlPT_S7_PKS6_PKT0_illlliPT3_S5_iiiiPKf,"axG",@progbits,_ZN4vllm38concat_and_cache_mla_rope_fused_kernelIN3c104HalfES2_Lb1EthLNS_18Fp8KVCacheDataTypeE1EEEvPKlPT_S7_PKS6_PKT0_illlliPT3_S5_iiiiPKf,comdat
.Lfunc_end80:
	.size	_ZN4vllm38concat_and_cache_mla_rope_fused_kernelIN3c104HalfES2_Lb1EthLNS_18Fp8KVCacheDataTypeE1EEEvPKlPT_S7_PKS6_PKT0_illlliPT3_S5_iiiiPKf, .Lfunc_end80-_ZN4vllm38concat_and_cache_mla_rope_fused_kernelIN3c104HalfES2_Lb1EthLNS_18Fp8KVCacheDataTypeE1EEEvPKlPT_S7_PKS6_PKT0_illlliPT3_S5_iiiiPKf
                                        ; -- End function
	.section	.AMDGPU.csdata,"",@progbits
; Kernel info:
; codeLenInByte = 2360
; NumSgprs: 54
; NumVgprs: 26
; NumAgprs: 0
; TotalNumVgprs: 26
; ScratchSize: 0
; MemoryBound: 0
; FloatMode: 240
; IeeeMode: 1
; LDSByteSize: 0 bytes/workgroup (compile time only)
; SGPRBlocks: 6
; VGPRBlocks: 3
; NumSGPRsForWavesPerEU: 54
; NumVGPRsForWavesPerEU: 26
; AccumOffset: 28
; Occupancy: 8
; WaveLimiterHint : 1
; COMPUTE_PGM_RSRC2:SCRATCH_EN: 0
; COMPUTE_PGM_RSRC2:USER_SGPR: 2
; COMPUTE_PGM_RSRC2:TRAP_HANDLER: 0
; COMPUTE_PGM_RSRC2:TGID_X_EN: 1
; COMPUTE_PGM_RSRC2:TGID_Y_EN: 0
; COMPUTE_PGM_RSRC2:TGID_Z_EN: 0
; COMPUTE_PGM_RSRC2:TIDIG_COMP_CNT: 0
; COMPUTE_PGM_RSRC3_GFX90A:ACCUM_OFFSET: 6
; COMPUTE_PGM_RSRC3_GFX90A:TG_SPLIT: 0
	.section	.text._ZN4vllm38concat_and_cache_mla_rope_fused_kernelIN3c104HalfES2_Lb0EthLNS_18Fp8KVCacheDataTypeE1EEEvPKlPT_S7_PKS6_PKT0_illlliPT3_S5_iiiiPKf,"axG",@progbits,_ZN4vllm38concat_and_cache_mla_rope_fused_kernelIN3c104HalfES2_Lb0EthLNS_18Fp8KVCacheDataTypeE1EEEvPKlPT_S7_PKS6_PKT0_illlliPT3_S5_iiiiPKf,comdat
	.protected	_ZN4vllm38concat_and_cache_mla_rope_fused_kernelIN3c104HalfES2_Lb0EthLNS_18Fp8KVCacheDataTypeE1EEEvPKlPT_S7_PKS6_PKT0_illlliPT3_S5_iiiiPKf ; -- Begin function _ZN4vllm38concat_and_cache_mla_rope_fused_kernelIN3c104HalfES2_Lb0EthLNS_18Fp8KVCacheDataTypeE1EEEvPKlPT_S7_PKS6_PKT0_illlliPT3_S5_iiiiPKf
	.globl	_ZN4vllm38concat_and_cache_mla_rope_fused_kernelIN3c104HalfES2_Lb0EthLNS_18Fp8KVCacheDataTypeE1EEEvPKlPT_S7_PKS6_PKT0_illlliPT3_S5_iiiiPKf
	.p2align	8
	.type	_ZN4vllm38concat_and_cache_mla_rope_fused_kernelIN3c104HalfES2_Lb0EthLNS_18Fp8KVCacheDataTypeE1EEEvPKlPT_S7_PKS6_PKT0_illlliPT3_S5_iiiiPKf,@function
_ZN4vllm38concat_and_cache_mla_rope_fused_kernelIN3c104HalfES2_Lb0EthLNS_18Fp8KVCacheDataTypeE1EEEvPKlPT_S7_PKS6_PKT0_illlliPT3_S5_iiiiPKf: ; @_ZN4vllm38concat_and_cache_mla_rope_fused_kernelIN3c104HalfES2_Lb0EthLNS_18Fp8KVCacheDataTypeE1EEEvPKlPT_S7_PKS6_PKT0_illlliPT3_S5_iiiiPKf
; %bb.0:
	s_load_dwordx2 s[6:7], s[0:1], 0x60
	s_mov_b32 s3, 0
	s_lshl_b64 s[4:5], s[2:3], 3
	s_waitcnt lgkmcnt(0)
	s_add_u32 s6, s6, s4
	s_addc_u32 s7, s7, s5
	s_load_dwordx2 s[26:27], s[6:7], 0x0
	s_waitcnt lgkmcnt(0)
	v_cmp_lt_i64_e64 s[6:7], s[26:27], 0
	s_and_b64 vcc, exec, s[6:7]
	s_cbranch_vccnz .LBB81_13
; %bb.1:
	s_load_dword s3, s[0:1], 0x28
	s_load_dwordx2 s[6:7], s[0:1], 0x0
	s_load_dwordx4 s[12:15], s[0:1], 0x10
	v_lshlrev_b32_e32 v2, 1, v0
	s_waitcnt lgkmcnt(0)
	s_ashr_i32 s22, s3, 31
	s_add_u32 s16, s6, s4
	s_addc_u32 s17, s7, s5
	s_load_dwordx2 s[18:19], s[16:17], 0x0
	s_load_dwordx2 s[24:25], s[0:1], 0x20
	s_load_dwordx8 s[4:11], s[0:1], 0x30
	s_load_dwordx2 s[20:21], s[0:1], 0x58
	s_load_dword s23, s[0:1], 0x50
	s_waitcnt lgkmcnt(0)
	s_mul_i32 s16, s18, s22
	s_mul_hi_u32 s17, s18, s3
	s_mul_i32 s19, s19, s3
	s_add_i32 s16, s17, s16
	s_add_i32 s29, s16, s19
	s_lshr_b32 s16, s3, 31
	s_mul_i32 s28, s18, s3
	s_add_i32 s3, s3, s16
	s_ashr_i32 s22, s3, 1
	s_mul_i32 s3, s22, s23
	v_cmp_gt_i32_e32 vcc, s3, v0
	s_and_saveexec_b64 s[16:17], vcc
	s_cbranch_execz .LBB81_4
; %bb.2:
	s_load_dwordx2 s[30:31], s[0:1], 0x8
	s_load_dword s34, s[0:1], 0x8c
	s_lshl_b64 s[18:19], s[28:29], 1
	s_add_u32 s18, s24, s18
	s_mul_i32 s5, s2, s5
	s_mul_hi_u32 s33, s2, s4
	s_addc_u32 s19, s25, s19
	s_add_i32 s5, s33, s5
	s_mul_i32 s4, s2, s4
	s_ashr_i32 s23, s22, 31
	s_lshl_b64 s[4:5], s[4:5], 1
	s_waitcnt lgkmcnt(0)
	s_add_u32 s4, s30, s4
	s_addc_u32 s5, s31, s5
	s_abs_i32 s33, s22
	v_cvt_f32_u32_e32 v1, s33
	s_sub_i32 s30, 0, s33
	s_and_b32 s34, s34, 0xffff
	s_sub_i32 s35, 0, s22
	v_rcp_iflag_f32_e32 v1, v1
	s_lshl_b32 s37, s34, 1
	v_mov_b32_e32 v4, v2
	v_mov_b32_e32 v6, v0
	v_mul_f32_e32 v1, 0x4f7ffffe, v1
	v_cvt_u32_f32_e32 v1, v1
	v_mul_lo_u32 v3, s30, v1
	v_mul_hi_u32 v3, v1, v3
	s_lshl_b32 s30, s22, 1
	v_add_u32_e32 v1, v1, v3
	s_sub_i32 s36, 0, s30
	s_mov_b64 s[30:31], 0
.LBB81_3:                               ; =>This Inner Loop Header: Depth=1
	v_sub_u32_e32 v5, 0, v6
	v_max_i32_e32 v5, v6, v5
	v_mul_hi_u32 v7, v5, v1
	v_mul_lo_u32 v8, v7, s33
	v_sub_u32_e32 v5, v5, v8
	v_add_u32_e32 v9, 1, v7
	v_cmp_le_u32_e32 vcc, s33, v5
	v_subrev_u32_e32 v8, s33, v5
	v_ashrrev_i32_e32 v3, 31, v6
	v_cndmask_b32_e32 v7, v7, v9, vcc
	v_cndmask_b32_e32 v5, v5, v8, vcc
	v_add_u32_e32 v8, 1, v7
	v_cmp_le_u32_e32 vcc, s33, v5
	v_xor_b32_e32 v3, s23, v3
	s_nop 0
	v_cndmask_b32_e32 v5, v7, v8, vcc
	v_xor_b32_e32 v5, v5, v3
	v_sub_u32_e32 v3, v5, v3
	v_ashrrev_i32_e32 v5, 31, v3
	v_mad_u64_u32 v[8:9], s[38:39], s35, v3, v[6:7]
	v_mul_lo_u32 v7, v3, s7
	v_mad_u64_u32 v[10:11], s[38:39], v3, s6, 0
	v_mad_u64_u32 v[12:13], s[38:39], s36, v3, v[4:5]
	v_mul_lo_u32 v3, v5, s6
	v_ashrrev_i32_e32 v9, 31, v8
	v_add3_u32 v11, v11, v7, v3
	v_ashrrev_i32_e32 v13, 31, v12
	v_lshl_add_u64 v[8:9], v[8:9], 1, s[18:19]
	v_lshl_add_u64 v[10:11], v[10:11], 1, s[4:5]
	;; [unrolled: 1-line block ×3, first 2 shown]
	global_load_ushort v3, v[8:9], off
	global_load_ushort v5, v[14:15], off
	v_lshl_add_u64 v[8:9], v[12:13], 1, v[10:11]
	global_load_dword v7, v[8:9], off
	v_add_u32_e32 v6, s34, v6
	v_cmp_le_i32_e32 vcc, s3, v6
	v_add_u32_e32 v4, s37, v4
	s_or_b64 s[30:31], vcc, s[30:31]
	s_waitcnt vmcnt(0)
	v_mul_f16_sdwa v10, v5, v7 dst_sel:DWORD dst_unused:UNUSED_PAD src0_sel:DWORD src1_sel:WORD_1
	v_mul_f16_sdwa v11, v3, v7 dst_sel:DWORD dst_unused:UNUSED_PAD src0_sel:DWORD src1_sel:WORD_1
	v_fma_f16 v3, v3, v7, -v10
	v_fma_f16 v5, v5, v7, v11
	v_pack_b32_f16 v3, v3, v5
	global_store_dword v[8:9], v3, off
	s_andn2_b64 exec, exec, s[30:31]
	s_cbranch_execnz .LBB81_3
.LBB81_4:
	s_or_b64 exec, exec, s[16:17]
	s_load_dwordx4 s[16:19], s[0:1], 0x68
	s_waitcnt lgkmcnt(0)
	s_ashr_i32 s35, s19, 31
	s_mov_b32 s34, s19
	s_or_b64 s[4:5], s[26:27], s[34:35]
	s_mov_b32 s4, 0
	s_cmp_lg_u64 s[4:5], 0
	s_cbranch_scc0 .LBB81_14
; %bb.5:
	s_add_u32 s4, s34, s35
	s_mov_b32 s6, s35
	s_mov_b32 s7, s35
	s_addc_u32 s5, s35, s35
	s_xor_b64 s[36:37], s[4:5], s[6:7]
	v_cvt_f32_u32_e32 v1, s36
	v_cvt_f32_u32_e32 v3, s37
	s_sub_u32 s3, 0, s36
	s_subb_u32 s4, 0, s37
	v_fmamk_f32 v1, v3, 0x4f800000, v1
	v_rcp_f32_e32 v1, v1
	s_nop 0
	v_mul_f32_e32 v1, 0x5f7ffffc, v1
	v_mul_f32_e32 v3, 0x2f800000, v1
	v_trunc_f32_e32 v3, v3
	v_fmamk_f32 v1, v3, 0xcf800000, v1
	v_cvt_u32_f32_e32 v3, v3
	v_cvt_u32_f32_e32 v1, v1
	v_readfirstlane_b32 s5, v3
	v_readfirstlane_b32 s19, v1
	s_mul_i32 s23, s3, s5
	s_mul_hi_u32 s38, s3, s19
	s_mul_i32 s33, s4, s19
	s_add_i32 s23, s38, s23
	s_add_i32 s23, s23, s33
	s_mul_i32 s39, s3, s19
	s_mul_hi_u32 s33, s19, s23
	s_mul_i32 s38, s19, s23
	s_mul_hi_u32 s19, s19, s39
	s_add_u32 s19, s19, s38
	s_addc_u32 s33, 0, s33
	s_mul_hi_u32 s40, s5, s39
	s_mul_i32 s39, s5, s39
	s_add_u32 s19, s19, s39
	s_mul_hi_u32 s38, s5, s23
	s_addc_u32 s19, s33, s40
	s_addc_u32 s33, s38, 0
	s_mul_i32 s23, s5, s23
	s_add_u32 s19, s19, s23
	s_addc_u32 s23, 0, s33
	v_add_co_u32_e32 v1, vcc, s19, v1
	s_cmp_lg_u64 vcc, 0
	s_addc_u32 s5, s5, s23
	v_readfirstlane_b32 s23, v1
	s_mul_i32 s19, s3, s5
	s_mul_hi_u32 s33, s3, s23
	s_add_i32 s19, s33, s19
	s_mul_i32 s4, s4, s23
	s_add_i32 s19, s19, s4
	s_mul_i32 s3, s3, s23
	s_mul_hi_u32 s33, s5, s3
	s_mul_i32 s38, s5, s3
	s_mul_i32 s40, s23, s19
	s_mul_hi_u32 s3, s23, s3
	s_mul_hi_u32 s39, s23, s19
	s_add_u32 s3, s3, s40
	s_addc_u32 s23, 0, s39
	s_add_u32 s3, s3, s38
	s_mul_hi_u32 s4, s5, s19
	s_addc_u32 s3, s23, s33
	s_addc_u32 s4, s4, 0
	s_mul_i32 s19, s5, s19
	s_add_u32 s3, s3, s19
	s_addc_u32 s4, 0, s4
	v_add_co_u32_e32 v1, vcc, s3, v1
	s_cmp_lg_u64 vcc, 0
	s_addc_u32 s3, s5, s4
	s_ashr_i32 s38, s27, 31
	s_add_u32 s4, s26, s38
	s_mov_b32 s39, s38
	s_addc_u32 s5, s27, s38
	s_xor_b64 s[40:41], s[4:5], s[38:39]
	v_readfirstlane_b32 s19, v1
	s_mul_i32 s5, s40, s3
	s_mul_hi_u32 s23, s40, s19
	s_mul_hi_u32 s4, s40, s3
	s_add_u32 s5, s23, s5
	s_addc_u32 s4, 0, s4
	s_mul_hi_u32 s33, s41, s19
	s_mul_i32 s19, s41, s19
	s_add_u32 s5, s5, s19
	s_mul_hi_u32 s23, s41, s3
	s_addc_u32 s4, s4, s33
	s_addc_u32 s5, s23, 0
	s_mul_i32 s3, s41, s3
	s_add_u32 s3, s4, s3
	s_addc_u32 s19, 0, s5
	s_mul_i32 s4, s36, s19
	s_mul_hi_u32 s5, s36, s3
	s_add_i32 s4, s5, s4
	s_mul_i32 s5, s37, s3
	s_add_i32 s23, s4, s5
	s_mul_i32 s5, s36, s3
	v_mov_b32_e32 v1, s5
	s_sub_i32 s4, s41, s23
	v_sub_co_u32_e32 v1, vcc, s40, v1
	s_cmp_lg_u64 vcc, 0
	s_subb_u32 s33, s4, s37
	v_subrev_co_u32_e64 v3, s[4:5], s36, v1
	s_cmp_lg_u64 s[4:5], 0
	s_subb_u32 s4, s33, 0
	s_cmp_ge_u32 s4, s37
	v_readfirstlane_b32 s33, v3
	s_cselect_b32 s5, -1, 0
	s_cmp_ge_u32 s33, s36
	s_cselect_b32 s33, -1, 0
	s_cmp_eq_u32 s4, s37
	s_cselect_b32 s4, s33, s5
	s_add_u32 s5, s3, 1
	s_addc_u32 s33, s19, 0
	s_add_u32 s40, s3, 2
	s_addc_u32 s42, s19, 0
	s_cmp_lg_u32 s4, 0
	s_cselect_b32 s4, s40, s5
	s_cselect_b32 s5, s42, s33
	s_cmp_lg_u64 vcc, 0
	s_subb_u32 s23, s41, s23
	s_cmp_ge_u32 s23, s37
	v_readfirstlane_b32 s40, v1
	s_cselect_b32 s33, -1, 0
	s_cmp_ge_u32 s40, s36
	s_cselect_b32 s36, -1, 0
	s_cmp_eq_u32 s23, s37
	s_cselect_b32 s23, s36, s33
	s_cmp_lg_u32 s23, 0
	s_cselect_b32 s5, s5, s19
	s_cselect_b32 s4, s4, s3
	s_xor_b64 s[6:7], s[38:39], s[6:7]
	s_xor_b64 s[4:5], s[4:5], s[6:7]
	s_sub_u32 s6, s4, s6
	s_subb_u32 s7, s5, s7
	s_cbranch_execnz .LBB81_7
.LBB81_6:
	v_cvt_f32_u32_e32 v1, s34
	s_sub_i32 s3, 0, s34
	s_mov_b32 s7, 0
	v_rcp_iflag_f32_e32 v1, v1
	s_nop 0
	v_mul_f32_e32 v1, 0x4f7ffffe, v1
	v_cvt_u32_f32_e32 v1, v1
	s_nop 0
	v_readfirstlane_b32 s4, v1
	s_mul_i32 s3, s3, s4
	s_mul_hi_u32 s3, s4, s3
	s_add_i32 s4, s4, s3
	s_mul_hi_u32 s3, s26, s4
	s_mul_i32 s5, s3, s34
	s_sub_i32 s5, s26, s5
	s_add_i32 s4, s3, 1
	s_sub_i32 s6, s5, s34
	s_cmp_ge_u32 s5, s34
	s_cselect_b32 s3, s4, s3
	s_cselect_b32 s5, s6, s5
	s_add_i32 s4, s3, 1
	s_cmp_ge_u32 s5, s34
	s_cselect_b32 s6, s4, s3
.LBB81_7:
	s_mul_i32 s3, s6, s35
	s_mul_hi_u32 s4, s6, s34
	s_load_dwordx2 s[30:31], s[0:1], 0x78
	s_add_i32 s3, s4, s3
	s_mul_i32 s4, s7, s34
	s_add_i32 s3, s3, s4
	s_mul_i32 s4, s6, s34
	s_sub_u32 s33, s26, s4
	s_subb_u32 s3, s27, s3
	v_cmp_gt_i32_e32 vcc, s22, v0
	s_mul_hi_u32 s35, s6, s16
	s_mul_i32 s36, s7, s16
	s_mul_i32 s37, s6, s16
	s_mul_hi_u32 s34, s33, s17
	s_mul_i32 s7, s3, s17
	s_mul_i32 s19, s33, s17
	s_and_saveexec_b64 s[26:27], vcc
	s_cbranch_execz .LBB81_10
; %bb.8:
	s_ashr_i32 s3, s16, 31
	s_mul_i32 s3, s6, s3
	s_load_dword s4, s[0:1], 0x8c
	s_add_i32 s3, s35, s3
	s_add_i32 s39, s3, s36
	s_ashr_i32 s3, s17, 31
	s_mul_i32 s3, s33, s3
	s_add_i32 s3, s34, s3
	s_ashr_i32 s23, s22, 31
	s_add_i32 s40, s3, s7
	s_ashr_i32 s41, s18, 31
	s_waitcnt lgkmcnt(0)
	s_and_b32 s38, s4, 0xffff
	s_lshl_b64 s[4:5], s[28:29], 1
	s_add_u32 s4, s24, s4
	v_mov_b32_e32 v3, 0
	s_addc_u32 s5, s25, s5
	s_lshl_b32 s24, s38, 1
	v_lshl_add_u64 v[4:5], s[4:5], 0, v[2:3]
	s_add_u32 s4, s37, s19
	s_addc_u32 s5, s39, s40
	v_lshl_add_u64 v[6:7], s[22:23], 1, v[4:5]
	s_add_u32 s23, s20, s18
	s_addc_u32 s25, s21, s41
	s_add_u32 s4, s23, s4
	s_addc_u32 s5, s25, s5
	v_lshl_add_u64 v[8:9], s[4:5], 0, v[2:3]
	s_mul_i32 s4, s9, s2
	s_mul_hi_u32 s5, s8, s2
	s_add_i32 s5, s5, s4
	s_mul_i32 s4, s8, s2
	s_load_dword s3, s[30:31], 0x0
	s_lshl_b64 s[4:5], s[4:5], 1
	s_add_u32 s4, s12, s4
	v_lshlrev_b32_e32 v2, 2, v0
	s_addc_u32 s5, s13, s5
	v_lshl_add_u64 v[2:3], s[4:5], 0, v[2:3]
	s_mov_b32 s29, 0
	v_lshl_add_u64 v[8:9], v[8:9], 0, 1
	v_lshl_add_u64 v[2:3], v[2:3], 0, 2
	s_lshl_b32 s28, s38, 2
	s_mov_b64 s[8:9], 0
	s_mov_b32 s23, 0x7f800000
	s_mov_b32 s25, 0x43700000
	v_mov_b32_e32 v1, 0xc3700000
	s_mov_b64 s[12:13], 0
	v_mov_b32_e32 v10, v0
.LBB81_9:                               ; =>This Inner Loop Header: Depth=1
	v_lshl_add_u64 v[12:13], v[4:5], 0, s[12:13]
	v_lshl_add_u64 v[14:15], v[6:7], 0, s[12:13]
	global_load_dword v11, v[2:3], off offset:-2
	global_load_ushort v16, v[14:15], off
	global_load_ushort v17, v[12:13], off
	v_lshl_add_u64 v[12:13], v[8:9], 0, s[12:13]
	v_add_u32_e32 v10, s38, v10
	s_add_u32 s12, s12, s24
	s_addc_u32 s13, s13, 0
	v_cmp_le_i32_e32 vcc, s22, v10
	s_or_b64 s[8:9], vcc, s[8:9]
	v_mov_b32_e32 v15, 0
	v_mov_b32_e32 v14, 0
	s_waitcnt vmcnt(1)
	v_mul_f16_sdwa v18, v16, v11 dst_sel:DWORD dst_unused:UNUSED_PAD src0_sel:DWORD src1_sel:WORD_1
	s_waitcnt vmcnt(0)
	v_mul_f16_sdwa v19, v17, v11 dst_sel:DWORD dst_unused:UNUSED_PAD src0_sel:DWORD src1_sel:WORD_1
	v_fma_f16 v17, v17, v11, -v18
	v_fma_f16 v11, v16, v11, v19
	v_cvt_f32_f16_e32 v16, v17
	v_pack_b32_f16 v17, v17, v11
	v_cvt_f32_f16_e32 v11, v11
	global_store_dword v[2:3], v17, off offset:-2
	s_waitcnt lgkmcnt(0)
	v_div_scale_f32 v18, s[4:5], s3, s3, v16
	v_div_scale_f32 v20, s[4:5], s3, s3, v11
	v_rcp_f32_e32 v22, v18
	v_rcp_f32_e32 v23, v20
	v_div_scale_f32 v19, vcc, v16, s3, v16
	v_fma_f32 v24, -v18, v22, 1.0
	v_fma_f32 v25, -v20, v23, 1.0
	v_fmac_f32_e32 v22, v24, v22
	v_div_scale_f32 v21, s[4:5], v11, s3, v11
	v_fmac_f32_e32 v23, v25, v23
	v_mul_f32_e32 v24, v19, v22
	v_mul_f32_e32 v25, v21, v23
	v_fma_f32 v26, -v18, v24, v19
	v_fma_f32 v27, -v20, v25, v21
	v_fmac_f32_e32 v24, v26, v22
	v_fmac_f32_e32 v25, v27, v23
	v_fma_f32 v18, -v18, v24, v19
	v_fma_f32 v19, -v20, v25, v21
	v_div_fmas_f32 v18, v18, v22, v24
	s_mov_b64 vcc, s[4:5]
	v_div_fixup_f32 v16, v18, s3, v16
	v_div_fmas_f32 v18, v19, v23, v25
	v_cvt_f16_f32_e32 v16, v16
	v_div_fixup_f32 v11, v18, s3, v11
	v_cvt_f16_f32_e32 v11, v11
	v_lshl_add_u64 v[2:3], v[2:3], 0, s[28:29]
	v_cvt_f32_f16_e32 v16, v16
	v_cvt_f32_f16_e32 v11, v11
	v_med3_f32 v18, v16, s25, v1
	v_cmp_nlg_f32_e64 vcc, |v16|, s23
	s_nop 1
	v_cndmask_b32_e32 v16, v18, v16, vcc
	v_med3_f32 v18, v11, s25, v1
	v_cmp_nlg_f32_e64 vcc, |v11|, s23
	v_cvt_pk_fp8_f32 v14, v16, v16
	s_nop 0
	v_cndmask_b32_e32 v11, v18, v11, vcc
	v_cvt_pk_fp8_f32 v15, v11, v11
	v_lshlrev_b16_e32 v11, 8, v15
	v_or_b32_sdwa v11, v14, v11 dst_sel:DWORD dst_unused:UNUSED_PAD src0_sel:BYTE_0 src1_sel:DWORD
	global_store_short v[12:13], v11, off offset:-1
	s_andn2_b64 exec, exec, s[8:9]
	s_cbranch_execnz .LBB81_9
.LBB81_10:
	s_or_b64 exec, exec, s[26:27]
	v_cmp_gt_i32_e32 vcc, s18, v0
	s_and_saveexec_b64 s[4:5], vcc
	s_cbranch_execz .LBB81_13
; %bb.11:
	s_mul_i32 s3, s2, s11
	s_mul_hi_u32 s4, s2, s10
	s_add_i32 s3, s4, s3
	s_mul_i32 s2, s2, s10
	s_lshl_b64 s[2:3], s[2:3], 1
	s_add_u32 s2, s14, s2
	s_addc_u32 s3, s15, s3
	s_ashr_i32 s4, s16, 31
	s_mul_i32 s4, s6, s4
	s_add_i32 s4, s35, s4
	s_add_i32 s4, s4, s36
	s_add_u32 s5, s20, s37
	s_addc_u32 s4, s21, s4
	s_ashr_i32 s6, s17, 31
	s_mul_i32 s33, s33, s6
	s_add_i32 s6, s34, s33
	s_add_i32 s6, s6, s7
	s_load_dword s8, s[0:1], 0x8c
	s_add_u32 s0, s5, s19
	s_addc_u32 s1, s4, s6
	s_waitcnt lgkmcnt(0)
	s_load_dword s6, s[30:31], 0x0
	s_mov_b64 s[4:5], 0
	s_and_b32 s7, s8, 0xffff
	s_mov_b32 s8, 0x7f800000
	s_mov_b32 s9, 0x43700000
	v_mov_b32_e32 v2, 0xc3700000
.LBB81_12:                              ; =>This Inner Loop Header: Depth=1
	v_ashrrev_i32_e32 v1, 31, v0
	v_lshl_add_u64 v[4:5], v[0:1], 1, s[2:3]
	global_load_ushort v3, v[4:5], off
	s_waitcnt vmcnt(0)
	v_cvt_f32_f16_e32 v3, v3
	s_waitcnt lgkmcnt(0)
	v_div_scale_f32 v4, s[10:11], s6, s6, v3
	v_rcp_f32_e32 v5, v4
	v_div_scale_f32 v6, vcc, v3, s6, v3
	v_fma_f32 v7, -v4, v5, 1.0
	v_fmac_f32_e32 v5, v7, v5
	v_mul_f32_e32 v7, v6, v5
	v_fma_f32 v8, -v4, v7, v6
	v_fmac_f32_e32 v7, v8, v5
	v_fma_f32 v4, -v4, v7, v6
	v_div_fmas_f32 v4, v4, v5, v7
	v_div_fixup_f32 v3, v4, s6, v3
	v_cvt_f16_f32_e32 v3, v3
	v_mov_b32_e32 v6, 0
	v_cvt_f32_f16_e32 v3, v3
	v_med3_f32 v4, v3, s9, v2
	v_cmp_nlg_f32_e64 vcc, |v3|, s8
	s_nop 1
	v_cndmask_b32_e32 v3, v4, v3, vcc
	v_cvt_pk_fp8_f32 v6, v3, v3
	v_lshl_add_u64 v[4:5], s[0:1], 0, v[0:1]
	v_add_u32_e32 v0, s7, v0
	v_cmp_le_i32_e32 vcc, s18, v0
	s_or_b64 s[4:5], vcc, s[4:5]
	global_store_byte v[4:5], v6, off
	s_andn2_b64 exec, exec, s[4:5]
	s_cbranch_execnz .LBB81_12
.LBB81_13:
	s_endpgm
.LBB81_14:
                                        ; implicit-def: $sgpr6_sgpr7
	s_branch .LBB81_6
	.section	.rodata,"a",@progbits
	.p2align	6, 0x0
	.amdhsa_kernel _ZN4vllm38concat_and_cache_mla_rope_fused_kernelIN3c104HalfES2_Lb0EthLNS_18Fp8KVCacheDataTypeE1EEEvPKlPT_S7_PKS6_PKT0_illlliPT3_S5_iiiiPKf
		.amdhsa_group_segment_fixed_size 0
		.amdhsa_private_segment_fixed_size 0
		.amdhsa_kernarg_size 384
		.amdhsa_user_sgpr_count 2
		.amdhsa_user_sgpr_dispatch_ptr 0
		.amdhsa_user_sgpr_queue_ptr 0
		.amdhsa_user_sgpr_kernarg_segment_ptr 1
		.amdhsa_user_sgpr_dispatch_id 0
		.amdhsa_user_sgpr_kernarg_preload_length 0
		.amdhsa_user_sgpr_kernarg_preload_offset 0
		.amdhsa_user_sgpr_private_segment_size 0
		.amdhsa_uses_dynamic_stack 0
		.amdhsa_enable_private_segment 0
		.amdhsa_system_sgpr_workgroup_id_x 1
		.amdhsa_system_sgpr_workgroup_id_y 0
		.amdhsa_system_sgpr_workgroup_id_z 0
		.amdhsa_system_sgpr_workgroup_info 0
		.amdhsa_system_vgpr_workitem_id 0
		.amdhsa_next_free_vgpr 28
		.amdhsa_next_free_sgpr 43
		.amdhsa_accum_offset 28
		.amdhsa_reserve_vcc 1
		.amdhsa_float_round_mode_32 0
		.amdhsa_float_round_mode_16_64 0
		.amdhsa_float_denorm_mode_32 3
		.amdhsa_float_denorm_mode_16_64 3
		.amdhsa_dx10_clamp 1
		.amdhsa_ieee_mode 1
		.amdhsa_fp16_overflow 0
		.amdhsa_tg_split 0
		.amdhsa_exception_fp_ieee_invalid_op 0
		.amdhsa_exception_fp_denorm_src 0
		.amdhsa_exception_fp_ieee_div_zero 0
		.amdhsa_exception_fp_ieee_overflow 0
		.amdhsa_exception_fp_ieee_underflow 0
		.amdhsa_exception_fp_ieee_inexact 0
		.amdhsa_exception_int_div_zero 0
	.end_amdhsa_kernel
	.section	.text._ZN4vllm38concat_and_cache_mla_rope_fused_kernelIN3c104HalfES2_Lb0EthLNS_18Fp8KVCacheDataTypeE1EEEvPKlPT_S7_PKS6_PKT0_illlliPT3_S5_iiiiPKf,"axG",@progbits,_ZN4vllm38concat_and_cache_mla_rope_fused_kernelIN3c104HalfES2_Lb0EthLNS_18Fp8KVCacheDataTypeE1EEEvPKlPT_S7_PKS6_PKT0_illlliPT3_S5_iiiiPKf,comdat
.Lfunc_end81:
	.size	_ZN4vllm38concat_and_cache_mla_rope_fused_kernelIN3c104HalfES2_Lb0EthLNS_18Fp8KVCacheDataTypeE1EEEvPKlPT_S7_PKS6_PKT0_illlliPT3_S5_iiiiPKf, .Lfunc_end81-_ZN4vllm38concat_and_cache_mla_rope_fused_kernelIN3c104HalfES2_Lb0EthLNS_18Fp8KVCacheDataTypeE1EEEvPKlPT_S7_PKS6_PKT0_illlliPT3_S5_iiiiPKf
                                        ; -- End function
	.section	.AMDGPU.csdata,"",@progbits
; Kernel info:
; codeLenInByte = 2360
; NumSgprs: 49
; NumVgprs: 28
; NumAgprs: 0
; TotalNumVgprs: 28
; ScratchSize: 0
; MemoryBound: 0
; FloatMode: 240
; IeeeMode: 1
; LDSByteSize: 0 bytes/workgroup (compile time only)
; SGPRBlocks: 6
; VGPRBlocks: 3
; NumSGPRsForWavesPerEU: 49
; NumVGPRsForWavesPerEU: 28
; AccumOffset: 28
; Occupancy: 8
; WaveLimiterHint : 1
; COMPUTE_PGM_RSRC2:SCRATCH_EN: 0
; COMPUTE_PGM_RSRC2:USER_SGPR: 2
; COMPUTE_PGM_RSRC2:TRAP_HANDLER: 0
; COMPUTE_PGM_RSRC2:TGID_X_EN: 1
; COMPUTE_PGM_RSRC2:TGID_Y_EN: 0
; COMPUTE_PGM_RSRC2:TGID_Z_EN: 0
; COMPUTE_PGM_RSRC2:TIDIG_COMP_CNT: 0
; COMPUTE_PGM_RSRC3_GFX90A:ACCUM_OFFSET: 6
; COMPUTE_PGM_RSRC3_GFX90A:TG_SPLIT: 0
	.section	.text._ZN4vllm38concat_and_cache_mla_rope_fused_kernelIN3c104HalfENS1_8BFloat16ELb1EthLNS_18Fp8KVCacheDataTypeE1EEEvPKlPT_S8_PKS7_PKT0_illlliPT3_S6_iiiiPKf,"axG",@progbits,_ZN4vllm38concat_and_cache_mla_rope_fused_kernelIN3c104HalfENS1_8BFloat16ELb1EthLNS_18Fp8KVCacheDataTypeE1EEEvPKlPT_S8_PKS7_PKT0_illlliPT3_S6_iiiiPKf,comdat
	.protected	_ZN4vllm38concat_and_cache_mla_rope_fused_kernelIN3c104HalfENS1_8BFloat16ELb1EthLNS_18Fp8KVCacheDataTypeE1EEEvPKlPT_S8_PKS7_PKT0_illlliPT3_S6_iiiiPKf ; -- Begin function _ZN4vllm38concat_and_cache_mla_rope_fused_kernelIN3c104HalfENS1_8BFloat16ELb1EthLNS_18Fp8KVCacheDataTypeE1EEEvPKlPT_S8_PKS7_PKT0_illlliPT3_S6_iiiiPKf
	.globl	_ZN4vllm38concat_and_cache_mla_rope_fused_kernelIN3c104HalfENS1_8BFloat16ELb1EthLNS_18Fp8KVCacheDataTypeE1EEEvPKlPT_S8_PKS7_PKT0_illlliPT3_S6_iiiiPKf
	.p2align	8
	.type	_ZN4vllm38concat_and_cache_mla_rope_fused_kernelIN3c104HalfENS1_8BFloat16ELb1EthLNS_18Fp8KVCacheDataTypeE1EEEvPKlPT_S8_PKS7_PKT0_illlliPT3_S6_iiiiPKf,@function
_ZN4vllm38concat_and_cache_mla_rope_fused_kernelIN3c104HalfENS1_8BFloat16ELb1EthLNS_18Fp8KVCacheDataTypeE1EEEvPKlPT_S8_PKS7_PKT0_illlliPT3_S6_iiiiPKf: ; @_ZN4vllm38concat_and_cache_mla_rope_fused_kernelIN3c104HalfENS1_8BFloat16ELb1EthLNS_18Fp8KVCacheDataTypeE1EEEvPKlPT_S8_PKS7_PKT0_illlliPT3_S6_iiiiPKf
; %bb.0:
	s_load_dwordx2 s[6:7], s[0:1], 0x60
	s_mov_b32 s3, 0
	s_lshl_b64 s[4:5], s[2:3], 3
	s_waitcnt lgkmcnt(0)
	s_add_u32 s6, s6, s4
	s_addc_u32 s7, s7, s5
	s_load_dwordx2 s[30:31], s[6:7], 0x0
	s_waitcnt lgkmcnt(0)
	v_cmp_lt_i64_e64 s[6:7], s[30:31], 0
	s_and_b64 vcc, exec, s[6:7]
	s_cbranch_vccnz .LBB82_13
; %bb.1:
	s_load_dword s3, s[0:1], 0x28
	s_load_dwordx2 s[6:7], s[0:1], 0x0
	s_load_dwordx4 s[12:15], s[0:1], 0x10
	s_waitcnt lgkmcnt(0)
	s_ashr_i32 s22, s3, 31
	s_add_u32 s16, s6, s4
	s_addc_u32 s17, s7, s5
	s_load_dwordx2 s[18:19], s[16:17], 0x0
	s_load_dwordx2 s[26:27], s[0:1], 0x20
	s_load_dwordx8 s[4:11], s[0:1], 0x30
	s_load_dwordx2 s[20:21], s[0:1], 0x58
	s_load_dword s25, s[0:1], 0x50
	s_waitcnt lgkmcnt(0)
	s_mul_i32 s16, s18, s22
	s_mul_hi_u32 s17, s18, s3
	s_mul_i32 s19, s19, s3
	s_add_i32 s16, s17, s16
	s_add_i32 s17, s16, s19
	s_mul_i32 s16, s18, s3
	s_lshl_b64 s[28:29], s[16:17], 1
	s_add_u32 s22, s26, s28
	s_addc_u32 s23, s27, s29
	s_lshr_b32 s16, s3, 31
	s_add_i32 s3, s3, s16
	s_ashr_i32 s24, s3, 1
	s_mul_i32 s3, s24, s25
	v_cmp_gt_i32_e32 vcc, s3, v0
	s_and_saveexec_b64 s[16:17], vcc
	s_cbranch_execz .LBB82_4
; %bb.2:
	s_load_dwordx2 s[18:19], s[0:1], 0x8
	s_load_dword s34, s[0:1], 0x8c
	s_mul_i32 s5, s2, s5
	s_mul_hi_u32 s33, s2, s4
	s_add_i32 s5, s33, s5
	s_mul_i32 s4, s2, s4
	s_ashr_i32 s25, s24, 31
	s_lshl_b64 s[4:5], s[4:5], 1
	s_waitcnt lgkmcnt(0)
	s_add_u32 s4, s18, s4
	s_addc_u32 s5, s19, s5
	s_abs_i32 s33, s24
	v_cvt_f32_u32_e32 v1, s33
	s_sub_i32 s38, 0, s33
	s_mov_b64 s[18:19], 0
	s_and_b32 s36, s34, 0xffff
	v_rcp_iflag_f32_e32 v1, v1
	s_sub_i32 s37, 0, s24
	s_lshl_b64 s[34:35], s[24:25], 1
	v_mul_f32_e32 v1, 0x4f7ffffe, v1
	v_cvt_u32_f32_e32 v1, v1
	v_mul_lo_u32 v2, s38, v1
	v_mul_hi_u32 v2, v1, v2
	v_add_u32_e32 v1, v1, v2
	v_mov_b32_e32 v2, v0
.LBB82_3:                               ; =>This Inner Loop Header: Depth=1
	v_sub_u32_e32 v4, 0, v2
	v_max_i32_e32 v4, v2, v4
	v_mul_hi_u32 v5, v4, v1
	v_mul_lo_u32 v6, v5, s33
	v_sub_u32_e32 v4, v4, v6
	v_add_u32_e32 v7, 1, v5
	v_cmp_le_u32_e32 vcc, s33, v4
	v_subrev_u32_e32 v6, s33, v4
	v_ashrrev_i32_e32 v3, 31, v2
	v_cndmask_b32_e32 v5, v5, v7, vcc
	v_cndmask_b32_e32 v4, v4, v6, vcc
	v_add_u32_e32 v6, 1, v5
	v_cmp_le_u32_e32 vcc, s33, v4
	v_xor_b32_e32 v3, s25, v3
	s_nop 0
	v_cndmask_b32_e32 v4, v5, v6, vcc
	v_xor_b32_e32 v4, v4, v3
	v_sub_u32_e32 v3, v4, v3
	v_mad_u64_u32 v[4:5], s[38:39], s37, v3, v[2:3]
	v_ashrrev_i32_e32 v8, 31, v3
	v_ashrrev_i32_e32 v5, 31, v4
	v_mul_lo_u32 v9, v3, s7
	v_mad_u64_u32 v[6:7], s[38:39], v3, s6, 0
	v_mul_lo_u32 v3, v8, s6
	v_lshlrev_b64 v[4:5], 1, v[4:5]
	v_add3_u32 v7, v7, v9, v3
	v_lshl_add_u64 v[8:9], s[22:23], 0, v[4:5]
	v_lshl_add_u64 v[10:11], v[8:9], 0, s[34:35]
	global_load_ushort v3, v[8:9], off
	v_lshl_add_u64 v[6:7], v[6:7], 1, s[4:5]
	global_load_ushort v8, v[10:11], off
	v_lshl_add_u64 v[4:5], v[6:7], 0, v[4:5]
	v_lshl_add_u64 v[6:7], v[4:5], 0, s[34:35]
	global_load_ushort v9, v[4:5], off
	global_load_ushort v10, v[6:7], off
	v_add_u32_e32 v2, s36, v2
	v_cmp_le_i32_e32 vcc, s3, v2
	s_or_b64 s[18:19], vcc, s[18:19]
	s_waitcnt vmcnt(3)
	v_lshlrev_b32_e32 v3, 16, v3
	v_cvt_f16_f32_e32 v3, v3
	s_waitcnt vmcnt(2)
	v_lshlrev_b32_e32 v8, 16, v8
	v_cvt_f16_f32_e32 v8, v8
	s_waitcnt vmcnt(0)
	v_mul_f16_e32 v11, v10, v8
	v_mul_f16_e32 v8, v9, v8
	v_fma_f16 v9, v9, v3, -v11
	v_fma_f16 v3, v10, v3, v8
	global_store_short v[4:5], v9, off
	global_store_short v[6:7], v3, off
	s_andn2_b64 exec, exec, s[18:19]
	s_cbranch_execnz .LBB82_3
.LBB82_4:
	s_or_b64 exec, exec, s[16:17]
	s_load_dwordx4 s[16:19], s[0:1], 0x68
	s_waitcnt lgkmcnt(0)
	s_ashr_i32 s37, s19, 31
	s_mov_b32 s36, s19
	s_or_b64 s[4:5], s[30:31], s[36:37]
	s_mov_b32 s4, 0
	s_cmp_lg_u64 s[4:5], 0
	s_cbranch_scc0 .LBB82_14
; %bb.5:
	s_add_u32 s4, s36, s37
	s_mov_b32 s6, s37
	s_mov_b32 s7, s37
	s_addc_u32 s5, s37, s37
	s_xor_b64 s[38:39], s[4:5], s[6:7]
	v_cvt_f32_u32_e32 v1, s38
	v_cvt_f32_u32_e32 v2, s39
	s_sub_u32 s3, 0, s38
	s_subb_u32 s4, 0, s39
	v_fmamk_f32 v1, v2, 0x4f800000, v1
	v_rcp_f32_e32 v1, v1
	s_nop 0
	v_mul_f32_e32 v1, 0x5f7ffffc, v1
	v_mul_f32_e32 v2, 0x2f800000, v1
	v_trunc_f32_e32 v2, v2
	v_fmamk_f32 v1, v2, 0xcf800000, v1
	v_cvt_u32_f32_e32 v2, v2
	v_cvt_u32_f32_e32 v1, v1
	v_readfirstlane_b32 s5, v2
	v_readfirstlane_b32 s19, v1
	s_mul_i32 s25, s3, s5
	s_mul_hi_u32 s40, s3, s19
	s_mul_i32 s33, s4, s19
	s_add_i32 s25, s40, s25
	s_add_i32 s25, s25, s33
	s_mul_i32 s41, s3, s19
	s_mul_hi_u32 s33, s19, s25
	s_mul_i32 s40, s19, s25
	s_mul_hi_u32 s19, s19, s41
	s_add_u32 s19, s19, s40
	s_addc_u32 s33, 0, s33
	s_mul_hi_u32 s42, s5, s41
	s_mul_i32 s41, s5, s41
	s_add_u32 s19, s19, s41
	s_mul_hi_u32 s40, s5, s25
	s_addc_u32 s19, s33, s42
	s_addc_u32 s33, s40, 0
	s_mul_i32 s25, s5, s25
	s_add_u32 s19, s19, s25
	s_addc_u32 s25, 0, s33
	v_add_co_u32_e32 v1, vcc, s19, v1
	s_cmp_lg_u64 vcc, 0
	s_addc_u32 s5, s5, s25
	v_readfirstlane_b32 s25, v1
	s_mul_i32 s19, s3, s5
	s_mul_hi_u32 s33, s3, s25
	s_add_i32 s19, s33, s19
	s_mul_i32 s4, s4, s25
	s_add_i32 s19, s19, s4
	s_mul_i32 s3, s3, s25
	s_mul_hi_u32 s33, s5, s3
	s_mul_i32 s40, s5, s3
	s_mul_i32 s42, s25, s19
	s_mul_hi_u32 s3, s25, s3
	s_mul_hi_u32 s41, s25, s19
	s_add_u32 s3, s3, s42
	s_addc_u32 s25, 0, s41
	s_add_u32 s3, s3, s40
	s_mul_hi_u32 s4, s5, s19
	s_addc_u32 s3, s25, s33
	s_addc_u32 s4, s4, 0
	s_mul_i32 s19, s5, s19
	s_add_u32 s3, s3, s19
	s_addc_u32 s4, 0, s4
	v_add_co_u32_e32 v1, vcc, s3, v1
	s_cmp_lg_u64 vcc, 0
	s_addc_u32 s3, s5, s4
	s_ashr_i32 s40, s31, 31
	s_add_u32 s4, s30, s40
	s_mov_b32 s41, s40
	s_addc_u32 s5, s31, s40
	s_xor_b64 s[42:43], s[4:5], s[40:41]
	v_readfirstlane_b32 s19, v1
	s_mul_i32 s5, s42, s3
	s_mul_hi_u32 s25, s42, s19
	s_mul_hi_u32 s4, s42, s3
	s_add_u32 s5, s25, s5
	s_addc_u32 s4, 0, s4
	s_mul_hi_u32 s33, s43, s19
	s_mul_i32 s19, s43, s19
	s_add_u32 s5, s5, s19
	s_mul_hi_u32 s25, s43, s3
	s_addc_u32 s4, s4, s33
	s_addc_u32 s5, s25, 0
	s_mul_i32 s3, s43, s3
	s_add_u32 s3, s4, s3
	s_addc_u32 s19, 0, s5
	s_mul_i32 s4, s38, s19
	s_mul_hi_u32 s5, s38, s3
	s_add_i32 s4, s5, s4
	s_mul_i32 s5, s39, s3
	s_add_i32 s25, s4, s5
	s_mul_i32 s5, s38, s3
	v_mov_b32_e32 v1, s5
	s_sub_i32 s4, s43, s25
	v_sub_co_u32_e32 v1, vcc, s42, v1
	s_cmp_lg_u64 vcc, 0
	s_subb_u32 s33, s4, s39
	v_subrev_co_u32_e64 v2, s[4:5], s38, v1
	s_cmp_lg_u64 s[4:5], 0
	s_subb_u32 s4, s33, 0
	s_cmp_ge_u32 s4, s39
	v_readfirstlane_b32 s33, v2
	s_cselect_b32 s5, -1, 0
	s_cmp_ge_u32 s33, s38
	s_cselect_b32 s33, -1, 0
	s_cmp_eq_u32 s4, s39
	s_cselect_b32 s4, s33, s5
	s_add_u32 s5, s3, 1
	s_addc_u32 s33, s19, 0
	s_add_u32 s42, s3, 2
	s_addc_u32 s44, s19, 0
	s_cmp_lg_u32 s4, 0
	s_cselect_b32 s4, s42, s5
	s_cselect_b32 s5, s44, s33
	s_cmp_lg_u64 vcc, 0
	s_subb_u32 s25, s43, s25
	s_cmp_ge_u32 s25, s39
	v_readfirstlane_b32 s42, v1
	s_cselect_b32 s33, -1, 0
	s_cmp_ge_u32 s42, s38
	s_cselect_b32 s38, -1, 0
	s_cmp_eq_u32 s25, s39
	s_cselect_b32 s25, s38, s33
	s_cmp_lg_u32 s25, 0
	s_cselect_b32 s5, s5, s19
	s_cselect_b32 s4, s4, s3
	s_xor_b64 s[6:7], s[40:41], s[6:7]
	s_xor_b64 s[4:5], s[4:5], s[6:7]
	s_sub_u32 s6, s4, s6
	s_subb_u32 s7, s5, s7
	s_cbranch_execnz .LBB82_7
.LBB82_6:
	v_cvt_f32_u32_e32 v1, s36
	s_sub_i32 s3, 0, s36
	s_mov_b32 s7, 0
	v_rcp_iflag_f32_e32 v1, v1
	s_nop 0
	v_mul_f32_e32 v1, 0x4f7ffffe, v1
	v_cvt_u32_f32_e32 v1, v1
	s_nop 0
	v_readfirstlane_b32 s4, v1
	s_mul_i32 s3, s3, s4
	s_mul_hi_u32 s3, s4, s3
	s_add_i32 s4, s4, s3
	s_mul_hi_u32 s3, s30, s4
	s_mul_i32 s5, s3, s36
	s_sub_i32 s5, s30, s5
	s_add_i32 s4, s3, 1
	s_sub_i32 s6, s5, s36
	s_cmp_ge_u32 s5, s36
	s_cselect_b32 s3, s4, s3
	s_cselect_b32 s5, s6, s5
	s_add_i32 s4, s3, 1
	s_cmp_ge_u32 s5, s36
	s_cselect_b32 s6, s4, s3
.LBB82_7:
	s_mul_i32 s3, s6, s37
	s_mul_hi_u32 s4, s6, s36
	s_load_dwordx2 s[34:35], s[0:1], 0x78
	s_add_i32 s3, s4, s3
	s_mul_i32 s4, s7, s36
	s_add_i32 s3, s3, s4
	s_mul_i32 s4, s6, s36
	s_sub_u32 s33, s30, s4
	s_subb_u32 s3, s31, s3
	v_cmp_gt_i32_e32 vcc, s24, v0
	s_mul_hi_u32 s39, s6, s16
	s_mul_i32 s40, s7, s16
	s_mul_i32 s41, s6, s16
	s_mul_hi_u32 s38, s33, s17
	s_mul_i32 s7, s3, s17
	s_mul_i32 s19, s33, s17
	s_and_saveexec_b64 s[30:31], vcc
	s_cbranch_execz .LBB82_10
; %bb.8:
	s_mul_i32 s3, s2, s9
	s_mul_hi_u32 s4, s2, s8
	s_add_i32 s5, s4, s3
	s_mul_i32 s4, s2, s8
	s_ashr_i32 s25, s24, 31
	s_lshl_b64 s[4:5], s[4:5], 1
	s_add_u32 s8, s12, s4
	s_addc_u32 s9, s13, s5
	s_ashr_i32 s3, s16, 31
	s_load_dword s36, s[0:1], 0x8c
	s_mul_i32 s3, s6, s3
	s_add_i32 s3, s39, s3
	s_add_i32 s43, s3, s40
	s_ashr_i32 s3, s17, 31
	s_mul_i32 s3, s33, s3
	s_add_i32 s3, s38, s3
	s_waitcnt lgkmcnt(0)
	s_and_b32 s36, s36, 0xffff
	s_add_i32 s46, s3, s7
	s_ashr_i32 s47, s18, 31
	s_lshl_b32 s42, s36, 1
	s_lshl_b64 s[44:45], s[24:25], 1
	s_add_u32 s28, s28, s44
	s_addc_u32 s29, s29, s45
	s_add_u32 s26, s26, s28
	s_addc_u32 s27, s27, s29
	;; [unrolled: 2-line block ×5, first 2 shown]
	s_load_dword s3, s[34:35], 0x0
	s_add_u32 s4, s4, s18
	s_addc_u32 s5, s5, s47
	s_add_u32 s4, s20, s4
	v_mov_b32_e32 v1, 0
	s_addc_u32 s5, s21, s5
	s_mov_b32 s37, 0
	v_lshlrev_b32_e32 v2, 1, v0
	v_mov_b32_e32 v3, v1
	v_lshl_add_u64 v[4:5], s[4:5], 0, v[0:1]
	s_mov_b64 s[28:29], 0
	s_mov_b32 s43, 0x7f800000
	s_mov_b32 s44, 0x43700000
	v_mov_b32_e32 v1, 0xc3700000
	v_mov_b32_e32 v8, v0
.LBB82_9:                               ; =>This Inner Loop Header: Depth=1
	v_lshl_add_u64 v[10:11], s[22:23], 0, v[2:3]
	v_lshl_add_u64 v[12:13], s[26:27], 0, v[2:3]
	;; [unrolled: 1-line block ×4, first 2 shown]
	global_load_ushort v9, v[10:11], off
	global_load_ushort v16, v[12:13], off
	;; [unrolled: 1-line block ×4, first 2 shown]
	s_add_u32 s22, s22, s42
	s_addc_u32 s23, s23, 0
	s_add_u32 s26, s26, s42
	s_addc_u32 s27, s27, 0
	;; [unrolled: 2-line block ×3, first 2 shown]
	v_add_u32_e32 v8, s36, v8
	s_add_u32 s8, s8, s42
	v_cmp_le_i32_e32 vcc, s24, v8
	s_addc_u32 s9, s9, 0
	s_or_b64 s[28:29], vcc, s[28:29]
	v_mov_b32_e32 v12, 0
	v_mov_b32_e32 v13, 0
	v_lshl_add_u64 v[10:11], v[4:5], 0, s[24:25]
	s_waitcnt vmcnt(3)
	v_lshlrev_b32_e32 v9, 16, v9
	s_waitcnt vmcnt(2)
	v_lshlrev_b32_e32 v16, 16, v16
	v_cvt_f16_f32_e32 v16, v16
	v_cvt_f16_f32_e32 v9, v9
	s_waitcnt vmcnt(1)
	v_mul_f16_e32 v19, v17, v16
	s_waitcnt vmcnt(0)
	v_mul_f16_e32 v16, v18, v16
	v_fma_f16 v18, v18, v9, -v19
	v_fma_f16 v9, v17, v9, v16
	v_cvt_f32_f16_e32 v16, v18
	global_store_short v[14:15], v18, off
	v_cvt_f32_f16_e32 v14, v9
	s_waitcnt lgkmcnt(0)
	v_div_scale_f32 v15, s[4:5], s3, s3, v16
	v_div_scale_f32 v18, s[4:5], s3, s3, v14
	v_rcp_f32_e32 v20, v15
	v_rcp_f32_e32 v21, v18
	v_div_scale_f32 v17, vcc, v16, s3, v16
	v_fma_f32 v22, -v15, v20, 1.0
	v_fma_f32 v23, -v18, v21, 1.0
	v_fmac_f32_e32 v20, v22, v20
	v_div_scale_f32 v19, s[4:5], v14, s3, v14
	v_fmac_f32_e32 v21, v23, v21
	v_mul_f32_e32 v22, v17, v20
	v_mul_f32_e32 v23, v19, v21
	v_fma_f32 v24, -v15, v22, v17
	v_fma_f32 v25, -v18, v23, v19
	v_fmac_f32_e32 v22, v24, v20
	v_fmac_f32_e32 v23, v25, v21
	v_fma_f32 v15, -v15, v22, v17
	v_fma_f32 v17, -v18, v23, v19
	v_div_fmas_f32 v15, v15, v20, v22
	s_mov_b64 vcc, s[4:5]
	v_div_fixup_f32 v15, v15, s3, v16
	v_div_fmas_f32 v16, v17, v21, v23
	v_cvt_f16_f32_e32 v15, v15
	v_div_fixup_f32 v14, v16, s3, v14
	v_cvt_f16_f32_e32 v14, v14
	v_cvt_f32_f16_e32 v15, v15
	v_cvt_f32_f16_e32 v14, v14
	v_med3_f32 v16, v15, s44, v1
	v_cmp_nlg_f32_e64 vcc, |v15|, s43
	s_nop 1
	v_cndmask_b32_e32 v15, v16, v15, vcc
	v_med3_f32 v16, v14, s44, v1
	v_cmp_nlg_f32_e64 vcc, |v14|, s43
	v_cvt_pk_fp8_f32 v12, v15, v15
	global_store_short v[6:7], v9, off
	global_store_byte v[4:5], v12, off
	v_cndmask_b32_e32 v14, v16, v14, vcc
	v_cvt_pk_fp8_f32 v13, v14, v14
	v_lshl_add_u64 v[4:5], v[4:5], 0, s[36:37]
	global_store_byte v[10:11], v13, off
	s_andn2_b64 exec, exec, s[28:29]
	s_cbranch_execnz .LBB82_9
.LBB82_10:
	s_or_b64 exec, exec, s[30:31]
	v_cmp_gt_i32_e32 vcc, s18, v0
	s_and_saveexec_b64 s[4:5], vcc
	s_cbranch_execz .LBB82_13
; %bb.11:
	s_mul_i32 s3, s2, s11
	s_mul_hi_u32 s4, s2, s10
	s_add_i32 s3, s4, s3
	s_mul_i32 s2, s2, s10
	s_lshl_b64 s[2:3], s[2:3], 1
	s_add_u32 s2, s14, s2
	s_addc_u32 s3, s15, s3
	s_ashr_i32 s4, s16, 31
	s_mul_i32 s4, s6, s4
	s_add_i32 s4, s39, s4
	s_add_i32 s4, s4, s40
	s_add_u32 s5, s20, s41
	s_addc_u32 s4, s21, s4
	s_ashr_i32 s6, s17, 31
	s_mul_i32 s33, s33, s6
	s_add_i32 s6, s38, s33
	s_add_i32 s6, s6, s7
	s_load_dword s8, s[0:1], 0x8c
	s_add_u32 s0, s5, s19
	s_addc_u32 s1, s4, s6
	s_waitcnt lgkmcnt(0)
	s_load_dword s6, s[34:35], 0x0
	s_mov_b64 s[4:5], 0
	s_and_b32 s7, s8, 0xffff
	s_mov_b32 s8, 0x7f800000
	s_mov_b32 s9, 0x43700000
	v_mov_b32_e32 v2, 0xc3700000
.LBB82_12:                              ; =>This Inner Loop Header: Depth=1
	v_ashrrev_i32_e32 v1, 31, v0
	v_lshl_add_u64 v[4:5], v[0:1], 1, s[2:3]
	global_load_ushort v3, v[4:5], off
	s_waitcnt vmcnt(0)
	v_cvt_f32_f16_e32 v3, v3
	s_waitcnt lgkmcnt(0)
	v_div_scale_f32 v4, s[10:11], s6, s6, v3
	v_rcp_f32_e32 v5, v4
	v_div_scale_f32 v6, vcc, v3, s6, v3
	v_fma_f32 v7, -v4, v5, 1.0
	v_fmac_f32_e32 v5, v7, v5
	v_mul_f32_e32 v7, v6, v5
	v_fma_f32 v8, -v4, v7, v6
	v_fmac_f32_e32 v7, v8, v5
	v_fma_f32 v4, -v4, v7, v6
	v_div_fmas_f32 v4, v4, v5, v7
	v_div_fixup_f32 v3, v4, s6, v3
	v_cvt_f16_f32_e32 v3, v3
	v_mov_b32_e32 v6, 0
	v_cvt_f32_f16_e32 v3, v3
	v_med3_f32 v4, v3, s9, v2
	v_cmp_nlg_f32_e64 vcc, |v3|, s8
	s_nop 1
	v_cndmask_b32_e32 v3, v4, v3, vcc
	v_cvt_pk_fp8_f32 v6, v3, v3
	v_lshl_add_u64 v[4:5], s[0:1], 0, v[0:1]
	v_add_u32_e32 v0, s7, v0
	v_cmp_le_i32_e32 vcc, s18, v0
	s_or_b64 s[4:5], vcc, s[4:5]
	global_store_byte v[4:5], v6, off
	s_andn2_b64 exec, exec, s[4:5]
	s_cbranch_execnz .LBB82_12
.LBB82_13:
	s_endpgm
.LBB82_14:
                                        ; implicit-def: $sgpr6_sgpr7
	s_branch .LBB82_6
	.section	.rodata,"a",@progbits
	.p2align	6, 0x0
	.amdhsa_kernel _ZN4vllm38concat_and_cache_mla_rope_fused_kernelIN3c104HalfENS1_8BFloat16ELb1EthLNS_18Fp8KVCacheDataTypeE1EEEvPKlPT_S8_PKS7_PKT0_illlliPT3_S6_iiiiPKf
		.amdhsa_group_segment_fixed_size 0
		.amdhsa_private_segment_fixed_size 0
		.amdhsa_kernarg_size 384
		.amdhsa_user_sgpr_count 2
		.amdhsa_user_sgpr_dispatch_ptr 0
		.amdhsa_user_sgpr_queue_ptr 0
		.amdhsa_user_sgpr_kernarg_segment_ptr 1
		.amdhsa_user_sgpr_dispatch_id 0
		.amdhsa_user_sgpr_kernarg_preload_length 0
		.amdhsa_user_sgpr_kernarg_preload_offset 0
		.amdhsa_user_sgpr_private_segment_size 0
		.amdhsa_uses_dynamic_stack 0
		.amdhsa_enable_private_segment 0
		.amdhsa_system_sgpr_workgroup_id_x 1
		.amdhsa_system_sgpr_workgroup_id_y 0
		.amdhsa_system_sgpr_workgroup_id_z 0
		.amdhsa_system_sgpr_workgroup_info 0
		.amdhsa_system_vgpr_workitem_id 0
		.amdhsa_next_free_vgpr 26
		.amdhsa_next_free_sgpr 48
		.amdhsa_accum_offset 28
		.amdhsa_reserve_vcc 1
		.amdhsa_float_round_mode_32 0
		.amdhsa_float_round_mode_16_64 0
		.amdhsa_float_denorm_mode_32 3
		.amdhsa_float_denorm_mode_16_64 3
		.amdhsa_dx10_clamp 1
		.amdhsa_ieee_mode 1
		.amdhsa_fp16_overflow 0
		.amdhsa_tg_split 0
		.amdhsa_exception_fp_ieee_invalid_op 0
		.amdhsa_exception_fp_denorm_src 0
		.amdhsa_exception_fp_ieee_div_zero 0
		.amdhsa_exception_fp_ieee_overflow 0
		.amdhsa_exception_fp_ieee_underflow 0
		.amdhsa_exception_fp_ieee_inexact 0
		.amdhsa_exception_int_div_zero 0
	.end_amdhsa_kernel
	.section	.text._ZN4vllm38concat_and_cache_mla_rope_fused_kernelIN3c104HalfENS1_8BFloat16ELb1EthLNS_18Fp8KVCacheDataTypeE1EEEvPKlPT_S8_PKS7_PKT0_illlliPT3_S6_iiiiPKf,"axG",@progbits,_ZN4vllm38concat_and_cache_mla_rope_fused_kernelIN3c104HalfENS1_8BFloat16ELb1EthLNS_18Fp8KVCacheDataTypeE1EEEvPKlPT_S8_PKS7_PKT0_illlliPT3_S6_iiiiPKf,comdat
.Lfunc_end82:
	.size	_ZN4vllm38concat_and_cache_mla_rope_fused_kernelIN3c104HalfENS1_8BFloat16ELb1EthLNS_18Fp8KVCacheDataTypeE1EEEvPKlPT_S8_PKS7_PKT0_illlliPT3_S6_iiiiPKf, .Lfunc_end82-_ZN4vllm38concat_and_cache_mla_rope_fused_kernelIN3c104HalfENS1_8BFloat16ELb1EthLNS_18Fp8KVCacheDataTypeE1EEEvPKlPT_S8_PKS7_PKT0_illlliPT3_S6_iiiiPKf
                                        ; -- End function
	.section	.AMDGPU.csdata,"",@progbits
; Kernel info:
; codeLenInByte = 2404
; NumSgprs: 54
; NumVgprs: 26
; NumAgprs: 0
; TotalNumVgprs: 26
; ScratchSize: 0
; MemoryBound: 0
; FloatMode: 240
; IeeeMode: 1
; LDSByteSize: 0 bytes/workgroup (compile time only)
; SGPRBlocks: 6
; VGPRBlocks: 3
; NumSGPRsForWavesPerEU: 54
; NumVGPRsForWavesPerEU: 26
; AccumOffset: 28
; Occupancy: 8
; WaveLimiterHint : 1
; COMPUTE_PGM_RSRC2:SCRATCH_EN: 0
; COMPUTE_PGM_RSRC2:USER_SGPR: 2
; COMPUTE_PGM_RSRC2:TRAP_HANDLER: 0
; COMPUTE_PGM_RSRC2:TGID_X_EN: 1
; COMPUTE_PGM_RSRC2:TGID_Y_EN: 0
; COMPUTE_PGM_RSRC2:TGID_Z_EN: 0
; COMPUTE_PGM_RSRC2:TIDIG_COMP_CNT: 0
; COMPUTE_PGM_RSRC3_GFX90A:ACCUM_OFFSET: 6
; COMPUTE_PGM_RSRC3_GFX90A:TG_SPLIT: 0
	.section	.text._ZN4vllm38concat_and_cache_mla_rope_fused_kernelIN3c104HalfENS1_8BFloat16ELb0EthLNS_18Fp8KVCacheDataTypeE1EEEvPKlPT_S8_PKS7_PKT0_illlliPT3_S6_iiiiPKf,"axG",@progbits,_ZN4vllm38concat_and_cache_mla_rope_fused_kernelIN3c104HalfENS1_8BFloat16ELb0EthLNS_18Fp8KVCacheDataTypeE1EEEvPKlPT_S8_PKS7_PKT0_illlliPT3_S6_iiiiPKf,comdat
	.protected	_ZN4vllm38concat_and_cache_mla_rope_fused_kernelIN3c104HalfENS1_8BFloat16ELb0EthLNS_18Fp8KVCacheDataTypeE1EEEvPKlPT_S8_PKS7_PKT0_illlliPT3_S6_iiiiPKf ; -- Begin function _ZN4vllm38concat_and_cache_mla_rope_fused_kernelIN3c104HalfENS1_8BFloat16ELb0EthLNS_18Fp8KVCacheDataTypeE1EEEvPKlPT_S8_PKS7_PKT0_illlliPT3_S6_iiiiPKf
	.globl	_ZN4vllm38concat_and_cache_mla_rope_fused_kernelIN3c104HalfENS1_8BFloat16ELb0EthLNS_18Fp8KVCacheDataTypeE1EEEvPKlPT_S8_PKS7_PKT0_illlliPT3_S6_iiiiPKf
	.p2align	8
	.type	_ZN4vllm38concat_and_cache_mla_rope_fused_kernelIN3c104HalfENS1_8BFloat16ELb0EthLNS_18Fp8KVCacheDataTypeE1EEEvPKlPT_S8_PKS7_PKT0_illlliPT3_S6_iiiiPKf,@function
_ZN4vllm38concat_and_cache_mla_rope_fused_kernelIN3c104HalfENS1_8BFloat16ELb0EthLNS_18Fp8KVCacheDataTypeE1EEEvPKlPT_S8_PKS7_PKT0_illlliPT3_S6_iiiiPKf: ; @_ZN4vllm38concat_and_cache_mla_rope_fused_kernelIN3c104HalfENS1_8BFloat16ELb0EthLNS_18Fp8KVCacheDataTypeE1EEEvPKlPT_S8_PKS7_PKT0_illlliPT3_S6_iiiiPKf
; %bb.0:
	s_load_dwordx2 s[6:7], s[0:1], 0x60
	s_mov_b32 s3, 0
	s_lshl_b64 s[4:5], s[2:3], 3
	s_waitcnt lgkmcnt(0)
	s_add_u32 s6, s6, s4
	s_addc_u32 s7, s7, s5
	s_load_dwordx2 s[26:27], s[6:7], 0x0
	s_waitcnt lgkmcnt(0)
	v_cmp_lt_i64_e64 s[6:7], s[26:27], 0
	s_and_b64 vcc, exec, s[6:7]
	s_cbranch_vccnz .LBB83_13
; %bb.1:
	s_load_dword s3, s[0:1], 0x28
	s_load_dwordx2 s[6:7], s[0:1], 0x0
	s_load_dwordx4 s[12:15], s[0:1], 0x10
	v_lshlrev_b32_e32 v2, 1, v0
	s_waitcnt lgkmcnt(0)
	s_ashr_i32 s22, s3, 31
	s_add_u32 s16, s6, s4
	s_addc_u32 s17, s7, s5
	s_load_dwordx2 s[18:19], s[16:17], 0x0
	s_load_dwordx2 s[24:25], s[0:1], 0x20
	s_load_dwordx8 s[4:11], s[0:1], 0x30
	s_load_dwordx2 s[20:21], s[0:1], 0x58
	s_load_dword s23, s[0:1], 0x50
	s_waitcnt lgkmcnt(0)
	s_mul_i32 s16, s18, s22
	s_mul_hi_u32 s17, s18, s3
	s_mul_i32 s19, s19, s3
	s_add_i32 s16, s17, s16
	s_add_i32 s29, s16, s19
	s_lshr_b32 s16, s3, 31
	s_mul_i32 s28, s18, s3
	s_add_i32 s3, s3, s16
	s_ashr_i32 s22, s3, 1
	s_mul_i32 s3, s22, s23
	v_cmp_gt_i32_e32 vcc, s3, v0
	s_and_saveexec_b64 s[16:17], vcc
	s_cbranch_execz .LBB83_4
; %bb.2:
	s_load_dwordx2 s[30:31], s[0:1], 0x8
	s_load_dword s34, s[0:1], 0x8c
	s_lshl_b64 s[18:19], s[28:29], 1
	s_add_u32 s18, s24, s18
	s_mul_i32 s5, s2, s5
	s_mul_hi_u32 s33, s2, s4
	s_addc_u32 s19, s25, s19
	s_add_i32 s5, s33, s5
	s_mul_i32 s4, s2, s4
	s_ashr_i32 s23, s22, 31
	s_lshl_b64 s[4:5], s[4:5], 1
	s_waitcnt lgkmcnt(0)
	s_add_u32 s4, s30, s4
	s_addc_u32 s5, s31, s5
	s_abs_i32 s33, s22
	v_cvt_f32_u32_e32 v1, s33
	s_sub_i32 s30, 0, s33
	s_and_b32 s34, s34, 0xffff
	s_sub_i32 s35, 0, s22
	v_rcp_iflag_f32_e32 v1, v1
	s_lshl_b32 s37, s34, 1
	v_mov_b32_e32 v4, v2
	v_mov_b32_e32 v6, v0
	v_mul_f32_e32 v1, 0x4f7ffffe, v1
	v_cvt_u32_f32_e32 v1, v1
	v_mul_lo_u32 v3, s30, v1
	v_mul_hi_u32 v3, v1, v3
	s_lshl_b32 s30, s22, 1
	v_add_u32_e32 v1, v1, v3
	s_sub_i32 s36, 0, s30
	s_mov_b64 s[30:31], 0
.LBB83_3:                               ; =>This Inner Loop Header: Depth=1
	v_sub_u32_e32 v5, 0, v6
	v_max_i32_e32 v5, v6, v5
	v_mul_hi_u32 v7, v5, v1
	v_mul_lo_u32 v8, v7, s33
	v_sub_u32_e32 v5, v5, v8
	v_add_u32_e32 v9, 1, v7
	v_cmp_le_u32_e32 vcc, s33, v5
	v_subrev_u32_e32 v8, s33, v5
	v_ashrrev_i32_e32 v3, 31, v6
	v_cndmask_b32_e32 v7, v7, v9, vcc
	v_cndmask_b32_e32 v5, v5, v8, vcc
	v_add_u32_e32 v8, 1, v7
	v_cmp_le_u32_e32 vcc, s33, v5
	v_xor_b32_e32 v3, s23, v3
	s_nop 0
	v_cndmask_b32_e32 v5, v7, v8, vcc
	v_xor_b32_e32 v5, v5, v3
	v_sub_u32_e32 v3, v5, v3
	v_mad_u64_u32 v[8:9], s[38:39], s35, v3, v[6:7]
	v_ashrrev_i32_e32 v9, 31, v8
	v_ashrrev_i32_e32 v5, 31, v3
	v_lshl_add_u64 v[8:9], v[8:9], 1, s[18:19]
	v_mul_lo_u32 v7, v3, s7
	v_mad_u64_u32 v[10:11], s[38:39], v3, s6, 0
	v_mad_u64_u32 v[12:13], s[38:39], s36, v3, v[4:5]
	v_mul_lo_u32 v3, v5, s6
	v_lshl_add_u64 v[14:15], s[22:23], 1, v[8:9]
	v_add3_u32 v11, v11, v7, v3
	global_load_ushort v3, v[8:9], off
	global_load_ushort v5, v[14:15], off
	v_ashrrev_i32_e32 v13, 31, v12
	v_lshl_add_u64 v[8:9], v[10:11], 1, s[4:5]
	v_lshl_add_u64 v[8:9], v[12:13], 1, v[8:9]
	global_load_dword v7, v[8:9], off
	v_add_u32_e32 v6, s34, v6
	v_cmp_le_i32_e32 vcc, s3, v6
	v_add_u32_e32 v4, s37, v4
	s_or_b64 s[30:31], vcc, s[30:31]
	s_waitcnt vmcnt(2)
	v_lshlrev_b32_e32 v3, 16, v3
	s_waitcnt vmcnt(1)
	v_lshlrev_b32_e32 v5, 16, v5
	v_cvt_f16_f32_e32 v5, v5
	v_cvt_f16_f32_e32 v3, v3
	s_waitcnt vmcnt(0)
	v_lshrrev_b32_e32 v10, 16, v7
	v_mul_f16_e32 v11, v10, v5
	v_mul_f16_e32 v5, v7, v5
	v_fma_f16 v7, v7, v3, -v11
	v_fma_f16 v3, v10, v3, v5
	v_pack_b32_f16 v3, v7, v3
	global_store_dword v[8:9], v3, off
	s_andn2_b64 exec, exec, s[30:31]
	s_cbranch_execnz .LBB83_3
.LBB83_4:
	s_or_b64 exec, exec, s[16:17]
	s_load_dwordx4 s[16:19], s[0:1], 0x68
	s_waitcnt lgkmcnt(0)
	s_ashr_i32 s35, s19, 31
	s_mov_b32 s34, s19
	s_or_b64 s[4:5], s[26:27], s[34:35]
	s_mov_b32 s4, 0
	s_cmp_lg_u64 s[4:5], 0
	s_cbranch_scc0 .LBB83_14
; %bb.5:
	s_add_u32 s4, s34, s35
	s_mov_b32 s6, s35
	s_mov_b32 s7, s35
	s_addc_u32 s5, s35, s35
	s_xor_b64 s[36:37], s[4:5], s[6:7]
	v_cvt_f32_u32_e32 v1, s36
	v_cvt_f32_u32_e32 v3, s37
	s_sub_u32 s3, 0, s36
	s_subb_u32 s4, 0, s37
	v_fmamk_f32 v1, v3, 0x4f800000, v1
	v_rcp_f32_e32 v1, v1
	s_nop 0
	v_mul_f32_e32 v1, 0x5f7ffffc, v1
	v_mul_f32_e32 v3, 0x2f800000, v1
	v_trunc_f32_e32 v3, v3
	v_fmamk_f32 v1, v3, 0xcf800000, v1
	v_cvt_u32_f32_e32 v3, v3
	v_cvt_u32_f32_e32 v1, v1
	v_readfirstlane_b32 s5, v3
	v_readfirstlane_b32 s19, v1
	s_mul_i32 s23, s3, s5
	s_mul_hi_u32 s38, s3, s19
	s_mul_i32 s33, s4, s19
	s_add_i32 s23, s38, s23
	s_add_i32 s23, s23, s33
	s_mul_i32 s39, s3, s19
	s_mul_hi_u32 s33, s19, s23
	s_mul_i32 s38, s19, s23
	s_mul_hi_u32 s19, s19, s39
	s_add_u32 s19, s19, s38
	s_addc_u32 s33, 0, s33
	s_mul_hi_u32 s40, s5, s39
	s_mul_i32 s39, s5, s39
	s_add_u32 s19, s19, s39
	s_mul_hi_u32 s38, s5, s23
	s_addc_u32 s19, s33, s40
	s_addc_u32 s33, s38, 0
	s_mul_i32 s23, s5, s23
	s_add_u32 s19, s19, s23
	s_addc_u32 s23, 0, s33
	v_add_co_u32_e32 v1, vcc, s19, v1
	s_cmp_lg_u64 vcc, 0
	s_addc_u32 s5, s5, s23
	v_readfirstlane_b32 s23, v1
	s_mul_i32 s19, s3, s5
	s_mul_hi_u32 s33, s3, s23
	s_add_i32 s19, s33, s19
	s_mul_i32 s4, s4, s23
	s_add_i32 s19, s19, s4
	s_mul_i32 s3, s3, s23
	s_mul_hi_u32 s33, s5, s3
	s_mul_i32 s38, s5, s3
	s_mul_i32 s40, s23, s19
	s_mul_hi_u32 s3, s23, s3
	s_mul_hi_u32 s39, s23, s19
	s_add_u32 s3, s3, s40
	s_addc_u32 s23, 0, s39
	s_add_u32 s3, s3, s38
	s_mul_hi_u32 s4, s5, s19
	s_addc_u32 s3, s23, s33
	s_addc_u32 s4, s4, 0
	s_mul_i32 s19, s5, s19
	s_add_u32 s3, s3, s19
	s_addc_u32 s4, 0, s4
	v_add_co_u32_e32 v1, vcc, s3, v1
	s_cmp_lg_u64 vcc, 0
	s_addc_u32 s3, s5, s4
	s_ashr_i32 s38, s27, 31
	s_add_u32 s4, s26, s38
	s_mov_b32 s39, s38
	s_addc_u32 s5, s27, s38
	s_xor_b64 s[40:41], s[4:5], s[38:39]
	v_readfirstlane_b32 s19, v1
	s_mul_i32 s5, s40, s3
	s_mul_hi_u32 s23, s40, s19
	s_mul_hi_u32 s4, s40, s3
	s_add_u32 s5, s23, s5
	s_addc_u32 s4, 0, s4
	s_mul_hi_u32 s33, s41, s19
	s_mul_i32 s19, s41, s19
	s_add_u32 s5, s5, s19
	s_mul_hi_u32 s23, s41, s3
	s_addc_u32 s4, s4, s33
	s_addc_u32 s5, s23, 0
	s_mul_i32 s3, s41, s3
	s_add_u32 s3, s4, s3
	s_addc_u32 s19, 0, s5
	s_mul_i32 s4, s36, s19
	s_mul_hi_u32 s5, s36, s3
	s_add_i32 s4, s5, s4
	s_mul_i32 s5, s37, s3
	s_add_i32 s23, s4, s5
	s_mul_i32 s5, s36, s3
	v_mov_b32_e32 v1, s5
	s_sub_i32 s4, s41, s23
	v_sub_co_u32_e32 v1, vcc, s40, v1
	s_cmp_lg_u64 vcc, 0
	s_subb_u32 s33, s4, s37
	v_subrev_co_u32_e64 v3, s[4:5], s36, v1
	s_cmp_lg_u64 s[4:5], 0
	s_subb_u32 s4, s33, 0
	s_cmp_ge_u32 s4, s37
	v_readfirstlane_b32 s33, v3
	s_cselect_b32 s5, -1, 0
	s_cmp_ge_u32 s33, s36
	s_cselect_b32 s33, -1, 0
	s_cmp_eq_u32 s4, s37
	s_cselect_b32 s4, s33, s5
	s_add_u32 s5, s3, 1
	s_addc_u32 s33, s19, 0
	s_add_u32 s40, s3, 2
	s_addc_u32 s42, s19, 0
	s_cmp_lg_u32 s4, 0
	s_cselect_b32 s4, s40, s5
	s_cselect_b32 s5, s42, s33
	s_cmp_lg_u64 vcc, 0
	s_subb_u32 s23, s41, s23
	s_cmp_ge_u32 s23, s37
	v_readfirstlane_b32 s40, v1
	s_cselect_b32 s33, -1, 0
	s_cmp_ge_u32 s40, s36
	s_cselect_b32 s36, -1, 0
	s_cmp_eq_u32 s23, s37
	s_cselect_b32 s23, s36, s33
	s_cmp_lg_u32 s23, 0
	s_cselect_b32 s5, s5, s19
	s_cselect_b32 s4, s4, s3
	s_xor_b64 s[6:7], s[38:39], s[6:7]
	s_xor_b64 s[4:5], s[4:5], s[6:7]
	s_sub_u32 s6, s4, s6
	s_subb_u32 s7, s5, s7
	s_cbranch_execnz .LBB83_7
.LBB83_6:
	v_cvt_f32_u32_e32 v1, s34
	s_sub_i32 s3, 0, s34
	s_mov_b32 s7, 0
	v_rcp_iflag_f32_e32 v1, v1
	s_nop 0
	v_mul_f32_e32 v1, 0x4f7ffffe, v1
	v_cvt_u32_f32_e32 v1, v1
	s_nop 0
	v_readfirstlane_b32 s4, v1
	s_mul_i32 s3, s3, s4
	s_mul_hi_u32 s3, s4, s3
	s_add_i32 s4, s4, s3
	s_mul_hi_u32 s3, s26, s4
	s_mul_i32 s5, s3, s34
	s_sub_i32 s5, s26, s5
	s_add_i32 s4, s3, 1
	s_sub_i32 s6, s5, s34
	s_cmp_ge_u32 s5, s34
	s_cselect_b32 s3, s4, s3
	s_cselect_b32 s5, s6, s5
	s_add_i32 s4, s3, 1
	s_cmp_ge_u32 s5, s34
	s_cselect_b32 s6, s4, s3
.LBB83_7:
	s_mul_i32 s3, s6, s35
	s_mul_hi_u32 s4, s6, s34
	s_load_dwordx2 s[30:31], s[0:1], 0x78
	s_add_i32 s3, s4, s3
	s_mul_i32 s4, s7, s34
	s_add_i32 s3, s3, s4
	s_mul_i32 s4, s6, s34
	s_sub_u32 s33, s26, s4
	s_subb_u32 s3, s27, s3
	v_cmp_gt_i32_e32 vcc, s22, v0
	s_mul_hi_u32 s35, s6, s16
	s_mul_i32 s36, s7, s16
	s_mul_i32 s37, s6, s16
	s_mul_hi_u32 s34, s33, s17
	s_mul_i32 s7, s3, s17
	s_mul_i32 s19, s33, s17
	s_and_saveexec_b64 s[26:27], vcc
	s_cbranch_execz .LBB83_10
; %bb.8:
	s_ashr_i32 s3, s16, 31
	s_mul_i32 s3, s6, s3
	s_load_dword s4, s[0:1], 0x8c
	s_add_i32 s3, s35, s3
	s_add_i32 s39, s3, s36
	s_ashr_i32 s3, s17, 31
	s_mul_i32 s3, s33, s3
	s_add_i32 s3, s34, s3
	s_ashr_i32 s23, s22, 31
	s_add_i32 s40, s3, s7
	s_ashr_i32 s41, s18, 31
	s_waitcnt lgkmcnt(0)
	s_and_b32 s38, s4, 0xffff
	s_lshl_b64 s[4:5], s[28:29], 1
	s_add_u32 s4, s24, s4
	v_mov_b32_e32 v3, 0
	s_addc_u32 s5, s25, s5
	s_lshl_b32 s24, s38, 1
	v_lshl_add_u64 v[4:5], s[4:5], 0, v[2:3]
	s_add_u32 s4, s37, s19
	s_addc_u32 s5, s39, s40
	v_lshl_add_u64 v[6:7], s[22:23], 1, v[4:5]
	s_add_u32 s23, s20, s18
	s_addc_u32 s25, s21, s41
	s_add_u32 s4, s23, s4
	s_addc_u32 s5, s25, s5
	v_lshl_add_u64 v[8:9], s[4:5], 0, v[2:3]
	s_mul_i32 s4, s9, s2
	s_mul_hi_u32 s5, s8, s2
	s_add_i32 s5, s5, s4
	s_mul_i32 s4, s8, s2
	s_load_dword s3, s[30:31], 0x0
	s_lshl_b64 s[4:5], s[4:5], 1
	s_add_u32 s4, s12, s4
	v_lshlrev_b32_e32 v2, 2, v0
	s_addc_u32 s5, s13, s5
	v_lshl_add_u64 v[2:3], s[4:5], 0, v[2:3]
	s_mov_b32 s29, 0
	v_lshl_add_u64 v[8:9], v[8:9], 0, 1
	v_lshl_add_u64 v[2:3], v[2:3], 0, 2
	s_lshl_b32 s28, s38, 2
	s_mov_b64 s[8:9], 0
	s_mov_b32 s23, 0x7f800000
	s_mov_b32 s25, 0x43700000
	v_mov_b32_e32 v1, 0xc3700000
	s_mov_b64 s[12:13], 0
	v_mov_b32_e32 v10, v0
.LBB83_9:                               ; =>This Inner Loop Header: Depth=1
	v_lshl_add_u64 v[12:13], v[4:5], 0, s[12:13]
	v_lshl_add_u64 v[14:15], v[6:7], 0, s[12:13]
	global_load_ushort v11, v[12:13], off
	global_load_ushort v16, v[14:15], off
	global_load_dword v17, v[2:3], off offset:-2
	v_lshl_add_u64 v[12:13], v[8:9], 0, s[12:13]
	v_add_u32_e32 v10, s38, v10
	s_add_u32 s12, s12, s24
	s_addc_u32 s13, s13, 0
	v_cmp_le_i32_e32 vcc, s22, v10
	s_or_b64 s[8:9], vcc, s[8:9]
	v_mov_b32_e32 v15, 0
	v_mov_b32_e32 v14, 0
	s_waitcnt vmcnt(2)
	v_lshlrev_b32_e32 v11, 16, v11
	s_waitcnt vmcnt(1)
	v_lshlrev_b32_e32 v16, 16, v16
	v_cvt_f16_f32_e32 v16, v16
	v_cvt_f16_f32_e32 v11, v11
	s_waitcnt vmcnt(0)
	v_lshrrev_b32_e32 v18, 16, v17
	v_mul_f16_e32 v19, v18, v16
	v_mul_f16_e32 v16, v17, v16
	v_fma_f16 v17, v17, v11, -v19
	v_fma_f16 v11, v18, v11, v16
	v_cvt_f32_f16_e32 v16, v17
	v_pack_b32_f16 v17, v17, v11
	v_cvt_f32_f16_e32 v11, v11
	global_store_dword v[2:3], v17, off offset:-2
	s_waitcnt lgkmcnt(0)
	v_div_scale_f32 v18, s[4:5], s3, s3, v16
	v_div_scale_f32 v20, s[4:5], s3, s3, v11
	v_rcp_f32_e32 v22, v18
	v_rcp_f32_e32 v23, v20
	v_div_scale_f32 v19, vcc, v16, s3, v16
	v_fma_f32 v24, -v18, v22, 1.0
	v_fma_f32 v25, -v20, v23, 1.0
	v_fmac_f32_e32 v22, v24, v22
	v_div_scale_f32 v21, s[4:5], v11, s3, v11
	v_fmac_f32_e32 v23, v25, v23
	v_mul_f32_e32 v24, v19, v22
	v_mul_f32_e32 v25, v21, v23
	v_fma_f32 v26, -v18, v24, v19
	v_fma_f32 v27, -v20, v25, v21
	v_fmac_f32_e32 v24, v26, v22
	v_fmac_f32_e32 v25, v27, v23
	v_fma_f32 v18, -v18, v24, v19
	v_fma_f32 v19, -v20, v25, v21
	v_div_fmas_f32 v18, v18, v22, v24
	s_mov_b64 vcc, s[4:5]
	v_div_fixup_f32 v16, v18, s3, v16
	v_div_fmas_f32 v18, v19, v23, v25
	v_cvt_f16_f32_e32 v16, v16
	v_div_fixup_f32 v11, v18, s3, v11
	v_cvt_f16_f32_e32 v11, v11
	v_lshl_add_u64 v[2:3], v[2:3], 0, s[28:29]
	v_cvt_f32_f16_e32 v16, v16
	v_cvt_f32_f16_e32 v11, v11
	v_med3_f32 v18, v16, s25, v1
	v_cmp_nlg_f32_e64 vcc, |v16|, s23
	s_nop 1
	v_cndmask_b32_e32 v16, v18, v16, vcc
	v_med3_f32 v18, v11, s25, v1
	v_cmp_nlg_f32_e64 vcc, |v11|, s23
	v_cvt_pk_fp8_f32 v14, v16, v16
	s_nop 0
	v_cndmask_b32_e32 v11, v18, v11, vcc
	v_cvt_pk_fp8_f32 v15, v11, v11
	v_lshlrev_b16_e32 v11, 8, v15
	v_or_b32_sdwa v11, v14, v11 dst_sel:DWORD dst_unused:UNUSED_PAD src0_sel:BYTE_0 src1_sel:DWORD
	global_store_short v[12:13], v11, off offset:-1
	s_andn2_b64 exec, exec, s[8:9]
	s_cbranch_execnz .LBB83_9
.LBB83_10:
	s_or_b64 exec, exec, s[26:27]
	v_cmp_gt_i32_e32 vcc, s18, v0
	s_and_saveexec_b64 s[4:5], vcc
	s_cbranch_execz .LBB83_13
; %bb.11:
	s_mul_i32 s3, s2, s11
	s_mul_hi_u32 s4, s2, s10
	s_add_i32 s3, s4, s3
	s_mul_i32 s2, s2, s10
	s_lshl_b64 s[2:3], s[2:3], 1
	s_add_u32 s2, s14, s2
	s_addc_u32 s3, s15, s3
	s_ashr_i32 s4, s16, 31
	s_mul_i32 s4, s6, s4
	s_add_i32 s4, s35, s4
	s_add_i32 s4, s4, s36
	s_add_u32 s5, s20, s37
	s_addc_u32 s4, s21, s4
	s_ashr_i32 s6, s17, 31
	s_mul_i32 s33, s33, s6
	s_add_i32 s6, s34, s33
	s_add_i32 s6, s6, s7
	s_load_dword s8, s[0:1], 0x8c
	s_add_u32 s0, s5, s19
	s_addc_u32 s1, s4, s6
	s_waitcnt lgkmcnt(0)
	s_load_dword s6, s[30:31], 0x0
	s_mov_b64 s[4:5], 0
	s_and_b32 s7, s8, 0xffff
	s_mov_b32 s8, 0x7f800000
	s_mov_b32 s9, 0x43700000
	v_mov_b32_e32 v2, 0xc3700000
.LBB83_12:                              ; =>This Inner Loop Header: Depth=1
	v_ashrrev_i32_e32 v1, 31, v0
	v_lshl_add_u64 v[4:5], v[0:1], 1, s[2:3]
	global_load_ushort v3, v[4:5], off
	s_waitcnt vmcnt(0)
	v_cvt_f32_f16_e32 v3, v3
	s_waitcnt lgkmcnt(0)
	v_div_scale_f32 v4, s[10:11], s6, s6, v3
	v_rcp_f32_e32 v5, v4
	v_div_scale_f32 v6, vcc, v3, s6, v3
	v_fma_f32 v7, -v4, v5, 1.0
	v_fmac_f32_e32 v5, v7, v5
	v_mul_f32_e32 v7, v6, v5
	v_fma_f32 v8, -v4, v7, v6
	v_fmac_f32_e32 v7, v8, v5
	v_fma_f32 v4, -v4, v7, v6
	v_div_fmas_f32 v4, v4, v5, v7
	v_div_fixup_f32 v3, v4, s6, v3
	v_cvt_f16_f32_e32 v3, v3
	v_mov_b32_e32 v6, 0
	v_cvt_f32_f16_e32 v3, v3
	v_med3_f32 v4, v3, s9, v2
	v_cmp_nlg_f32_e64 vcc, |v3|, s8
	s_nop 1
	v_cndmask_b32_e32 v3, v4, v3, vcc
	v_cvt_pk_fp8_f32 v6, v3, v3
	v_lshl_add_u64 v[4:5], s[0:1], 0, v[0:1]
	v_add_u32_e32 v0, s7, v0
	v_cmp_le_i32_e32 vcc, s18, v0
	s_or_b64 s[4:5], vcc, s[4:5]
	global_store_byte v[4:5], v6, off
	s_andn2_b64 exec, exec, s[4:5]
	s_cbranch_execnz .LBB83_12
.LBB83_13:
	s_endpgm
.LBB83_14:
                                        ; implicit-def: $sgpr6_sgpr7
	s_branch .LBB83_6
	.section	.rodata,"a",@progbits
	.p2align	6, 0x0
	.amdhsa_kernel _ZN4vllm38concat_and_cache_mla_rope_fused_kernelIN3c104HalfENS1_8BFloat16ELb0EthLNS_18Fp8KVCacheDataTypeE1EEEvPKlPT_S8_PKS7_PKT0_illlliPT3_S6_iiiiPKf
		.amdhsa_group_segment_fixed_size 0
		.amdhsa_private_segment_fixed_size 0
		.amdhsa_kernarg_size 384
		.amdhsa_user_sgpr_count 2
		.amdhsa_user_sgpr_dispatch_ptr 0
		.amdhsa_user_sgpr_queue_ptr 0
		.amdhsa_user_sgpr_kernarg_segment_ptr 1
		.amdhsa_user_sgpr_dispatch_id 0
		.amdhsa_user_sgpr_kernarg_preload_length 0
		.amdhsa_user_sgpr_kernarg_preload_offset 0
		.amdhsa_user_sgpr_private_segment_size 0
		.amdhsa_uses_dynamic_stack 0
		.amdhsa_enable_private_segment 0
		.amdhsa_system_sgpr_workgroup_id_x 1
		.amdhsa_system_sgpr_workgroup_id_y 0
		.amdhsa_system_sgpr_workgroup_id_z 0
		.amdhsa_system_sgpr_workgroup_info 0
		.amdhsa_system_vgpr_workitem_id 0
		.amdhsa_next_free_vgpr 28
		.amdhsa_next_free_sgpr 43
		.amdhsa_accum_offset 28
		.amdhsa_reserve_vcc 1
		.amdhsa_float_round_mode_32 0
		.amdhsa_float_round_mode_16_64 0
		.amdhsa_float_denorm_mode_32 3
		.amdhsa_float_denorm_mode_16_64 3
		.amdhsa_dx10_clamp 1
		.amdhsa_ieee_mode 1
		.amdhsa_fp16_overflow 0
		.amdhsa_tg_split 0
		.amdhsa_exception_fp_ieee_invalid_op 0
		.amdhsa_exception_fp_denorm_src 0
		.amdhsa_exception_fp_ieee_div_zero 0
		.amdhsa_exception_fp_ieee_overflow 0
		.amdhsa_exception_fp_ieee_underflow 0
		.amdhsa_exception_fp_ieee_inexact 0
		.amdhsa_exception_int_div_zero 0
	.end_amdhsa_kernel
	.section	.text._ZN4vllm38concat_and_cache_mla_rope_fused_kernelIN3c104HalfENS1_8BFloat16ELb0EthLNS_18Fp8KVCacheDataTypeE1EEEvPKlPT_S8_PKS7_PKT0_illlliPT3_S6_iiiiPKf,"axG",@progbits,_ZN4vllm38concat_and_cache_mla_rope_fused_kernelIN3c104HalfENS1_8BFloat16ELb0EthLNS_18Fp8KVCacheDataTypeE1EEEvPKlPT_S8_PKS7_PKT0_illlliPT3_S6_iiiiPKf,comdat
.Lfunc_end83:
	.size	_ZN4vllm38concat_and_cache_mla_rope_fused_kernelIN3c104HalfENS1_8BFloat16ELb0EthLNS_18Fp8KVCacheDataTypeE1EEEvPKlPT_S8_PKS7_PKT0_illlliPT3_S6_iiiiPKf, .Lfunc_end83-_ZN4vllm38concat_and_cache_mla_rope_fused_kernelIN3c104HalfENS1_8BFloat16ELb0EthLNS_18Fp8KVCacheDataTypeE1EEEvPKlPT_S8_PKS7_PKT0_illlliPT3_S6_iiiiPKf
                                        ; -- End function
	.section	.AMDGPU.csdata,"",@progbits
; Kernel info:
; codeLenInByte = 2396
; NumSgprs: 49
; NumVgprs: 28
; NumAgprs: 0
; TotalNumVgprs: 28
; ScratchSize: 0
; MemoryBound: 0
; FloatMode: 240
; IeeeMode: 1
; LDSByteSize: 0 bytes/workgroup (compile time only)
; SGPRBlocks: 6
; VGPRBlocks: 3
; NumSGPRsForWavesPerEU: 49
; NumVGPRsForWavesPerEU: 28
; AccumOffset: 28
; Occupancy: 8
; WaveLimiterHint : 1
; COMPUTE_PGM_RSRC2:SCRATCH_EN: 0
; COMPUTE_PGM_RSRC2:USER_SGPR: 2
; COMPUTE_PGM_RSRC2:TRAP_HANDLER: 0
; COMPUTE_PGM_RSRC2:TGID_X_EN: 1
; COMPUTE_PGM_RSRC2:TGID_Y_EN: 0
; COMPUTE_PGM_RSRC2:TGID_Z_EN: 0
; COMPUTE_PGM_RSRC2:TIDIG_COMP_CNT: 0
; COMPUTE_PGM_RSRC3_GFX90A:ACCUM_OFFSET: 6
; COMPUTE_PGM_RSRC3_GFX90A:TG_SPLIT: 0
	.section	.text._ZN4vllm38concat_and_cache_mla_rope_fused_kernelIN3c108BFloat16EfLb1EthLNS_18Fp8KVCacheDataTypeE1EEEvPKlPT_S7_PKS6_PKT0_illlliPT3_S5_iiiiPKf,"axG",@progbits,_ZN4vllm38concat_and_cache_mla_rope_fused_kernelIN3c108BFloat16EfLb1EthLNS_18Fp8KVCacheDataTypeE1EEEvPKlPT_S7_PKS6_PKT0_illlliPT3_S5_iiiiPKf,comdat
	.protected	_ZN4vllm38concat_and_cache_mla_rope_fused_kernelIN3c108BFloat16EfLb1EthLNS_18Fp8KVCacheDataTypeE1EEEvPKlPT_S7_PKS6_PKT0_illlliPT3_S5_iiiiPKf ; -- Begin function _ZN4vllm38concat_and_cache_mla_rope_fused_kernelIN3c108BFloat16EfLb1EthLNS_18Fp8KVCacheDataTypeE1EEEvPKlPT_S7_PKS6_PKT0_illlliPT3_S5_iiiiPKf
	.globl	_ZN4vllm38concat_and_cache_mla_rope_fused_kernelIN3c108BFloat16EfLb1EthLNS_18Fp8KVCacheDataTypeE1EEEvPKlPT_S7_PKS6_PKT0_illlliPT3_S5_iiiiPKf
	.p2align	8
	.type	_ZN4vllm38concat_and_cache_mla_rope_fused_kernelIN3c108BFloat16EfLb1EthLNS_18Fp8KVCacheDataTypeE1EEEvPKlPT_S7_PKS6_PKT0_illlliPT3_S5_iiiiPKf,@function
_ZN4vllm38concat_and_cache_mla_rope_fused_kernelIN3c108BFloat16EfLb1EthLNS_18Fp8KVCacheDataTypeE1EEEvPKlPT_S7_PKS6_PKT0_illlliPT3_S5_iiiiPKf: ; @_ZN4vllm38concat_and_cache_mla_rope_fused_kernelIN3c108BFloat16EfLb1EthLNS_18Fp8KVCacheDataTypeE1EEEvPKlPT_S7_PKS6_PKT0_illlliPT3_S5_iiiiPKf
; %bb.0:
	s_load_dwordx2 s[6:7], s[0:1], 0x60
	s_mov_b32 s3, 0
	s_lshl_b64 s[4:5], s[2:3], 3
	s_waitcnt lgkmcnt(0)
	s_add_u32 s6, s6, s4
	s_addc_u32 s7, s7, s5
	s_load_dwordx2 s[34:35], s[6:7], 0x0
	s_waitcnt lgkmcnt(0)
	v_cmp_lt_i64_e64 s[6:7], s[34:35], 0
	s_and_b64 vcc, exec, s[6:7]
	s_cbranch_vccnz .LBB84_13
; %bb.1:
	s_load_dword s3, s[0:1], 0x28
	s_load_dwordx2 s[6:7], s[0:1], 0x0
	s_load_dwordx4 s[16:19], s[0:1], 0x10
	s_waitcnt lgkmcnt(0)
	s_ashr_i32 s20, s3, 31
	s_add_u32 s4, s6, s4
	s_addc_u32 s5, s7, s5
	s_load_dwordx2 s[6:7], s[4:5], 0x0
	s_load_dwordx2 s[28:29], s[0:1], 0x20
	s_load_dwordx8 s[8:15], s[0:1], 0x30
	s_load_dwordx2 s[24:25], s[0:1], 0x58
	s_load_dword s21, s[0:1], 0x50
	s_waitcnt lgkmcnt(0)
	s_mul_i32 s4, s6, s20
	s_mul_hi_u32 s5, s6, s3
	s_mul_i32 s7, s7, s3
	s_add_i32 s4, s5, s4
	s_add_i32 s31, s4, s7
	s_lshr_b32 s4, s3, 31
	s_mul_i32 s30, s6, s3
	s_add_i32 s3, s3, s4
	s_ashr_i32 s26, s3, 1
	s_mul_i32 s3, s26, s21
	v_cmp_gt_i32_e32 vcc, s3, v0
	s_and_saveexec_b64 s[20:21], vcc
	s_cbranch_execz .LBB84_4
; %bb.2:
	s_lshl_b64 s[4:5], s[30:31], 2
	s_add_u32 s22, s28, s4
	s_addc_u32 s23, s29, s5
	s_load_dwordx2 s[4:5], s[0:1], 0x8
	s_mul_i32 s6, s2, s9
	s_mul_hi_u32 s7, s2, s8
	s_add_i32 s7, s7, s6
	s_mul_i32 s6, s2, s8
	s_load_dword s8, s[0:1], 0x8c
	s_ashr_i32 s27, s26, 31
	s_lshl_b64 s[6:7], s[6:7], 1
	s_waitcnt lgkmcnt(0)
	s_add_u32 s36, s4, s6
	s_addc_u32 s37, s5, s7
	s_abs_i32 s33, s26
	v_cvt_f32_u32_e32 v1, s33
	s_sub_i32 s4, 0, s33
	s_and_b32 s40, s8, 0xffff
	s_sub_i32 s41, 0, s26
	v_rcp_iflag_f32_e32 v1, v1
	s_mov_b64 s[38:39], 0
	s_movk_i32 s42, 0x7fff
	v_mov_b32_e32 v3, 0x7fc00000
	v_mul_f32_e32 v1, 0x4f7ffffe, v1
	v_cvt_u32_f32_e32 v1, v1
	v_mov_b32_e32 v4, 0x7fc0
	v_mul_lo_u32 v2, s4, v1
	v_mul_hi_u32 v2, v1, v2
	v_add_u32_e32 v1, v1, v2
	v_mov_b32_e32 v2, v0
.LBB84_3:                               ; =>This Inner Loop Header: Depth=1
	v_sub_u32_e32 v6, 0, v2
	v_max_i32_e32 v6, v2, v6
	v_mul_hi_u32 v7, v6, v1
	v_mul_lo_u32 v8, v7, s33
	v_sub_u32_e32 v6, v6, v8
	v_add_u32_e32 v9, 1, v7
	v_cmp_le_u32_e32 vcc, s33, v6
	v_subrev_u32_e32 v8, s33, v6
	v_ashrrev_i32_e32 v5, 31, v2
	v_cndmask_b32_e32 v7, v7, v9, vcc
	v_cndmask_b32_e32 v6, v6, v8, vcc
	v_add_u32_e32 v8, 1, v7
	v_cmp_le_u32_e32 vcc, s33, v6
	v_xor_b32_e32 v5, s27, v5
	s_nop 0
	v_cndmask_b32_e32 v6, v7, v8, vcc
	v_xor_b32_e32 v6, v6, v5
	v_sub_u32_e32 v5, v6, v5
	v_mad_u64_u32 v[6:7], s[4:5], s41, v5, v[2:3]
	v_ashrrev_i32_e32 v10, 31, v5
	v_mul_lo_u32 v12, v5, s11
	v_mad_u64_u32 v[8:9], s[4:5], v5, s10, 0
	v_ashrrev_i32_e32 v7, 31, v6
	v_mul_lo_u32 v5, v10, s10
	v_lshl_add_u64 v[10:11], v[6:7], 2, s[22:23]
	v_add3_u32 v9, v9, v12, v5
	v_lshl_add_u64 v[12:13], s[26:27], 2, v[10:11]
	v_lshl_add_u64 v[8:9], v[8:9], 1, s[36:37]
	global_load_dword v5, v[10:11], off
	global_load_dword v14, v[12:13], off
	v_lshl_add_u64 v[6:7], v[6:7], 1, v[8:9]
	v_lshl_add_u64 v[8:9], s[26:27], 1, v[6:7]
	global_load_ushort v10, v[6:7], off
	global_load_ushort v12, v[8:9], off
	v_add_u32_e32 v2, s40, v2
	v_cmp_le_i32_e32 vcc, s3, v2
	s_or_b64 s[38:39], vcc, s[38:39]
	s_waitcnt vmcnt(3)
	v_bfe_u32 v11, v5, 16, 1
	s_waitcnt vmcnt(2)
	v_bfe_u32 v13, v14, 16, 1
	v_add3_u32 v11, v5, v11, s42
	v_add3_u32 v13, v14, v13, s42
	v_and_b32_e32 v15, 0xffff0000, v11
	v_cmp_o_f32_e32 vcc, v5, v5
	v_and_b32_e32 v5, 0xffff0000, v13
	s_waitcnt vmcnt(1)
	v_lshlrev_b32_e32 v11, 16, v10
	s_waitcnt vmcnt(0)
	v_lshlrev_b32_e32 v10, 16, v12
	v_cndmask_b32_e32 v12, v3, v15, vcc
	v_cmp_o_f32_e32 vcc, v14, v14
	v_mov_b32_e32 v14, v11
	v_mov_b32_e32 v15, v10
	v_cndmask_b32_e32 v13, v3, v5, vcc
	v_pk_mul_f32 v[14:15], v[12:13], v[14:15]
	v_pk_mul_f32 v[10:11], v[12:13], v[10:11]
	v_bfe_u32 v5, v14, 16, 1
	v_bfe_u32 v12, v15, 16, 1
	;; [unrolled: 1-line block ×4, first 2 shown]
	v_add3_u32 v12, v15, v12, s42
	v_add3_u32 v5, v14, v5, s42
	;; [unrolled: 1-line block ×4, first 2 shown]
	v_and_b32_e32 v5, 0xffff0000, v5
	v_and_b32_e32 v12, 0xffff0000, v12
	v_cmp_o_f32_e32 vcc, v14, v14
	v_cmp_o_f32_e64 s[8:9], v15, v15
	v_and_b32_e32 v13, 0xffff0000, v13
	v_and_b32_e32 v14, 0xffff0000, v16
	v_cmp_o_f32_e64 s[4:5], v11, v11
	v_cmp_o_f32_e64 s[6:7], v10, v10
	v_cndmask_b32_e64 v10, v3, v12, s[8:9]
	v_cndmask_b32_e32 v5, v3, v5, vcc
	v_cndmask_b32_e64 v11, v3, v14, s[4:5]
	v_cndmask_b32_e64 v12, v3, v13, s[6:7]
	v_sub_f32_e32 v5, v5, v10
	v_add_f32_e32 v10, v12, v11
	v_bfe_u32 v11, v5, 16, 1
	v_bfe_u32 v12, v10, 16, 1
	v_add3_u32 v11, v5, v11, s42
	v_add3_u32 v12, v10, v12, s42
	v_lshrrev_b32_e32 v11, 16, v11
	v_cmp_o_f32_e64 s[4:5], v5, v5
	v_lshrrev_b32_e32 v12, 16, v12
	v_cmp_o_f32_e32 vcc, v10, v10
	v_cndmask_b32_e64 v5, v4, v11, s[4:5]
	s_nop 0
	v_cndmask_b32_e32 v10, v4, v12, vcc
	global_store_short v[6:7], v5, off
	global_store_short v[8:9], v10, off
	s_andn2_b64 exec, exec, s[38:39]
	s_cbranch_execnz .LBB84_3
.LBB84_4:
	s_or_b64 exec, exec, s[20:21]
	s_load_dwordx4 s[20:23], s[0:1], 0x68
	s_waitcnt lgkmcnt(0)
	s_ashr_i32 s7, s23, 31
	s_mov_b32 s6, s23
	s_or_b64 s[4:5], s[34:35], s[6:7]
	s_mov_b32 s4, 0
	s_cmp_lg_u64 s[4:5], 0
	s_cbranch_scc0 .LBB84_14
; %bb.5:
	s_add_u32 s4, s6, s7
	s_mov_b32 s10, s7
	s_mov_b32 s11, s7
	s_addc_u32 s5, s7, s7
	s_xor_b64 s[36:37], s[4:5], s[10:11]
	v_cvt_f32_u32_e32 v1, s36
	v_cvt_f32_u32_e32 v2, s37
	s_sub_u32 s3, 0, s36
	s_subb_u32 s4, 0, s37
	v_fmamk_f32 v1, v2, 0x4f800000, v1
	v_rcp_f32_e32 v1, v1
	s_nop 0
	v_mul_f32_e32 v1, 0x5f7ffffc, v1
	v_mul_f32_e32 v2, 0x2f800000, v1
	v_trunc_f32_e32 v2, v2
	v_fmamk_f32 v1, v2, 0xcf800000, v1
	v_cvt_u32_f32_e32 v2, v2
	v_cvt_u32_f32_e32 v1, v1
	v_readfirstlane_b32 s5, v2
	v_readfirstlane_b32 s23, v1
	s_mul_i32 s27, s3, s5
	s_mul_hi_u32 s38, s3, s23
	s_mul_i32 s33, s4, s23
	s_add_i32 s27, s38, s27
	s_add_i32 s27, s27, s33
	s_mul_i32 s39, s3, s23
	s_mul_hi_u32 s33, s23, s27
	s_mul_i32 s38, s23, s27
	s_mul_hi_u32 s23, s23, s39
	s_add_u32 s23, s23, s38
	s_addc_u32 s33, 0, s33
	s_mul_hi_u32 s40, s5, s39
	s_mul_i32 s39, s5, s39
	s_add_u32 s23, s23, s39
	s_mul_hi_u32 s38, s5, s27
	s_addc_u32 s23, s33, s40
	s_addc_u32 s33, s38, 0
	s_mul_i32 s27, s5, s27
	s_add_u32 s23, s23, s27
	s_addc_u32 s27, 0, s33
	v_add_co_u32_e32 v1, vcc, s23, v1
	s_cmp_lg_u64 vcc, 0
	s_addc_u32 s5, s5, s27
	v_readfirstlane_b32 s27, v1
	s_mul_i32 s23, s3, s5
	s_mul_hi_u32 s33, s3, s27
	s_add_i32 s23, s33, s23
	s_mul_i32 s4, s4, s27
	s_add_i32 s23, s23, s4
	s_mul_i32 s3, s3, s27
	s_mul_hi_u32 s33, s5, s3
	s_mul_i32 s38, s5, s3
	s_mul_i32 s40, s27, s23
	s_mul_hi_u32 s3, s27, s3
	s_mul_hi_u32 s39, s27, s23
	s_add_u32 s3, s3, s40
	s_addc_u32 s27, 0, s39
	s_add_u32 s3, s3, s38
	s_mul_hi_u32 s4, s5, s23
	s_addc_u32 s3, s27, s33
	s_addc_u32 s4, s4, 0
	s_mul_i32 s23, s5, s23
	s_add_u32 s3, s3, s23
	s_addc_u32 s4, 0, s4
	v_add_co_u32_e32 v1, vcc, s3, v1
	s_cmp_lg_u64 vcc, 0
	s_addc_u32 s3, s5, s4
	s_ashr_i32 s38, s35, 31
	s_add_u32 s4, s34, s38
	s_mov_b32 s39, s38
	s_addc_u32 s5, s35, s38
	s_xor_b64 s[40:41], s[4:5], s[38:39]
	v_readfirstlane_b32 s23, v1
	s_mul_i32 s5, s40, s3
	s_mul_hi_u32 s27, s40, s23
	s_mul_hi_u32 s4, s40, s3
	s_add_u32 s5, s27, s5
	s_addc_u32 s4, 0, s4
	s_mul_hi_u32 s33, s41, s23
	s_mul_i32 s23, s41, s23
	s_add_u32 s5, s5, s23
	s_mul_hi_u32 s27, s41, s3
	s_addc_u32 s4, s4, s33
	s_addc_u32 s5, s27, 0
	s_mul_i32 s3, s41, s3
	s_add_u32 s3, s4, s3
	s_addc_u32 s23, 0, s5
	s_mul_i32 s4, s36, s23
	s_mul_hi_u32 s5, s36, s3
	s_add_i32 s4, s5, s4
	s_mul_i32 s5, s37, s3
	s_add_i32 s27, s4, s5
	s_mul_i32 s5, s36, s3
	v_mov_b32_e32 v1, s5
	s_sub_i32 s4, s41, s27
	v_sub_co_u32_e32 v1, vcc, s40, v1
	s_cmp_lg_u64 vcc, 0
	s_subb_u32 s33, s4, s37
	v_subrev_co_u32_e64 v2, s[4:5], s36, v1
	s_cmp_lg_u64 s[4:5], 0
	s_subb_u32 s4, s33, 0
	s_cmp_ge_u32 s4, s37
	v_readfirstlane_b32 s33, v2
	s_cselect_b32 s5, -1, 0
	s_cmp_ge_u32 s33, s36
	s_cselect_b32 s33, -1, 0
	s_cmp_eq_u32 s4, s37
	s_cselect_b32 s4, s33, s5
	s_add_u32 s5, s3, 1
	s_addc_u32 s33, s23, 0
	s_add_u32 s40, s3, 2
	s_addc_u32 s42, s23, 0
	s_cmp_lg_u32 s4, 0
	s_cselect_b32 s4, s40, s5
	s_cselect_b32 s5, s42, s33
	s_cmp_lg_u64 vcc, 0
	s_subb_u32 s27, s41, s27
	s_cmp_ge_u32 s27, s37
	v_readfirstlane_b32 s40, v1
	s_cselect_b32 s33, -1, 0
	s_cmp_ge_u32 s40, s36
	s_cselect_b32 s36, -1, 0
	s_cmp_eq_u32 s27, s37
	s_cselect_b32 s27, s36, s33
	s_cmp_lg_u32 s27, 0
	s_cselect_b32 s5, s5, s23
	s_cselect_b32 s4, s4, s3
	s_xor_b64 s[10:11], s[38:39], s[10:11]
	s_xor_b64 s[4:5], s[4:5], s[10:11]
	s_sub_u32 s10, s4, s10
	s_subb_u32 s11, s5, s11
	s_cbranch_execnz .LBB84_7
.LBB84_6:
	v_cvt_f32_u32_e32 v1, s6
	s_sub_i32 s3, 0, s6
	s_mov_b32 s11, 0
	v_rcp_iflag_f32_e32 v1, v1
	s_nop 0
	v_mul_f32_e32 v1, 0x4f7ffffe, v1
	v_cvt_u32_f32_e32 v1, v1
	s_nop 0
	v_readfirstlane_b32 s4, v1
	s_mul_i32 s3, s3, s4
	s_mul_hi_u32 s3, s4, s3
	s_add_i32 s4, s4, s3
	s_mul_hi_u32 s3, s34, s4
	s_mul_i32 s5, s3, s6
	s_sub_i32 s5, s34, s5
	s_add_i32 s4, s3, 1
	s_sub_i32 s8, s5, s6
	s_cmp_ge_u32 s5, s6
	s_cselect_b32 s3, s4, s3
	s_cselect_b32 s5, s8, s5
	s_add_i32 s4, s3, 1
	s_cmp_ge_u32 s5, s6
	s_cselect_b32 s10, s4, s3
.LBB84_7:
	s_mul_i32 s3, s10, s7
	s_mul_hi_u32 s4, s10, s6
	s_load_dwordx2 s[36:37], s[0:1], 0x78
	s_add_i32 s3, s4, s3
	s_mul_i32 s4, s11, s6
	s_add_i32 s3, s3, s4
	s_mul_i32 s4, s10, s6
	s_sub_u32 s33, s34, s4
	s_subb_u32 s3, s35, s3
	v_cmp_gt_i32_e32 vcc, s26, v0
	s_mul_hi_u32 s47, s10, s20
	s_mul_i32 s48, s11, s20
	s_mul_i32 s49, s10, s20
	s_mul_hi_u32 s46, s33, s21
	s_mul_i32 s11, s3, s21
	s_mul_i32 s23, s33, s21
	s_and_saveexec_b64 s[34:35], vcc
	s_cbranch_execz .LBB84_10
; %bb.8:
	s_ashr_i32 s3, s20, 31
	s_ashr_i32 s4, s21, 31
	s_mul_i32 s3, s10, s3
	s_mul_i32 s4, s33, s4
	s_add_i32 s3, s47, s3
	s_add_i32 s4, s46, s4
	s_ashr_i32 s27, s26, 31
	s_add_i32 s3, s3, s48
	s_add_i32 s4, s4, s11
	s_add_u32 s6, s49, s23
	s_load_dword s5, s[0:1], 0x8c
	s_addc_u32 s7, s3, s4
	s_add_u32 s3, s6, s24
	s_addc_u32 s4, s7, s25
	s_ashr_i32 s8, s22, 31
	s_add_u32 s38, s3, s22
	s_addc_u32 s39, s4, s8
	s_waitcnt lgkmcnt(0)
	s_and_b32 s50, s5, 0xffff
	s_lshl_b64 s[4:5], s[30:31], 2
	v_mov_b32_e32 v1, 0
	s_add_u32 s4, s28, s4
	v_lshlrev_b32_e32 v2, 2, v0
	v_mov_b32_e32 v3, v1
	s_addc_u32 s5, s29, s5
	v_lshl_add_u64 v[2:3], s[4:5], 0, v[2:3]
	s_mul_i32 s4, s13, s2
	s_mul_hi_u32 s5, s12, s2
	s_add_i32 s5, s5, s4
	s_mul_i32 s4, s12, s2
	s_lshl_b32 s40, s50, 2
	s_lshl_b64 s[28:29], s[26:27], 2
	s_lshl_b64 s[30:31], s[26:27], 1
	;; [unrolled: 1-line block ×3, first 2 shown]
	s_add_u32 s4, s16, s4
	v_lshlrev_b32_e32 v4, 1, v0
	v_mov_b32_e32 v5, v1
	s_addc_u32 s5, s17, s5
	s_lshl_b32 s12, s50, 1
	v_lshl_add_u64 v[4:5], s[4:5], 0, v[4:5]
	s_add_u32 s4, s6, s26
	s_load_dword s3, s[36:37], 0x0
	s_addc_u32 s5, s7, s27
	s_add_u32 s4, s4, s22
	s_addc_u32 s5, s5, s8
	s_mov_b32 s41, 0
	s_add_u32 s16, s24, s4
	s_mov_b32 s13, s41
	s_addc_u32 s17, s25, s5
	s_mov_b64 s[42:43], 0
	s_movk_i32 s27, 0x7fff
	v_mov_b32_e32 v10, 0x7fc00000
	v_mov_b32_e32 v11, 0x7fc0
	s_mov_b32 s51, 0x7f800000
	s_mov_b32 s52, 0x43700000
	v_mov_b32_e32 v12, 0xc3700000
	s_mov_b64 s[44:45], 0
.LBB84_9:                               ; =>This Inner Loop Header: Depth=1
	global_load_dword v13, v[2:3], off
	v_lshl_add_u64 v[8:9], v[2:3], 0, s[28:29]
	v_lshl_add_u64 v[6:7], v[4:5], 0, s[30:31]
	global_load_dword v21, v[8:9], off
	global_load_ushort v16, v[4:5], off
	global_load_ushort v18, v[6:7], off
	s_add_u32 s44, s44, s50
	s_addc_u32 s45, s45, 0
	v_lshl_add_u64 v[14:15], s[16:17], 0, v[0:1]
	s_add_u32 s16, s16, s50
	v_add_u32_e32 v17, s44, v0
	s_addc_u32 s17, s17, 0
	v_lshl_add_u64 v[8:9], s[38:39], 0, v[0:1]
	v_cmp_le_i32_e32 vcc, s26, v17
	s_add_u32 s38, s38, s50
	s_addc_u32 s39, s39, 0
	s_or_b64 s[42:43], vcc, s[42:43]
	v_mov_b32_e32 v22, 0
	v_mov_b32_e32 v23, 0
	v_lshl_add_u64 v[2:3], v[2:3], 0, s[40:41]
	s_waitcnt vmcnt(3)
	v_bfe_u32 v17, v13, 16, 1
	s_waitcnt vmcnt(2)
	v_bfe_u32 v19, v21, 16, 1
	v_add3_u32 v20, v13, v17, s27
	v_add3_u32 v24, v21, v19, s27
	v_and_b32_e32 v20, 0xffff0000, v20
	v_cmp_o_f32_e32 vcc, v13, v13
	s_waitcnt vmcnt(1)
	v_lshlrev_b32_e32 v17, 16, v16
	s_waitcnt vmcnt(0)
	v_lshlrev_b32_e32 v16, 16, v18
	v_and_b32_e32 v13, 0xffff0000, v24
	v_cndmask_b32_e32 v20, v10, v20, vcc
	v_cmp_o_f32_e32 vcc, v21, v21
	v_mov_b32_e32 v18, v17
	v_mov_b32_e32 v19, v16
	v_cndmask_b32_e32 v21, v10, v13, vcc
	v_pk_mul_f32 v[18:19], v[20:21], v[18:19]
	v_pk_mul_f32 v[16:17], v[20:21], v[16:17]
	v_bfe_u32 v13, v18, 16, 1
	v_bfe_u32 v20, v19, 16, 1
	;; [unrolled: 1-line block ×4, first 2 shown]
	v_add3_u32 v20, v19, v20, s27
	v_add3_u32 v13, v18, v13, s27
	v_add3_u32 v24, v17, v24, s27
	v_add3_u32 v21, v16, v21, s27
	v_and_b32_e32 v13, 0xffff0000, v13
	v_and_b32_e32 v20, 0xffff0000, v20
	v_cmp_o_f32_e32 vcc, v18, v18
	v_cmp_o_f32_e64 s[8:9], v19, v19
	v_and_b32_e32 v18, 0xffff0000, v21
	v_and_b32_e32 v21, 0xffff0000, v24
	v_cmp_o_f32_e64 s[4:5], v17, v17
	v_cmp_o_f32_e64 s[6:7], v16, v16
	v_cndmask_b32_e64 v16, v10, v20, s[8:9]
	v_cndmask_b32_e32 v13, v10, v13, vcc
	v_cndmask_b32_e64 v17, v10, v21, s[4:5]
	v_cndmask_b32_e64 v18, v10, v18, s[6:7]
	v_sub_f32_e32 v13, v13, v16
	v_add_f32_e32 v16, v18, v17
	v_bfe_u32 v17, v13, 16, 1
	v_bfe_u32 v18, v16, 16, 1
	v_add3_u32 v17, v13, v17, s27
	v_add3_u32 v18, v16, v18, s27
	v_lshrrev_b32_e32 v17, 16, v17
	v_cmp_o_f32_e64 s[4:5], v13, v13
	v_lshrrev_b32_e32 v18, 16, v18
	v_cmp_o_f32_e32 vcc, v16, v16
	v_cndmask_b32_e64 v13, v11, v17, s[4:5]
	v_cvt_f32_f16_e32 v17, v13
	v_cndmask_b32_e32 v16, v11, v18, vcc
	global_store_short v[4:5], v13, off
	v_cvt_f32_f16_e32 v13, v16
	s_waitcnt lgkmcnt(0)
	v_div_scale_f32 v18, s[4:5], s3, s3, v17
	v_rcp_f32_e32 v24, v18
	v_div_scale_f32 v20, s[4:5], s3, s3, v13
	v_rcp_f32_e32 v25, v20
	v_fma_f32 v26, -v18, v24, 1.0
	v_div_scale_f32 v19, vcc, v17, s3, v17
	v_fma_f32 v27, -v20, v25, 1.0
	v_fmac_f32_e32 v24, v26, v24
	v_div_scale_f32 v21, s[4:5], v13, s3, v13
	v_fmac_f32_e32 v25, v27, v25
	v_mul_f32_e32 v26, v19, v24
	v_mul_f32_e32 v27, v21, v25
	v_fma_f32 v28, -v18, v26, v19
	v_fma_f32 v29, -v20, v27, v21
	v_fmac_f32_e32 v26, v28, v24
	v_fmac_f32_e32 v27, v29, v25
	v_fma_f32 v18, -v18, v26, v19
	v_fma_f32 v19, -v20, v27, v21
	v_div_fmas_f32 v18, v18, v24, v26
	s_mov_b64 vcc, s[4:5]
	v_div_fixup_f32 v17, v18, s3, v17
	v_div_fmas_f32 v18, v19, v25, v27
	v_cvt_f16_f32_e32 v17, v17
	v_div_fixup_f32 v13, v18, s3, v13
	v_cvt_f16_f32_e32 v13, v13
	v_lshl_add_u64 v[4:5], v[4:5], 0, s[12:13]
	v_cvt_f32_f16_e32 v17, v17
	global_store_short v[6:7], v16, off
	v_cvt_f32_f16_e32 v13, v13
	v_med3_f32 v18, v17, s52, v12
	v_cmp_nlg_f32_e64 vcc, |v17|, s51
	s_nop 1
	v_cndmask_b32_e32 v17, v18, v17, vcc
	v_med3_f32 v18, v13, s52, v12
	v_cmp_nlg_f32_e64 vcc, |v13|, s51
	v_cvt_pk_fp8_f32 v22, v17, v17
	s_nop 0
	v_cndmask_b32_e32 v13, v18, v13, vcc
	v_cvt_pk_fp8_f32 v23, v13, v13
	global_store_byte v[8:9], v22, off
	global_store_byte v[14:15], v23, off
	s_andn2_b64 exec, exec, s[42:43]
	s_cbranch_execnz .LBB84_9
.LBB84_10:
	s_or_b64 exec, exec, s[34:35]
	v_cmp_gt_i32_e32 vcc, s22, v0
	s_and_saveexec_b64 s[4:5], vcc
	s_cbranch_execz .LBB84_13
; %bb.11:
	s_mul_i32 s3, s2, s15
	s_mul_hi_u32 s4, s2, s14
	s_add_i32 s3, s4, s3
	s_mul_i32 s2, s2, s14
	s_lshl_b64 s[2:3], s[2:3], 1
	s_add_u32 s2, s18, s2
	s_addc_u32 s3, s19, s3
	s_ashr_i32 s4, s20, 31
	s_mul_i32 s4, s10, s4
	s_add_i32 s4, s47, s4
	s_add_i32 s4, s4, s48
	s_add_u32 s5, s24, s49
	s_addc_u32 s4, s25, s4
	s_ashr_i32 s6, s21, 31
	s_mul_i32 s33, s33, s6
	s_add_i32 s6, s46, s33
	s_add_i32 s6, s6, s11
	s_load_dword s7, s[0:1], 0x8c
	s_add_u32 s0, s5, s23
	s_addc_u32 s1, s4, s6
	s_waitcnt lgkmcnt(0)
	s_load_dword s6, s[36:37], 0x0
	s_mov_b64 s[4:5], 0
	s_and_b32 s7, s7, 0xffff
	s_mov_b32 s8, 0x7f800000
	s_mov_b32 s9, 0x43700000
	v_mov_b32_e32 v2, 0xc3700000
.LBB84_12:                              ; =>This Inner Loop Header: Depth=1
	v_ashrrev_i32_e32 v1, 31, v0
	v_lshl_add_u64 v[4:5], v[0:1], 1, s[2:3]
	global_load_ushort v3, v[4:5], off
	s_waitcnt vmcnt(0)
	v_cvt_f32_f16_e32 v3, v3
	s_waitcnt lgkmcnt(0)
	v_div_scale_f32 v4, s[10:11], s6, s6, v3
	v_rcp_f32_e32 v5, v4
	v_div_scale_f32 v6, vcc, v3, s6, v3
	v_fma_f32 v7, -v4, v5, 1.0
	v_fmac_f32_e32 v5, v7, v5
	v_mul_f32_e32 v7, v6, v5
	v_fma_f32 v8, -v4, v7, v6
	v_fmac_f32_e32 v7, v8, v5
	v_fma_f32 v4, -v4, v7, v6
	v_div_fmas_f32 v4, v4, v5, v7
	v_div_fixup_f32 v3, v4, s6, v3
	v_cvt_f16_f32_e32 v3, v3
	v_mov_b32_e32 v6, 0
	v_cvt_f32_f16_e32 v3, v3
	v_med3_f32 v4, v3, s9, v2
	v_cmp_nlg_f32_e64 vcc, |v3|, s8
	s_nop 1
	v_cndmask_b32_e32 v3, v4, v3, vcc
	v_cvt_pk_fp8_f32 v6, v3, v3
	v_lshl_add_u64 v[4:5], s[0:1], 0, v[0:1]
	v_add_u32_e32 v0, s7, v0
	v_cmp_le_i32_e32 vcc, s22, v0
	s_or_b64 s[4:5], vcc, s[4:5]
	global_store_byte v[4:5], v6, off
	s_andn2_b64 exec, exec, s[4:5]
	s_cbranch_execnz .LBB84_12
.LBB84_13:
	s_endpgm
.LBB84_14:
                                        ; implicit-def: $sgpr10_sgpr11
	s_branch .LBB84_6
	.section	.rodata,"a",@progbits
	.p2align	6, 0x0
	.amdhsa_kernel _ZN4vllm38concat_and_cache_mla_rope_fused_kernelIN3c108BFloat16EfLb1EthLNS_18Fp8KVCacheDataTypeE1EEEvPKlPT_S7_PKS6_PKT0_illlliPT3_S5_iiiiPKf
		.amdhsa_group_segment_fixed_size 0
		.amdhsa_private_segment_fixed_size 0
		.amdhsa_kernarg_size 384
		.amdhsa_user_sgpr_count 2
		.amdhsa_user_sgpr_dispatch_ptr 0
		.amdhsa_user_sgpr_queue_ptr 0
		.amdhsa_user_sgpr_kernarg_segment_ptr 1
		.amdhsa_user_sgpr_dispatch_id 0
		.amdhsa_user_sgpr_kernarg_preload_length 0
		.amdhsa_user_sgpr_kernarg_preload_offset 0
		.amdhsa_user_sgpr_private_segment_size 0
		.amdhsa_uses_dynamic_stack 0
		.amdhsa_enable_private_segment 0
		.amdhsa_system_sgpr_workgroup_id_x 1
		.amdhsa_system_sgpr_workgroup_id_y 0
		.amdhsa_system_sgpr_workgroup_id_z 0
		.amdhsa_system_sgpr_workgroup_info 0
		.amdhsa_system_vgpr_workitem_id 0
		.amdhsa_next_free_vgpr 30
		.amdhsa_next_free_sgpr 53
		.amdhsa_accum_offset 32
		.amdhsa_reserve_vcc 1
		.amdhsa_float_round_mode_32 0
		.amdhsa_float_round_mode_16_64 0
		.amdhsa_float_denorm_mode_32 3
		.amdhsa_float_denorm_mode_16_64 3
		.amdhsa_dx10_clamp 1
		.amdhsa_ieee_mode 1
		.amdhsa_fp16_overflow 0
		.amdhsa_tg_split 0
		.amdhsa_exception_fp_ieee_invalid_op 0
		.amdhsa_exception_fp_denorm_src 0
		.amdhsa_exception_fp_ieee_div_zero 0
		.amdhsa_exception_fp_ieee_overflow 0
		.amdhsa_exception_fp_ieee_underflow 0
		.amdhsa_exception_fp_ieee_inexact 0
		.amdhsa_exception_int_div_zero 0
	.end_amdhsa_kernel
	.section	.text._ZN4vllm38concat_and_cache_mla_rope_fused_kernelIN3c108BFloat16EfLb1EthLNS_18Fp8KVCacheDataTypeE1EEEvPKlPT_S7_PKS6_PKT0_illlliPT3_S5_iiiiPKf,"axG",@progbits,_ZN4vllm38concat_and_cache_mla_rope_fused_kernelIN3c108BFloat16EfLb1EthLNS_18Fp8KVCacheDataTypeE1EEEvPKlPT_S7_PKS6_PKT0_illlliPT3_S5_iiiiPKf,comdat
.Lfunc_end84:
	.size	_ZN4vllm38concat_and_cache_mla_rope_fused_kernelIN3c108BFloat16EfLb1EthLNS_18Fp8KVCacheDataTypeE1EEEvPKlPT_S7_PKS6_PKT0_illlliPT3_S5_iiiiPKf, .Lfunc_end84-_ZN4vllm38concat_and_cache_mla_rope_fused_kernelIN3c108BFloat16EfLb1EthLNS_18Fp8KVCacheDataTypeE1EEEvPKlPT_S7_PKS6_PKT0_illlliPT3_S5_iiiiPKf
                                        ; -- End function
	.section	.AMDGPU.csdata,"",@progbits
; Kernel info:
; codeLenInByte = 3028
; NumSgprs: 59
; NumVgprs: 30
; NumAgprs: 0
; TotalNumVgprs: 30
; ScratchSize: 0
; MemoryBound: 0
; FloatMode: 240
; IeeeMode: 1
; LDSByteSize: 0 bytes/workgroup (compile time only)
; SGPRBlocks: 7
; VGPRBlocks: 3
; NumSGPRsForWavesPerEU: 59
; NumVGPRsForWavesPerEU: 30
; AccumOffset: 32
; Occupancy: 8
; WaveLimiterHint : 1
; COMPUTE_PGM_RSRC2:SCRATCH_EN: 0
; COMPUTE_PGM_RSRC2:USER_SGPR: 2
; COMPUTE_PGM_RSRC2:TRAP_HANDLER: 0
; COMPUTE_PGM_RSRC2:TGID_X_EN: 1
; COMPUTE_PGM_RSRC2:TGID_Y_EN: 0
; COMPUTE_PGM_RSRC2:TGID_Z_EN: 0
; COMPUTE_PGM_RSRC2:TIDIG_COMP_CNT: 0
; COMPUTE_PGM_RSRC3_GFX90A:ACCUM_OFFSET: 7
; COMPUTE_PGM_RSRC3_GFX90A:TG_SPLIT: 0
	.section	.text._ZN4vllm38concat_and_cache_mla_rope_fused_kernelIN3c108BFloat16EfLb0EthLNS_18Fp8KVCacheDataTypeE1EEEvPKlPT_S7_PKS6_PKT0_illlliPT3_S5_iiiiPKf,"axG",@progbits,_ZN4vllm38concat_and_cache_mla_rope_fused_kernelIN3c108BFloat16EfLb0EthLNS_18Fp8KVCacheDataTypeE1EEEvPKlPT_S7_PKS6_PKT0_illlliPT3_S5_iiiiPKf,comdat
	.protected	_ZN4vllm38concat_and_cache_mla_rope_fused_kernelIN3c108BFloat16EfLb0EthLNS_18Fp8KVCacheDataTypeE1EEEvPKlPT_S7_PKS6_PKT0_illlliPT3_S5_iiiiPKf ; -- Begin function _ZN4vllm38concat_and_cache_mla_rope_fused_kernelIN3c108BFloat16EfLb0EthLNS_18Fp8KVCacheDataTypeE1EEEvPKlPT_S7_PKS6_PKT0_illlliPT3_S5_iiiiPKf
	.globl	_ZN4vllm38concat_and_cache_mla_rope_fused_kernelIN3c108BFloat16EfLb0EthLNS_18Fp8KVCacheDataTypeE1EEEvPKlPT_S7_PKS6_PKT0_illlliPT3_S5_iiiiPKf
	.p2align	8
	.type	_ZN4vllm38concat_and_cache_mla_rope_fused_kernelIN3c108BFloat16EfLb0EthLNS_18Fp8KVCacheDataTypeE1EEEvPKlPT_S7_PKS6_PKT0_illlliPT3_S5_iiiiPKf,@function
_ZN4vllm38concat_and_cache_mla_rope_fused_kernelIN3c108BFloat16EfLb0EthLNS_18Fp8KVCacheDataTypeE1EEEvPKlPT_S7_PKS6_PKT0_illlliPT3_S5_iiiiPKf: ; @_ZN4vllm38concat_and_cache_mla_rope_fused_kernelIN3c108BFloat16EfLb0EthLNS_18Fp8KVCacheDataTypeE1EEEvPKlPT_S7_PKS6_PKT0_illlliPT3_S5_iiiiPKf
; %bb.0:
	s_load_dwordx2 s[6:7], s[0:1], 0x60
	s_mov_b32 s3, 0
	s_lshl_b64 s[4:5], s[2:3], 3
	s_waitcnt lgkmcnt(0)
	s_add_u32 s6, s6, s4
	s_addc_u32 s7, s7, s5
	s_load_dwordx2 s[26:27], s[6:7], 0x0
	s_waitcnt lgkmcnt(0)
	v_cmp_lt_i64_e64 s[6:7], s[26:27], 0
	s_and_b64 vcc, exec, s[6:7]
	s_cbranch_vccnz .LBB85_13
; %bb.1:
	s_load_dword s3, s[0:1], 0x28
	s_load_dwordx2 s[6:7], s[0:1], 0x0
	s_load_dwordx4 s[12:15], s[0:1], 0x10
	v_lshlrev_b32_e32 v2, 1, v0
	s_waitcnt lgkmcnt(0)
	s_ashr_i32 s22, s3, 31
	s_add_u32 s16, s6, s4
	s_addc_u32 s17, s7, s5
	s_load_dwordx2 s[18:19], s[16:17], 0x0
	s_load_dwordx2 s[24:25], s[0:1], 0x20
	s_load_dwordx8 s[4:11], s[0:1], 0x30
	s_load_dwordx2 s[20:21], s[0:1], 0x58
	s_load_dword s23, s[0:1], 0x50
	s_waitcnt lgkmcnt(0)
	s_mul_i32 s16, s18, s22
	s_mul_hi_u32 s17, s18, s3
	s_mul_i32 s19, s19, s3
	s_add_i32 s16, s17, s16
	s_add_i32 s29, s16, s19
	s_lshr_b32 s16, s3, 31
	s_mul_i32 s28, s18, s3
	s_add_i32 s3, s3, s16
	s_ashr_i32 s22, s3, 1
	s_mul_i32 s3, s22, s23
	v_cmp_gt_i32_e32 vcc, s3, v0
	s_and_saveexec_b64 s[16:17], vcc
	s_cbranch_execz .LBB85_4
; %bb.2:
	s_load_dwordx2 s[30:31], s[0:1], 0x8
	s_load_dword s34, s[0:1], 0x8c
	s_lshl_b64 s[18:19], s[28:29], 2
	s_add_u32 s18, s24, s18
	s_mul_i32 s5, s2, s5
	s_mul_hi_u32 s33, s2, s4
	s_addc_u32 s19, s25, s19
	s_add_i32 s5, s33, s5
	s_mul_i32 s4, s2, s4
	s_ashr_i32 s23, s22, 31
	s_lshl_b64 s[4:5], s[4:5], 1
	s_waitcnt lgkmcnt(0)
	s_add_u32 s30, s30, s4
	s_addc_u32 s31, s31, s5
	s_abs_i32 s33, s22
	v_cvt_f32_u32_e32 v1, s33
	s_sub_i32 s4, 0, s33
	s_and_b32 s36, s34, 0xffff
	s_sub_i32 s37, 0, s22
	v_rcp_iflag_f32_e32 v1, v1
	s_lshl_b32 s39, s36, 1
	s_mov_b64 s[34:35], 0
	s_movk_i32 s40, 0x7fff
	v_mul_f32_e32 v1, 0x4f7ffffe, v1
	v_cvt_u32_f32_e32 v1, v1
	v_mov_b32_e32 v5, 0x7fc0
	s_mov_b32 s41, 0x5040100
	v_mov_b32_e32 v4, v2
	v_mul_lo_u32 v3, s4, v1
	v_mul_hi_u32 v3, v1, v3
	s_lshl_b32 s4, s22, 1
	v_add_u32_e32 v1, v1, v3
	s_sub_i32 s38, 0, s4
	v_mov_b32_e32 v3, 0x7fc00000
	v_mov_b32_e32 v6, v0
.LBB85_3:                               ; =>This Inner Loop Header: Depth=1
	v_sub_u32_e32 v8, 0, v6
	v_max_i32_e32 v8, v6, v8
	v_mul_hi_u32 v9, v8, v1
	v_mul_lo_u32 v10, v9, s33
	v_sub_u32_e32 v8, v8, v10
	v_add_u32_e32 v11, 1, v9
	v_cmp_le_u32_e32 vcc, s33, v8
	v_subrev_u32_e32 v10, s33, v8
	v_ashrrev_i32_e32 v7, 31, v6
	v_cndmask_b32_e32 v9, v9, v11, vcc
	v_cndmask_b32_e32 v8, v8, v10, vcc
	v_add_u32_e32 v10, 1, v9
	v_cmp_le_u32_e32 vcc, s33, v8
	v_xor_b32_e32 v7, s23, v7
	s_nop 0
	v_cndmask_b32_e32 v8, v9, v10, vcc
	v_xor_b32_e32 v8, v8, v7
	v_sub_u32_e32 v7, v8, v7
	v_mad_u64_u32 v[8:9], s[4:5], s37, v7, v[6:7]
	v_ashrrev_i32_e32 v14, 31, v7
	v_ashrrev_i32_e32 v9, 31, v8
	v_mul_lo_u32 v15, v7, s7
	v_mad_u64_u32 v[10:11], s[4:5], v7, s6, 0
	v_mad_u64_u32 v[12:13], s[4:5], s38, v7, v[4:5]
	v_mul_lo_u32 v7, v14, s6
	v_lshl_add_u64 v[8:9], v[8:9], 2, s[18:19]
	v_add3_u32 v11, v11, v15, v7
	v_lshl_add_u64 v[14:15], s[22:23], 2, v[8:9]
	global_load_dword v7, v[8:9], off
	v_ashrrev_i32_e32 v13, 31, v12
	global_load_dword v14, v[14:15], off
	v_lshl_add_u64 v[8:9], v[10:11], 1, s[30:31]
	v_lshl_add_u64 v[8:9], v[12:13], 1, v[8:9]
	global_load_dword v10, v[8:9], off
	v_add_u32_e32 v6, s36, v6
	v_cmp_le_i32_e32 vcc, s3, v6
	s_or_b64 s[34:35], vcc, s[34:35]
	v_add_u32_e32 v4, s39, v4
	s_waitcnt vmcnt(2)
	v_bfe_u32 v11, v7, 16, 1
	v_add3_u32 v11, v7, v11, s40
	s_waitcnt vmcnt(1)
	v_bfe_u32 v12, v14, 16, 1
	v_and_b32_e32 v13, 0xffff0000, v11
	v_add3_u32 v12, v14, v12, s40
	v_cmp_o_f32_e32 vcc, v7, v7
	s_waitcnt vmcnt(0)
	v_and_b32_e32 v11, 0xffff0000, v10
	v_lshlrev_b32_e32 v10, 16, v10
	v_and_b32_e32 v7, 0xffff0000, v12
	v_cndmask_b32_e32 v12, v3, v13, vcc
	v_cmp_o_f32_e32 vcc, v14, v14
	v_pk_mul_f32 v[12:13], v[12:13], v[10:11] op_sel_hi:[0,1]
	v_bfe_u32 v15, v13, 16, 1
	v_cndmask_b32_e32 v14, v3, v7, vcc
	v_bfe_u32 v7, v12, 16, 1
	v_pk_mul_f32 v[10:11], v[14:15], v[10:11] op_sel_hi:[0,1]
	v_add3_u32 v14, v13, v15, s40
	v_add3_u32 v7, v12, v7, s40
	v_bfe_u32 v15, v11, 16, 1
	v_bfe_u32 v16, v10, 16, 1
	v_and_b32_e32 v7, 0xffff0000, v7
	v_and_b32_e32 v14, 0xffff0000, v14
	v_add3_u32 v16, v10, v16, s40
	v_add3_u32 v15, v11, v15, s40
	v_cmp_o_f32_e32 vcc, v12, v12
	v_cmp_o_f32_e64 s[4:5], v13, v13
	v_and_b32_e32 v15, 0xffff0000, v15
	v_and_b32_e32 v16, 0xffff0000, v16
	v_cndmask_b32_e64 v13, v3, v14, s[4:5]
	v_cndmask_b32_e32 v12, v3, v7, vcc
	v_cmp_o_f32_e32 vcc, v11, v11
	v_cmp_o_f32_e64 s[4:5], v10, v10
	s_nop 0
	v_cndmask_b32_e32 v10, v3, v15, vcc
	v_cndmask_b32_e64 v11, v3, v16, s[4:5]
	v_pk_add_f32 v[14:15], v[12:13], v[10:11] neg_lo:[0,1] neg_hi:[0,1]
	v_pk_add_f32 v[10:11], v[12:13], v[10:11]
	v_bfe_u32 v7, v14, 16, 1
	v_bfe_u32 v10, v11, 16, 1
	v_add3_u32 v10, v11, v10, s40
	v_add3_u32 v7, v14, v7, s40
	v_lshrrev_b32_e32 v7, 16, v7
	v_lshrrev_b32_e32 v10, 16, v10
	v_cmp_o_f32_e32 vcc, v11, v11
	v_cmp_o_f32_e64 s[4:5], v14, v14
	s_nop 0
	v_cndmask_b32_e32 v10, v5, v10, vcc
	v_cndmask_b32_e64 v7, v5, v7, s[4:5]
	v_perm_b32 v7, v10, v7, s41
	global_store_dword v[8:9], v7, off
	s_andn2_b64 exec, exec, s[34:35]
	s_cbranch_execnz .LBB85_3
.LBB85_4:
	s_or_b64 exec, exec, s[16:17]
	s_load_dwordx4 s[16:19], s[0:1], 0x68
	s_waitcnt lgkmcnt(0)
	s_ashr_i32 s7, s19, 31
	s_mov_b32 s6, s19
	s_or_b64 s[4:5], s[26:27], s[6:7]
	s_mov_b32 s4, 0
	s_cmp_lg_u64 s[4:5], 0
	s_cbranch_scc0 .LBB85_14
; %bb.5:
	s_add_u32 s4, s6, s7
	s_mov_b32 s30, s7
	s_mov_b32 s31, s7
	s_addc_u32 s5, s7, s7
	s_xor_b64 s[36:37], s[4:5], s[30:31]
	v_cvt_f32_u32_e32 v1, s36
	v_cvt_f32_u32_e32 v3, s37
	s_sub_u32 s3, 0, s36
	s_subb_u32 s4, 0, s37
	v_fmamk_f32 v1, v3, 0x4f800000, v1
	v_rcp_f32_e32 v1, v1
	s_nop 0
	v_mul_f32_e32 v1, 0x5f7ffffc, v1
	v_mul_f32_e32 v3, 0x2f800000, v1
	v_trunc_f32_e32 v3, v3
	v_fmamk_f32 v1, v3, 0xcf800000, v1
	v_cvt_u32_f32_e32 v3, v3
	v_cvt_u32_f32_e32 v1, v1
	v_readfirstlane_b32 s5, v3
	v_readfirstlane_b32 s19, v1
	s_mul_i32 s23, s3, s5
	s_mul_hi_u32 s38, s3, s19
	s_mul_i32 s33, s4, s19
	s_add_i32 s23, s38, s23
	s_add_i32 s23, s23, s33
	s_mul_i32 s39, s3, s19
	s_mul_hi_u32 s33, s19, s23
	s_mul_i32 s38, s19, s23
	s_mul_hi_u32 s19, s19, s39
	s_add_u32 s19, s19, s38
	s_addc_u32 s33, 0, s33
	s_mul_hi_u32 s40, s5, s39
	s_mul_i32 s39, s5, s39
	s_add_u32 s19, s19, s39
	s_mul_hi_u32 s38, s5, s23
	s_addc_u32 s19, s33, s40
	s_addc_u32 s33, s38, 0
	s_mul_i32 s23, s5, s23
	s_add_u32 s19, s19, s23
	s_addc_u32 s23, 0, s33
	v_add_co_u32_e32 v1, vcc, s19, v1
	s_cmp_lg_u64 vcc, 0
	s_addc_u32 s5, s5, s23
	v_readfirstlane_b32 s23, v1
	s_mul_i32 s19, s3, s5
	s_mul_hi_u32 s33, s3, s23
	s_add_i32 s19, s33, s19
	s_mul_i32 s4, s4, s23
	s_add_i32 s19, s19, s4
	s_mul_i32 s3, s3, s23
	s_mul_hi_u32 s33, s5, s3
	s_mul_i32 s38, s5, s3
	s_mul_i32 s40, s23, s19
	s_mul_hi_u32 s3, s23, s3
	s_mul_hi_u32 s39, s23, s19
	s_add_u32 s3, s3, s40
	s_addc_u32 s23, 0, s39
	s_add_u32 s3, s3, s38
	s_mul_hi_u32 s4, s5, s19
	s_addc_u32 s3, s23, s33
	s_addc_u32 s4, s4, 0
	s_mul_i32 s19, s5, s19
	s_add_u32 s3, s3, s19
	s_addc_u32 s4, 0, s4
	v_add_co_u32_e32 v1, vcc, s3, v1
	s_cmp_lg_u64 vcc, 0
	s_addc_u32 s3, s5, s4
	s_ashr_i32 s38, s27, 31
	s_add_u32 s4, s26, s38
	s_mov_b32 s39, s38
	s_addc_u32 s5, s27, s38
	s_xor_b64 s[40:41], s[4:5], s[38:39]
	v_readfirstlane_b32 s19, v1
	s_mul_i32 s5, s40, s3
	s_mul_hi_u32 s23, s40, s19
	s_mul_hi_u32 s4, s40, s3
	s_add_u32 s5, s23, s5
	s_addc_u32 s4, 0, s4
	s_mul_hi_u32 s33, s41, s19
	s_mul_i32 s19, s41, s19
	s_add_u32 s5, s5, s19
	s_mul_hi_u32 s23, s41, s3
	s_addc_u32 s4, s4, s33
	s_addc_u32 s5, s23, 0
	s_mul_i32 s3, s41, s3
	s_add_u32 s3, s4, s3
	s_addc_u32 s19, 0, s5
	s_mul_i32 s4, s36, s19
	s_mul_hi_u32 s5, s36, s3
	s_add_i32 s4, s5, s4
	s_mul_i32 s5, s37, s3
	s_add_i32 s23, s4, s5
	s_mul_i32 s5, s36, s3
	v_mov_b32_e32 v1, s5
	s_sub_i32 s4, s41, s23
	v_sub_co_u32_e32 v1, vcc, s40, v1
	s_cmp_lg_u64 vcc, 0
	s_subb_u32 s33, s4, s37
	v_subrev_co_u32_e64 v3, s[4:5], s36, v1
	s_cmp_lg_u64 s[4:5], 0
	s_subb_u32 s4, s33, 0
	s_cmp_ge_u32 s4, s37
	v_readfirstlane_b32 s33, v3
	s_cselect_b32 s5, -1, 0
	s_cmp_ge_u32 s33, s36
	s_cselect_b32 s33, -1, 0
	s_cmp_eq_u32 s4, s37
	s_cselect_b32 s4, s33, s5
	s_add_u32 s5, s3, 1
	s_addc_u32 s33, s19, 0
	s_add_u32 s40, s3, 2
	s_addc_u32 s42, s19, 0
	s_cmp_lg_u32 s4, 0
	s_cselect_b32 s4, s40, s5
	s_cselect_b32 s5, s42, s33
	s_cmp_lg_u64 vcc, 0
	s_subb_u32 s23, s41, s23
	s_cmp_ge_u32 s23, s37
	v_readfirstlane_b32 s40, v1
	s_cselect_b32 s33, -1, 0
	s_cmp_ge_u32 s40, s36
	s_cselect_b32 s36, -1, 0
	s_cmp_eq_u32 s23, s37
	s_cselect_b32 s23, s36, s33
	s_cmp_lg_u32 s23, 0
	s_cselect_b32 s5, s5, s19
	s_cselect_b32 s4, s4, s3
	s_xor_b64 s[30:31], s[38:39], s[30:31]
	s_xor_b64 s[4:5], s[4:5], s[30:31]
	s_sub_u32 s30, s4, s30
	s_subb_u32 s31, s5, s31
	s_cbranch_execnz .LBB85_7
.LBB85_6:
	v_cvt_f32_u32_e32 v1, s6
	s_sub_i32 s3, 0, s6
	s_mov_b32 s31, 0
	v_rcp_iflag_f32_e32 v1, v1
	s_nop 0
	v_mul_f32_e32 v1, 0x4f7ffffe, v1
	v_cvt_u32_f32_e32 v1, v1
	s_nop 0
	v_readfirstlane_b32 s4, v1
	s_mul_i32 s3, s3, s4
	s_mul_hi_u32 s3, s4, s3
	s_add_i32 s4, s4, s3
	s_mul_hi_u32 s3, s26, s4
	s_mul_i32 s5, s3, s6
	s_sub_i32 s5, s26, s5
	s_add_i32 s4, s3, 1
	s_sub_i32 s19, s5, s6
	s_cmp_ge_u32 s5, s6
	s_cselect_b32 s3, s4, s3
	s_cselect_b32 s5, s19, s5
	s_add_i32 s4, s3, 1
	s_cmp_ge_u32 s5, s6
	s_cselect_b32 s30, s4, s3
.LBB85_7:
	s_mul_i32 s3, s30, s7
	s_mul_hi_u32 s4, s30, s6
	s_load_dwordx2 s[34:35], s[0:1], 0x78
	s_add_i32 s3, s4, s3
	s_mul_i32 s4, s31, s6
	s_add_i32 s3, s3, s4
	s_mul_i32 s4, s30, s6
	s_sub_u32 s33, s26, s4
	s_subb_u32 s19, s27, s3
	v_cmp_gt_i32_e32 vcc, s22, v0
	s_mul_hi_u32 s37, s30, s16
	s_mul_i32 s38, s31, s16
	s_mul_i32 s39, s30, s16
	s_mul_hi_u32 s36, s33, s17
	s_mul_i32 s19, s19, s17
	s_mul_i32 s31, s33, s17
	s_and_saveexec_b64 s[26:27], vcc
	s_cbranch_execz .LBB85_10
; %bb.8:
	s_ashr_i32 s3, s16, 31
	s_mul_i32 s3, s30, s3
	s_load_dword s4, s[0:1], 0x8c
	s_add_i32 s3, s37, s3
	s_add_i32 s6, s3, s38
	s_ashr_i32 s3, s17, 31
	s_mul_i32 s3, s33, s3
	s_add_i32 s3, s36, s3
	s_ashr_i32 s23, s22, 31
	s_add_i32 s7, s3, s19
	s_ashr_i32 s42, s18, 31
	s_waitcnt lgkmcnt(0)
	s_and_b32 s40, s4, 0xffff
	s_lshl_b64 s[4:5], s[28:29], 2
	s_add_u32 s4, s24, s4
	v_lshlrev_b32_e32 v10, 2, v0
	v_mov_b32_e32 v11, 0
	s_addc_u32 s5, s25, s5
	v_lshl_add_u64 v[4:5], s[4:5], 0, v[10:11]
	s_mul_i32 s4, s9, s2
	s_mul_hi_u32 s5, s8, s2
	s_add_i32 s5, s5, s4
	s_mul_i32 s4, s8, s2
	s_lshl_b32 s41, s40, 2
	s_lshl_b64 s[4:5], s[4:5], 1
	s_add_u32 s4, s12, s4
	s_addc_u32 s5, s13, s5
	v_lshl_add_u64 v[8:9], s[4:5], 0, v[10:11]
	s_add_u32 s4, s39, s31
	s_addc_u32 s5, s6, s7
	s_add_u32 s6, s20, s18
	s_load_dword s3, s[34:35], 0x0
	s_addc_u32 s7, s21, s42
	s_add_u32 s4, s6, s4
	v_mov_b32_e32 v3, v11
	s_addc_u32 s5, s7, s5
	v_lshl_add_u64 v[2:3], s[4:5], 0, v[2:3]
	s_mov_b32 s29, 0
	v_lshl_add_u64 v[6:7], s[22:23], 2, v[4:5]
	v_lshl_add_u64 v[2:3], v[2:3], 0, 1
	s_lshl_b32 s28, s40, 1
	s_mov_b64 s[12:13], 0
	s_movk_i32 s23, 0x7fff
	v_mov_b32_e32 v1, 0x7fc00000
	v_mov_b32_e32 v12, 0x7fc0
	s_mov_b32 s42, 0x5040100
	s_mov_b32 s43, 0x7f800000
	s_mov_b32 s44, 0x43700000
	v_mov_b32_e32 v13, 0xc3700000
	s_mov_b64 s[24:25], 0
	v_mov_b32_e32 v14, v0
.LBB85_9:                               ; =>This Inner Loop Header: Depth=1
	v_lshl_add_u64 v[16:17], v[4:5], 0, s[24:25]
	v_lshl_add_u64 v[18:19], v[6:7], 0, s[24:25]
	;; [unrolled: 1-line block ×3, first 2 shown]
	global_load_dword v15, v[16:17], off
	global_load_dword v20, v[18:19], off
	;; [unrolled: 1-line block ×3, first 2 shown]
	v_add_u32_e32 v14, s40, v14
	s_add_u32 s24, s24, s41
	s_addc_u32 s25, s25, 0
	v_cmp_le_i32_e32 vcc, s22, v14
	s_or_b64 s[12:13], vcc, s[12:13]
	v_mov_b32_e32 v23, 0
	v_mov_b32_e32 v22, 0
	s_waitcnt vmcnt(2)
	v_bfe_u32 v18, v15, 16, 1
	s_waitcnt vmcnt(1)
	v_bfe_u32 v19, v20, 16, 1
	v_add3_u32 v18, v15, v18, s23
	v_add3_u32 v19, v20, v19, s23
	v_and_b32_e32 v18, 0xffff0000, v18
	v_and_b32_e32 v19, 0xffff0000, v19
	v_cmp_o_f32_e32 vcc, v20, v20
	v_cmp_o_f32_e64 s[4:5], v15, v15
	s_waitcnt vmcnt(0)
	v_and_b32_e32 v17, 0xffff0000, v21
	v_lshlrev_b32_e32 v16, 16, v21
	v_cndmask_b32_e64 v18, v1, v18, s[4:5]
	v_cndmask_b32_e32 v20, v1, v19, vcc
	v_pk_mul_f32 v[18:19], v[18:19], v[16:17] op_sel_hi:[0,1]
	v_pk_mul_f32 v[16:17], v[20:21], v[16:17] op_sel_hi:[0,1]
	v_bfe_u32 v15, v18, 16, 1
	v_bfe_u32 v20, v19, 16, 1
	;; [unrolled: 1-line block ×4, first 2 shown]
	v_add3_u32 v20, v19, v20, s23
	v_add3_u32 v15, v18, v15, s23
	;; [unrolled: 1-line block ×4, first 2 shown]
	v_and_b32_e32 v15, 0xffff0000, v15
	v_and_b32_e32 v20, 0xffff0000, v20
	v_and_b32_e32 v21, 0xffff0000, v21
	v_and_b32_e32 v24, 0xffff0000, v24
	v_cmp_o_f32_e32 vcc, v18, v18
	v_cmp_o_f32_e64 s[4:5], v16, v16
	v_cmp_o_f32_e64 s[6:7], v17, v17
	;; [unrolled: 1-line block ×3, first 2 shown]
	v_cndmask_b32_e32 v16, v1, v15, vcc
	v_cndmask_b32_e64 v19, v1, v24, s[4:5]
	v_cndmask_b32_e64 v17, v1, v20, s[8:9]
	;; [unrolled: 1-line block ×3, first 2 shown]
	v_pk_add_f32 v[20:21], v[16:17], v[18:19] neg_lo:[0,1] neg_hi:[0,1]
	v_pk_add_f32 v[16:17], v[16:17], v[18:19]
	v_bfe_u32 v15, v20, 16, 1
	v_bfe_u32 v16, v17, 16, 1
	v_add3_u32 v15, v20, v15, s23
	v_add3_u32 v16, v17, v16, s23
	v_lshrrev_b32_e32 v15, 16, v15
	v_cmp_o_f32_e64 s[4:5], v20, v20
	v_lshrrev_b32_e32 v16, 16, v16
	v_cmp_o_f32_e32 vcc, v17, v17
	v_cndmask_b32_e64 v15, v12, v15, s[4:5]
	v_cvt_f32_f16_e32 v17, v15
	v_cndmask_b32_e32 v16, v12, v16, vcc
	v_perm_b32 v15, v16, v15, s42
	v_cvt_f32_f16_e32 v16, v16
	s_waitcnt lgkmcnt(0)
	v_div_scale_f32 v18, s[4:5], s3, s3, v17
	v_rcp_f32_e32 v24, v18
	v_div_scale_f32 v20, s[4:5], s3, s3, v16
	v_rcp_f32_e32 v25, v20
	v_fma_f32 v26, -v18, v24, 1.0
	v_div_scale_f32 v19, vcc, v17, s3, v17
	v_fma_f32 v27, -v20, v25, 1.0
	v_fmac_f32_e32 v24, v26, v24
	v_div_scale_f32 v21, s[4:5], v16, s3, v16
	v_fmac_f32_e32 v25, v27, v25
	v_mul_f32_e32 v26, v19, v24
	v_mul_f32_e32 v27, v21, v25
	v_fma_f32 v28, -v18, v26, v19
	v_fma_f32 v29, -v20, v27, v21
	v_fmac_f32_e32 v26, v28, v24
	v_fmac_f32_e32 v27, v29, v25
	v_fma_f32 v18, -v18, v26, v19
	v_fma_f32 v19, -v20, v27, v21
	v_div_fmas_f32 v18, v18, v24, v26
	s_mov_b64 vcc, s[4:5]
	v_div_fixup_f32 v17, v18, s3, v17
	v_div_fmas_f32 v18, v19, v25, v27
	v_cvt_f16_f32_e32 v17, v17
	v_div_fixup_f32 v16, v18, s3, v16
	v_cvt_f16_f32_e32 v16, v16
	global_store_dword v[10:11], v15, off
	v_cvt_f32_f16_e32 v17, v17
	v_cvt_f32_f16_e32 v16, v16
	v_med3_f32 v18, v17, s44, v13
	v_cmp_nlg_f32_e64 vcc, |v17|, s43
	s_nop 1
	v_cndmask_b32_e32 v17, v18, v17, vcc
	v_med3_f32 v18, v16, s44, v13
	v_cmp_nlg_f32_e64 vcc, |v16|, s43
	v_cvt_pk_fp8_f32 v22, v17, v17
	s_nop 0
	v_cndmask_b32_e32 v16, v18, v16, vcc
	v_cvt_pk_fp8_f32 v23, v16, v16
	v_lshlrev_b16_e32 v10, 8, v23
	v_or_b32_sdwa v10, v22, v10 dst_sel:DWORD dst_unused:UNUSED_PAD src0_sel:BYTE_0 src1_sel:DWORD
	global_store_short v[2:3], v10, off offset:-1
	v_lshl_add_u64 v[2:3], v[2:3], 0, s[28:29]
	s_andn2_b64 exec, exec, s[12:13]
	s_cbranch_execnz .LBB85_9
.LBB85_10:
	s_or_b64 exec, exec, s[26:27]
	v_cmp_gt_i32_e32 vcc, s18, v0
	s_and_saveexec_b64 s[4:5], vcc
	s_cbranch_execz .LBB85_13
; %bb.11:
	s_mul_i32 s3, s2, s11
	s_mul_hi_u32 s4, s2, s10
	s_add_i32 s3, s4, s3
	s_mul_i32 s2, s2, s10
	s_lshl_b64 s[2:3], s[2:3], 1
	s_add_u32 s2, s14, s2
	s_addc_u32 s3, s15, s3
	s_ashr_i32 s4, s16, 31
	s_mul_i32 s4, s30, s4
	s_add_i32 s4, s37, s4
	s_add_i32 s4, s4, s38
	s_add_u32 s5, s20, s39
	s_addc_u32 s4, s21, s4
	s_ashr_i32 s6, s17, 31
	s_mul_i32 s33, s33, s6
	s_add_i32 s6, s36, s33
	s_add_i32 s6, s6, s19
	s_load_dword s7, s[0:1], 0x8c
	s_add_u32 s0, s5, s31
	s_addc_u32 s1, s4, s6
	s_waitcnt lgkmcnt(0)
	s_load_dword s6, s[34:35], 0x0
	s_mov_b64 s[4:5], 0
	s_and_b32 s7, s7, 0xffff
	s_mov_b32 s8, 0x7f800000
	s_mov_b32 s9, 0x43700000
	v_mov_b32_e32 v2, 0xc3700000
.LBB85_12:                              ; =>This Inner Loop Header: Depth=1
	v_ashrrev_i32_e32 v1, 31, v0
	v_lshl_add_u64 v[4:5], v[0:1], 1, s[2:3]
	global_load_ushort v3, v[4:5], off
	s_waitcnt vmcnt(0)
	v_cvt_f32_f16_e32 v3, v3
	s_waitcnt lgkmcnt(0)
	v_div_scale_f32 v4, s[10:11], s6, s6, v3
	v_rcp_f32_e32 v5, v4
	v_div_scale_f32 v6, vcc, v3, s6, v3
	v_fma_f32 v7, -v4, v5, 1.0
	v_fmac_f32_e32 v5, v7, v5
	v_mul_f32_e32 v7, v6, v5
	v_fma_f32 v8, -v4, v7, v6
	v_fmac_f32_e32 v7, v8, v5
	v_fma_f32 v4, -v4, v7, v6
	v_div_fmas_f32 v4, v4, v5, v7
	v_div_fixup_f32 v3, v4, s6, v3
	v_cvt_f16_f32_e32 v3, v3
	v_mov_b32_e32 v6, 0
	v_cvt_f32_f16_e32 v3, v3
	v_med3_f32 v4, v3, s9, v2
	v_cmp_nlg_f32_e64 vcc, |v3|, s8
	s_nop 1
	v_cndmask_b32_e32 v3, v4, v3, vcc
	v_cvt_pk_fp8_f32 v6, v3, v3
	v_lshl_add_u64 v[4:5], s[0:1], 0, v[0:1]
	v_add_u32_e32 v0, s7, v0
	v_cmp_le_i32_e32 vcc, s18, v0
	s_or_b64 s[4:5], vcc, s[4:5]
	global_store_byte v[4:5], v6, off
	s_andn2_b64 exec, exec, s[4:5]
	s_cbranch_execnz .LBB85_12
.LBB85_13:
	s_endpgm
.LBB85_14:
                                        ; implicit-def: $sgpr30_sgpr31
	s_branch .LBB85_6
	.section	.rodata,"a",@progbits
	.p2align	6, 0x0
	.amdhsa_kernel _ZN4vllm38concat_and_cache_mla_rope_fused_kernelIN3c108BFloat16EfLb0EthLNS_18Fp8KVCacheDataTypeE1EEEvPKlPT_S7_PKS6_PKT0_illlliPT3_S5_iiiiPKf
		.amdhsa_group_segment_fixed_size 0
		.amdhsa_private_segment_fixed_size 0
		.amdhsa_kernarg_size 384
		.amdhsa_user_sgpr_count 2
		.amdhsa_user_sgpr_dispatch_ptr 0
		.amdhsa_user_sgpr_queue_ptr 0
		.amdhsa_user_sgpr_kernarg_segment_ptr 1
		.amdhsa_user_sgpr_dispatch_id 0
		.amdhsa_user_sgpr_kernarg_preload_length 0
		.amdhsa_user_sgpr_kernarg_preload_offset 0
		.amdhsa_user_sgpr_private_segment_size 0
		.amdhsa_uses_dynamic_stack 0
		.amdhsa_enable_private_segment 0
		.amdhsa_system_sgpr_workgroup_id_x 1
		.amdhsa_system_sgpr_workgroup_id_y 0
		.amdhsa_system_sgpr_workgroup_id_z 0
		.amdhsa_system_sgpr_workgroup_info 0
		.amdhsa_system_vgpr_workitem_id 0
		.amdhsa_next_free_vgpr 30
		.amdhsa_next_free_sgpr 45
		.amdhsa_accum_offset 32
		.amdhsa_reserve_vcc 1
		.amdhsa_float_round_mode_32 0
		.amdhsa_float_round_mode_16_64 0
		.amdhsa_float_denorm_mode_32 3
		.amdhsa_float_denorm_mode_16_64 3
		.amdhsa_dx10_clamp 1
		.amdhsa_ieee_mode 1
		.amdhsa_fp16_overflow 0
		.amdhsa_tg_split 0
		.amdhsa_exception_fp_ieee_invalid_op 0
		.amdhsa_exception_fp_denorm_src 0
		.amdhsa_exception_fp_ieee_div_zero 0
		.amdhsa_exception_fp_ieee_overflow 0
		.amdhsa_exception_fp_ieee_underflow 0
		.amdhsa_exception_fp_ieee_inexact 0
		.amdhsa_exception_int_div_zero 0
	.end_amdhsa_kernel
	.section	.text._ZN4vllm38concat_and_cache_mla_rope_fused_kernelIN3c108BFloat16EfLb0EthLNS_18Fp8KVCacheDataTypeE1EEEvPKlPT_S7_PKS6_PKT0_illlliPT3_S5_iiiiPKf,"axG",@progbits,_ZN4vllm38concat_and_cache_mla_rope_fused_kernelIN3c108BFloat16EfLb0EthLNS_18Fp8KVCacheDataTypeE1EEEvPKlPT_S7_PKS6_PKT0_illlliPT3_S5_iiiiPKf,comdat
.Lfunc_end85:
	.size	_ZN4vllm38concat_and_cache_mla_rope_fused_kernelIN3c108BFloat16EfLb0EthLNS_18Fp8KVCacheDataTypeE1EEEvPKlPT_S7_PKS6_PKT0_illlliPT3_S5_iiiiPKf, .Lfunc_end85-_ZN4vllm38concat_and_cache_mla_rope_fused_kernelIN3c108BFloat16EfLb0EthLNS_18Fp8KVCacheDataTypeE1EEEvPKlPT_S7_PKS6_PKT0_illlliPT3_S5_iiiiPKf
                                        ; -- End function
	.section	.AMDGPU.csdata,"",@progbits
; Kernel info:
; codeLenInByte = 3016
; NumSgprs: 51
; NumVgprs: 30
; NumAgprs: 0
; TotalNumVgprs: 30
; ScratchSize: 0
; MemoryBound: 0
; FloatMode: 240
; IeeeMode: 1
; LDSByteSize: 0 bytes/workgroup (compile time only)
; SGPRBlocks: 6
; VGPRBlocks: 3
; NumSGPRsForWavesPerEU: 51
; NumVGPRsForWavesPerEU: 30
; AccumOffset: 32
; Occupancy: 8
; WaveLimiterHint : 1
; COMPUTE_PGM_RSRC2:SCRATCH_EN: 0
; COMPUTE_PGM_RSRC2:USER_SGPR: 2
; COMPUTE_PGM_RSRC2:TRAP_HANDLER: 0
; COMPUTE_PGM_RSRC2:TGID_X_EN: 1
; COMPUTE_PGM_RSRC2:TGID_Y_EN: 0
; COMPUTE_PGM_RSRC2:TGID_Z_EN: 0
; COMPUTE_PGM_RSRC2:TIDIG_COMP_CNT: 0
; COMPUTE_PGM_RSRC3_GFX90A:ACCUM_OFFSET: 7
; COMPUTE_PGM_RSRC3_GFX90A:TG_SPLIT: 0
	.section	.text._ZN4vllm38concat_and_cache_mla_rope_fused_kernelIN3c108BFloat16ENS1_4HalfELb1EthLNS_18Fp8KVCacheDataTypeE1EEEvPKlPT_S8_PKS7_PKT0_illlliPT3_S6_iiiiPKf,"axG",@progbits,_ZN4vllm38concat_and_cache_mla_rope_fused_kernelIN3c108BFloat16ENS1_4HalfELb1EthLNS_18Fp8KVCacheDataTypeE1EEEvPKlPT_S8_PKS7_PKT0_illlliPT3_S6_iiiiPKf,comdat
	.protected	_ZN4vllm38concat_and_cache_mla_rope_fused_kernelIN3c108BFloat16ENS1_4HalfELb1EthLNS_18Fp8KVCacheDataTypeE1EEEvPKlPT_S8_PKS7_PKT0_illlliPT3_S6_iiiiPKf ; -- Begin function _ZN4vllm38concat_and_cache_mla_rope_fused_kernelIN3c108BFloat16ENS1_4HalfELb1EthLNS_18Fp8KVCacheDataTypeE1EEEvPKlPT_S8_PKS7_PKT0_illlliPT3_S6_iiiiPKf
	.globl	_ZN4vllm38concat_and_cache_mla_rope_fused_kernelIN3c108BFloat16ENS1_4HalfELb1EthLNS_18Fp8KVCacheDataTypeE1EEEvPKlPT_S8_PKS7_PKT0_illlliPT3_S6_iiiiPKf
	.p2align	8
	.type	_ZN4vllm38concat_and_cache_mla_rope_fused_kernelIN3c108BFloat16ENS1_4HalfELb1EthLNS_18Fp8KVCacheDataTypeE1EEEvPKlPT_S8_PKS7_PKT0_illlliPT3_S6_iiiiPKf,@function
_ZN4vllm38concat_and_cache_mla_rope_fused_kernelIN3c108BFloat16ENS1_4HalfELb1EthLNS_18Fp8KVCacheDataTypeE1EEEvPKlPT_S8_PKS7_PKT0_illlliPT3_S6_iiiiPKf: ; @_ZN4vllm38concat_and_cache_mla_rope_fused_kernelIN3c108BFloat16ENS1_4HalfELb1EthLNS_18Fp8KVCacheDataTypeE1EEEvPKlPT_S8_PKS7_PKT0_illlliPT3_S6_iiiiPKf
; %bb.0:
	s_load_dwordx2 s[6:7], s[0:1], 0x60
	s_mov_b32 s3, 0
	s_lshl_b64 s[4:5], s[2:3], 3
	s_waitcnt lgkmcnt(0)
	s_add_u32 s6, s6, s4
	s_addc_u32 s7, s7, s5
	s_load_dwordx2 s[36:37], s[6:7], 0x0
	s_waitcnt lgkmcnt(0)
	v_cmp_lt_i64_e64 s[6:7], s[36:37], 0
	s_and_b64 vcc, exec, s[6:7]
	s_cbranch_vccnz .LBB86_13
; %bb.1:
	s_load_dword s3, s[0:1], 0x28
	s_load_dwordx2 s[6:7], s[0:1], 0x0
	s_load_dwordx4 s[16:19], s[0:1], 0x10
	s_waitcnt lgkmcnt(0)
	s_ashr_i32 s20, s3, 31
	s_add_u32 s4, s6, s4
	s_addc_u32 s5, s7, s5
	s_load_dwordx2 s[6:7], s[4:5], 0x0
	s_load_dwordx2 s[30:31], s[0:1], 0x20
	s_load_dwordx8 s[8:15], s[0:1], 0x30
	s_load_dwordx2 s[24:25], s[0:1], 0x58
	s_load_dword s21, s[0:1], 0x50
	s_waitcnt lgkmcnt(0)
	s_mul_i32 s4, s6, s20
	s_mul_hi_u32 s5, s6, s3
	s_mul_i32 s7, s7, s3
	s_add_i32 s4, s5, s4
	s_add_i32 s5, s4, s7
	s_mul_i32 s4, s6, s3
	s_lshl_b64 s[34:35], s[4:5], 1
	s_add_u32 s26, s30, s34
	s_addc_u32 s27, s31, s35
	s_lshr_b32 s4, s3, 31
	s_add_i32 s3, s3, s4
	s_ashr_i32 s28, s3, 1
	s_mul_i32 s3, s28, s21
	v_cmp_gt_i32_e32 vcc, s3, v0
	s_and_saveexec_b64 s[20:21], vcc
	s_cbranch_execz .LBB86_4
; %bb.2:
	s_load_dwordx2 s[4:5], s[0:1], 0x8
	s_mul_i32 s6, s2, s9
	s_mul_hi_u32 s7, s2, s8
	s_add_i32 s7, s7, s6
	s_mul_i32 s6, s2, s8
	s_load_dword s8, s[0:1], 0x8c
	s_ashr_i32 s29, s28, 31
	s_lshl_b64 s[6:7], s[6:7], 1
	s_waitcnt lgkmcnt(0)
	s_add_u32 s22, s4, s6
	s_addc_u32 s23, s5, s7
	s_abs_i32 s33, s28
	v_cvt_f32_u32_e32 v1, s33
	s_sub_i32 s4, 0, s33
	s_mov_b64 s[38:39], 0
	s_and_b32 s42, s8, 0xffff
	v_rcp_iflag_f32_e32 v1, v1
	s_sub_i32 s43, 0, s28
	s_lshl_b64 s[40:41], s[28:29], 1
	s_movk_i32 s44, 0x7fff
	v_mul_f32_e32 v1, 0x4f7ffffe, v1
	v_cvt_u32_f32_e32 v1, v1
	v_mov_b32_e32 v3, 0x7fc00000
	v_mov_b32_e32 v4, 0x7fc0
	v_mul_lo_u32 v2, s4, v1
	v_mul_hi_u32 v2, v1, v2
	v_add_u32_e32 v1, v1, v2
	v_mov_b32_e32 v2, v0
.LBB86_3:                               ; =>This Inner Loop Header: Depth=1
	v_sub_u32_e32 v6, 0, v2
	v_max_i32_e32 v6, v2, v6
	v_mul_hi_u32 v7, v6, v1
	v_mul_lo_u32 v8, v7, s33
	v_sub_u32_e32 v6, v6, v8
	v_add_u32_e32 v9, 1, v7
	v_cmp_le_u32_e32 vcc, s33, v6
	v_subrev_u32_e32 v8, s33, v6
	v_ashrrev_i32_e32 v5, 31, v2
	v_cndmask_b32_e32 v7, v7, v9, vcc
	v_cndmask_b32_e32 v6, v6, v8, vcc
	v_add_u32_e32 v8, 1, v7
	v_cmp_le_u32_e32 vcc, s33, v6
	v_xor_b32_e32 v5, s29, v5
	s_nop 0
	v_cndmask_b32_e32 v6, v7, v8, vcc
	v_xor_b32_e32 v6, v6, v5
	v_sub_u32_e32 v5, v6, v5
	v_mad_u64_u32 v[6:7], s[4:5], s43, v5, v[2:3]
	v_ashrrev_i32_e32 v10, 31, v5
	v_ashrrev_i32_e32 v7, 31, v6
	v_mul_lo_u32 v11, v5, s11
	v_mad_u64_u32 v[8:9], s[4:5], v5, s10, 0
	v_mul_lo_u32 v5, v10, s10
	v_lshlrev_b64 v[6:7], 1, v[6:7]
	v_add3_u32 v9, v9, v11, v5
	v_lshl_add_u64 v[10:11], s[26:27], 0, v[6:7]
	v_lshl_add_u64 v[12:13], v[10:11], 0, s[40:41]
	global_load_ushort v5, v[10:11], off
	global_load_ushort v15, v[12:13], off
	v_lshl_add_u64 v[8:9], v[8:9], 1, s[22:23]
	v_lshl_add_u64 v[6:7], v[8:9], 0, v[6:7]
	;; [unrolled: 1-line block ×3, first 2 shown]
	global_load_ushort v10, v[6:7], off
	global_load_ushort v12, v[8:9], off
	v_add_u32_e32 v2, s42, v2
	v_cmp_le_i32_e32 vcc, s3, v2
	s_or_b64 s[38:39], vcc, s[38:39]
	s_waitcnt vmcnt(3)
	v_cvt_f32_f16_e32 v14, v5
	s_waitcnt vmcnt(2)
	v_cvt_f32_f16_e32 v16, v15
	v_cmp_o_f16_e32 vcc, v5, v5
	v_bfe_u32 v17, v14, 16, 1
	v_bfe_u32 v18, v16, 16, 1
	v_add3_u32 v14, v14, v17, s44
	v_add3_u32 v16, v16, v18, s44
	v_and_b32_e32 v14, 0xffff0000, v14
	s_waitcnt vmcnt(1)
	v_lshlrev_b32_e32 v11, 16, v10
	s_waitcnt vmcnt(0)
	v_lshlrev_b32_e32 v10, 16, v12
	v_and_b32_e32 v5, 0xffff0000, v16
	v_cndmask_b32_e32 v14, v3, v14, vcc
	v_cmp_o_f16_e32 vcc, v15, v15
	v_mov_b32_e32 v12, v11
	v_mov_b32_e32 v13, v10
	v_cndmask_b32_e32 v15, v3, v5, vcc
	v_pk_mul_f32 v[12:13], v[14:15], v[12:13]
	v_pk_mul_f32 v[10:11], v[14:15], v[10:11]
	v_bfe_u32 v5, v12, 16, 1
	v_bfe_u32 v14, v13, 16, 1
	;; [unrolled: 1-line block ×4, first 2 shown]
	v_add3_u32 v14, v13, v14, s44
	v_add3_u32 v5, v12, v5, s44
	;; [unrolled: 1-line block ×4, first 2 shown]
	v_and_b32_e32 v5, 0xffff0000, v5
	v_and_b32_e32 v14, 0xffff0000, v14
	v_cmp_o_f32_e32 vcc, v12, v12
	v_cmp_o_f32_e64 s[8:9], v13, v13
	v_and_b32_e32 v12, 0xffff0000, v15
	v_and_b32_e32 v15, 0xffff0000, v16
	v_cmp_o_f32_e64 s[4:5], v11, v11
	v_cmp_o_f32_e64 s[6:7], v10, v10
	v_cndmask_b32_e64 v10, v3, v14, s[8:9]
	v_cndmask_b32_e32 v5, v3, v5, vcc
	v_cndmask_b32_e64 v11, v3, v15, s[4:5]
	v_cndmask_b32_e64 v12, v3, v12, s[6:7]
	v_sub_f32_e32 v5, v5, v10
	v_add_f32_e32 v10, v12, v11
	v_bfe_u32 v11, v5, 16, 1
	v_bfe_u32 v12, v10, 16, 1
	v_add3_u32 v11, v5, v11, s44
	v_add3_u32 v12, v10, v12, s44
	v_lshrrev_b32_e32 v11, 16, v11
	v_cmp_o_f32_e64 s[4:5], v5, v5
	v_lshrrev_b32_e32 v12, 16, v12
	v_cmp_o_f32_e32 vcc, v10, v10
	v_cndmask_b32_e64 v5, v4, v11, s[4:5]
	s_nop 0
	v_cndmask_b32_e32 v10, v4, v12, vcc
	global_store_short v[6:7], v5, off
	global_store_short v[8:9], v10, off
	s_andn2_b64 exec, exec, s[38:39]
	s_cbranch_execnz .LBB86_3
.LBB86_4:
	s_or_b64 exec, exec, s[20:21]
	s_load_dwordx4 s[20:23], s[0:1], 0x68
	s_waitcnt lgkmcnt(0)
	s_ashr_i32 s7, s23, 31
	s_mov_b32 s6, s23
	s_or_b64 s[4:5], s[36:37], s[6:7]
	s_mov_b32 s4, 0
	s_cmp_lg_u64 s[4:5], 0
	s_cbranch_scc0 .LBB86_14
; %bb.5:
	s_add_u32 s4, s6, s7
	s_mov_b32 s10, s7
	s_mov_b32 s11, s7
	s_addc_u32 s5, s7, s7
	s_xor_b64 s[38:39], s[4:5], s[10:11]
	v_cvt_f32_u32_e32 v1, s38
	v_cvt_f32_u32_e32 v2, s39
	s_sub_u32 s3, 0, s38
	s_subb_u32 s4, 0, s39
	v_fmamk_f32 v1, v2, 0x4f800000, v1
	v_rcp_f32_e32 v1, v1
	s_nop 0
	v_mul_f32_e32 v1, 0x5f7ffffc, v1
	v_mul_f32_e32 v2, 0x2f800000, v1
	v_trunc_f32_e32 v2, v2
	v_fmamk_f32 v1, v2, 0xcf800000, v1
	v_cvt_u32_f32_e32 v2, v2
	v_cvt_u32_f32_e32 v1, v1
	v_readfirstlane_b32 s5, v2
	v_readfirstlane_b32 s23, v1
	s_mul_i32 s29, s3, s5
	s_mul_hi_u32 s40, s3, s23
	s_mul_i32 s33, s4, s23
	s_add_i32 s29, s40, s29
	s_add_i32 s29, s29, s33
	s_mul_i32 s41, s3, s23
	s_mul_hi_u32 s33, s23, s29
	s_mul_i32 s40, s23, s29
	s_mul_hi_u32 s23, s23, s41
	s_add_u32 s23, s23, s40
	s_addc_u32 s33, 0, s33
	s_mul_hi_u32 s42, s5, s41
	s_mul_i32 s41, s5, s41
	s_add_u32 s23, s23, s41
	s_mul_hi_u32 s40, s5, s29
	s_addc_u32 s23, s33, s42
	s_addc_u32 s33, s40, 0
	s_mul_i32 s29, s5, s29
	s_add_u32 s23, s23, s29
	s_addc_u32 s29, 0, s33
	v_add_co_u32_e32 v1, vcc, s23, v1
	s_cmp_lg_u64 vcc, 0
	s_addc_u32 s5, s5, s29
	v_readfirstlane_b32 s29, v1
	s_mul_i32 s23, s3, s5
	s_mul_hi_u32 s33, s3, s29
	s_add_i32 s23, s33, s23
	s_mul_i32 s4, s4, s29
	s_add_i32 s23, s23, s4
	s_mul_i32 s3, s3, s29
	s_mul_hi_u32 s33, s5, s3
	s_mul_i32 s40, s5, s3
	s_mul_i32 s42, s29, s23
	s_mul_hi_u32 s3, s29, s3
	s_mul_hi_u32 s41, s29, s23
	s_add_u32 s3, s3, s42
	s_addc_u32 s29, 0, s41
	s_add_u32 s3, s3, s40
	s_mul_hi_u32 s4, s5, s23
	s_addc_u32 s3, s29, s33
	s_addc_u32 s4, s4, 0
	s_mul_i32 s23, s5, s23
	s_add_u32 s3, s3, s23
	s_addc_u32 s4, 0, s4
	v_add_co_u32_e32 v1, vcc, s3, v1
	s_cmp_lg_u64 vcc, 0
	s_addc_u32 s3, s5, s4
	s_ashr_i32 s40, s37, 31
	s_add_u32 s4, s36, s40
	s_mov_b32 s41, s40
	s_addc_u32 s5, s37, s40
	s_xor_b64 s[42:43], s[4:5], s[40:41]
	v_readfirstlane_b32 s23, v1
	s_mul_i32 s5, s42, s3
	s_mul_hi_u32 s29, s42, s23
	s_mul_hi_u32 s4, s42, s3
	s_add_u32 s5, s29, s5
	s_addc_u32 s4, 0, s4
	s_mul_hi_u32 s33, s43, s23
	s_mul_i32 s23, s43, s23
	s_add_u32 s5, s5, s23
	s_mul_hi_u32 s29, s43, s3
	s_addc_u32 s4, s4, s33
	s_addc_u32 s5, s29, 0
	s_mul_i32 s3, s43, s3
	s_add_u32 s3, s4, s3
	s_addc_u32 s23, 0, s5
	s_mul_i32 s4, s38, s23
	s_mul_hi_u32 s5, s38, s3
	s_add_i32 s4, s5, s4
	s_mul_i32 s5, s39, s3
	s_add_i32 s29, s4, s5
	s_mul_i32 s5, s38, s3
	v_mov_b32_e32 v1, s5
	s_sub_i32 s4, s43, s29
	v_sub_co_u32_e32 v1, vcc, s42, v1
	s_cmp_lg_u64 vcc, 0
	s_subb_u32 s33, s4, s39
	v_subrev_co_u32_e64 v2, s[4:5], s38, v1
	s_cmp_lg_u64 s[4:5], 0
	s_subb_u32 s4, s33, 0
	s_cmp_ge_u32 s4, s39
	v_readfirstlane_b32 s33, v2
	s_cselect_b32 s5, -1, 0
	s_cmp_ge_u32 s33, s38
	s_cselect_b32 s33, -1, 0
	s_cmp_eq_u32 s4, s39
	s_cselect_b32 s4, s33, s5
	s_add_u32 s5, s3, 1
	s_addc_u32 s33, s23, 0
	s_add_u32 s42, s3, 2
	s_addc_u32 s44, s23, 0
	s_cmp_lg_u32 s4, 0
	s_cselect_b32 s4, s42, s5
	s_cselect_b32 s5, s44, s33
	s_cmp_lg_u64 vcc, 0
	s_subb_u32 s29, s43, s29
	s_cmp_ge_u32 s29, s39
	v_readfirstlane_b32 s42, v1
	s_cselect_b32 s33, -1, 0
	s_cmp_ge_u32 s42, s38
	s_cselect_b32 s38, -1, 0
	s_cmp_eq_u32 s29, s39
	s_cselect_b32 s29, s38, s33
	s_cmp_lg_u32 s29, 0
	s_cselect_b32 s5, s5, s23
	s_cselect_b32 s4, s4, s3
	s_xor_b64 s[10:11], s[40:41], s[10:11]
	s_xor_b64 s[4:5], s[4:5], s[10:11]
	s_sub_u32 s10, s4, s10
	s_subb_u32 s11, s5, s11
	s_cbranch_execnz .LBB86_7
.LBB86_6:
	v_cvt_f32_u32_e32 v1, s6
	s_sub_i32 s3, 0, s6
	s_mov_b32 s11, 0
	v_rcp_iflag_f32_e32 v1, v1
	s_nop 0
	v_mul_f32_e32 v1, 0x4f7ffffe, v1
	v_cvt_u32_f32_e32 v1, v1
	s_nop 0
	v_readfirstlane_b32 s4, v1
	s_mul_i32 s3, s3, s4
	s_mul_hi_u32 s3, s4, s3
	s_add_i32 s4, s4, s3
	s_mul_hi_u32 s3, s36, s4
	s_mul_i32 s5, s3, s6
	s_sub_i32 s5, s36, s5
	s_add_i32 s4, s3, 1
	s_sub_i32 s8, s5, s6
	s_cmp_ge_u32 s5, s6
	s_cselect_b32 s3, s4, s3
	s_cselect_b32 s5, s8, s5
	s_add_i32 s4, s3, 1
	s_cmp_ge_u32 s5, s6
	s_cselect_b32 s10, s4, s3
.LBB86_7:
	s_mul_i32 s3, s10, s7
	s_mul_hi_u32 s4, s10, s6
	s_load_dwordx2 s[38:39], s[0:1], 0x78
	s_add_i32 s3, s4, s3
	s_mul_i32 s4, s11, s6
	s_add_i32 s3, s3, s4
	s_mul_i32 s4, s10, s6
	s_sub_u32 s33, s36, s4
	s_subb_u32 s3, s37, s3
	v_cmp_gt_i32_e32 vcc, s28, v0
	s_mul_hi_u32 s43, s10, s20
	s_mul_i32 s44, s11, s20
	s_mul_i32 s45, s10, s20
	s_mul_hi_u32 s42, s33, s21
	s_mul_i32 s11, s3, s21
	s_mul_i32 s23, s33, s21
	s_and_saveexec_b64 s[36:37], vcc
	s_cbranch_execz .LBB86_10
; %bb.8:
	s_mul_i32 s3, s2, s13
	s_mul_hi_u32 s4, s2, s12
	s_add_i32 s5, s4, s3
	s_mul_i32 s4, s2, s12
	s_ashr_i32 s29, s28, 31
	s_lshl_b64 s[4:5], s[4:5], 1
	s_add_u32 s12, s16, s4
	s_addc_u32 s13, s17, s5
	s_ashr_i32 s3, s20, 31
	s_load_dword s6, s[0:1], 0x8c
	s_mul_i32 s3, s10, s3
	s_add_i32 s3, s43, s3
	s_add_i32 s8, s3, s44
	s_ashr_i32 s3, s21, 31
	s_mul_i32 s3, s33, s3
	s_add_i32 s3, s42, s3
	s_waitcnt lgkmcnt(0)
	s_and_b32 s40, s6, 0xffff
	s_add_i32 s9, s3, s11
	s_ashr_i32 s47, s22, 31
	s_lshl_b32 s46, s40, 1
	s_lshl_b64 s[6:7], s[28:29], 1
	s_add_u32 s34, s34, s6
	s_addc_u32 s35, s35, s7
	s_add_u32 s30, s30, s34
	s_addc_u32 s31, s31, s35
	;; [unrolled: 2-line block ×5, first 2 shown]
	s_load_dword s3, s[38:39], 0x0
	s_add_u32 s4, s4, s22
	s_addc_u32 s5, s5, s47
	s_add_u32 s4, s24, s4
	v_mov_b32_e32 v1, 0
	s_addc_u32 s5, s25, s5
	s_mov_b32 s41, 0
	v_lshlrev_b32_e32 v2, 1, v0
	v_mov_b32_e32 v3, v1
	v_lshl_add_u64 v[4:5], s[4:5], 0, v[0:1]
	s_mov_b64 s[34:35], 0
	s_movk_i32 s47, 0x7fff
	v_mov_b32_e32 v1, 0x7fc00000
	v_mov_b32_e32 v10, 0x7fc0
	s_mov_b32 s48, 0x7f800000
	s_mov_b32 s49, 0x43700000
	v_mov_b32_e32 v11, 0xc3700000
	v_mov_b32_e32 v12, v0
.LBB86_9:                               ; =>This Inner Loop Header: Depth=1
	v_lshl_add_u64 v[16:17], s[30:31], 0, v[2:3]
	v_lshl_add_u64 v[14:15], s[26:27], 0, v[2:3]
	v_lshl_add_u64 v[8:9], s[12:13], 0, v[2:3]
	v_lshl_add_u64 v[6:7], s[16:17], 0, v[2:3]
	global_load_ushort v13, v[16:17], off
	global_load_ushort v20, v[14:15], off
	;; [unrolled: 1-line block ×4, first 2 shown]
	s_add_u32 s26, s26, s46
	s_addc_u32 s27, s27, 0
	s_add_u32 s30, s30, s46
	s_addc_u32 s31, s31, 0
	;; [unrolled: 2-line block ×3, first 2 shown]
	v_add_u32_e32 v12, s40, v12
	s_add_u32 s12, s12, s46
	v_cmp_le_i32_e32 vcc, s28, v12
	s_addc_u32 s13, s13, 0
	s_or_b64 s[34:35], vcc, s[34:35]
	v_mov_b32_e32 v22, 0
	v_mov_b32_e32 v23, 0
	v_lshl_add_u64 v[14:15], v[4:5], 0, s[28:29]
	s_waitcnt vmcnt(3)
	v_cvt_f32_f16_e32 v21, v13
	s_waitcnt vmcnt(2)
	v_cvt_f32_f16_e32 v24, v20
	s_waitcnt vmcnt(1)
	v_lshlrev_b32_e32 v17, 16, v18
	s_waitcnt vmcnt(0)
	v_lshlrev_b32_e32 v16, 16, v19
	v_bfe_u32 v26, v21, 16, 1
	v_bfe_u32 v25, v24, 16, 1
	v_add3_u32 v21, v21, v26, s47
	v_add3_u32 v24, v24, v25, s47
	v_and_b32_e32 v24, 0xffff0000, v24
	v_and_b32_e32 v21, 0xffff0000, v21
	v_cmp_o_f16_e32 vcc, v20, v20
	v_cmp_o_f16_e64 s[4:5], v13, v13
	v_mov_b32_e32 v18, v17
	v_mov_b32_e32 v19, v16
	v_cndmask_b32_e64 v21, v1, v21, s[4:5]
	v_cndmask_b32_e32 v20, v1, v24, vcc
	v_pk_mul_f32 v[18:19], v[20:21], v[18:19]
	v_pk_mul_f32 v[16:17], v[20:21], v[16:17]
	v_bfe_u32 v13, v18, 16, 1
	v_bfe_u32 v20, v19, 16, 1
	;; [unrolled: 1-line block ×4, first 2 shown]
	v_add3_u32 v20, v19, v20, s47
	v_add3_u32 v13, v18, v13, s47
	;; [unrolled: 1-line block ×4, first 2 shown]
	v_and_b32_e32 v13, 0xffff0000, v13
	v_and_b32_e32 v20, 0xffff0000, v20
	v_cmp_o_f32_e32 vcc, v18, v18
	v_cmp_o_f32_e64 s[8:9], v19, v19
	v_and_b32_e32 v18, 0xffff0000, v21
	v_and_b32_e32 v21, 0xffff0000, v24
	v_cmp_o_f32_e64 s[4:5], v17, v17
	v_cmp_o_f32_e64 s[6:7], v16, v16
	v_cndmask_b32_e64 v16, v1, v20, s[8:9]
	v_cndmask_b32_e32 v13, v1, v13, vcc
	v_cndmask_b32_e64 v17, v1, v21, s[4:5]
	v_cndmask_b32_e64 v18, v1, v18, s[6:7]
	v_sub_f32_e32 v13, v13, v16
	v_add_f32_e32 v16, v18, v17
	v_bfe_u32 v17, v13, 16, 1
	v_bfe_u32 v18, v16, 16, 1
	v_add3_u32 v17, v13, v17, s47
	v_add3_u32 v18, v16, v18, s47
	v_lshrrev_b32_e32 v17, 16, v17
	v_cmp_o_f32_e64 s[4:5], v13, v13
	v_lshrrev_b32_e32 v18, 16, v18
	v_cmp_o_f32_e32 vcc, v16, v16
	v_cndmask_b32_e64 v13, v10, v17, s[4:5]
	v_cvt_f32_f16_e32 v17, v13
	v_cndmask_b32_e32 v16, v10, v18, vcc
	global_store_short v[8:9], v13, off
	v_cvt_f32_f16_e32 v8, v16
	s_waitcnt lgkmcnt(0)
	v_div_scale_f32 v9, s[4:5], s3, s3, v17
	v_rcp_f32_e32 v20, v9
	v_div_scale_f32 v18, s[4:5], s3, s3, v8
	v_rcp_f32_e32 v21, v18
	v_fma_f32 v24, -v9, v20, 1.0
	v_div_scale_f32 v13, vcc, v17, s3, v17
	v_fma_f32 v25, -v18, v21, 1.0
	v_fmac_f32_e32 v20, v24, v20
	v_div_scale_f32 v19, s[4:5], v8, s3, v8
	v_fmac_f32_e32 v21, v25, v21
	v_mul_f32_e32 v24, v13, v20
	v_mul_f32_e32 v25, v19, v21
	v_fma_f32 v26, -v9, v24, v13
	v_fma_f32 v27, -v18, v25, v19
	v_fmac_f32_e32 v24, v26, v20
	v_fmac_f32_e32 v25, v27, v21
	v_fma_f32 v9, -v9, v24, v13
	v_fma_f32 v13, -v18, v25, v19
	v_div_fmas_f32 v9, v9, v20, v24
	s_mov_b64 vcc, s[4:5]
	v_div_fixup_f32 v9, v9, s3, v17
	v_div_fmas_f32 v13, v13, v21, v25
	v_cvt_f16_f32_e32 v9, v9
	v_div_fixup_f32 v8, v13, s3, v8
	v_cvt_f16_f32_e32 v8, v8
	v_cvt_f32_f16_e32 v9, v9
	v_cvt_f32_f16_e32 v8, v8
	v_med3_f32 v13, v9, s49, v11
	v_cmp_nlg_f32_e64 vcc, |v9|, s48
	s_nop 1
	v_cndmask_b32_e32 v9, v13, v9, vcc
	v_med3_f32 v13, v8, s49, v11
	v_cmp_nlg_f32_e64 vcc, |v8|, s48
	v_cvt_pk_fp8_f32 v22, v9, v9
	global_store_short v[6:7], v16, off
	global_store_byte v[4:5], v22, off
	v_cndmask_b32_e32 v8, v13, v8, vcc
	v_cvt_pk_fp8_f32 v23, v8, v8
	v_lshl_add_u64 v[4:5], v[4:5], 0, s[40:41]
	global_store_byte v[14:15], v23, off
	s_andn2_b64 exec, exec, s[34:35]
	s_cbranch_execnz .LBB86_9
.LBB86_10:
	s_or_b64 exec, exec, s[36:37]
	v_cmp_gt_i32_e32 vcc, s22, v0
	s_and_saveexec_b64 s[4:5], vcc
	s_cbranch_execz .LBB86_13
; %bb.11:
	s_mul_i32 s3, s2, s15
	s_mul_hi_u32 s4, s2, s14
	s_add_i32 s3, s4, s3
	s_mul_i32 s2, s2, s14
	s_lshl_b64 s[2:3], s[2:3], 1
	s_add_u32 s2, s18, s2
	s_addc_u32 s3, s19, s3
	s_ashr_i32 s4, s20, 31
	s_mul_i32 s4, s10, s4
	s_add_i32 s4, s43, s4
	s_add_i32 s4, s4, s44
	s_add_u32 s5, s24, s45
	s_addc_u32 s4, s25, s4
	s_ashr_i32 s6, s21, 31
	s_mul_i32 s33, s33, s6
	s_add_i32 s6, s42, s33
	s_add_i32 s6, s6, s11
	s_load_dword s7, s[0:1], 0x8c
	s_add_u32 s0, s5, s23
	s_addc_u32 s1, s4, s6
	s_waitcnt lgkmcnt(0)
	s_load_dword s6, s[38:39], 0x0
	s_mov_b64 s[4:5], 0
	s_and_b32 s7, s7, 0xffff
	s_mov_b32 s8, 0x7f800000
	s_mov_b32 s9, 0x43700000
	v_mov_b32_e32 v2, 0xc3700000
.LBB86_12:                              ; =>This Inner Loop Header: Depth=1
	v_ashrrev_i32_e32 v1, 31, v0
	v_lshl_add_u64 v[4:5], v[0:1], 1, s[2:3]
	global_load_ushort v3, v[4:5], off
	s_waitcnt vmcnt(0)
	v_cvt_f32_f16_e32 v3, v3
	s_waitcnt lgkmcnt(0)
	v_div_scale_f32 v4, s[10:11], s6, s6, v3
	v_rcp_f32_e32 v5, v4
	v_div_scale_f32 v6, vcc, v3, s6, v3
	v_fma_f32 v7, -v4, v5, 1.0
	v_fmac_f32_e32 v5, v7, v5
	v_mul_f32_e32 v7, v6, v5
	v_fma_f32 v8, -v4, v7, v6
	v_fmac_f32_e32 v7, v8, v5
	v_fma_f32 v4, -v4, v7, v6
	v_div_fmas_f32 v4, v4, v5, v7
	v_div_fixup_f32 v3, v4, s6, v3
	v_cvt_f16_f32_e32 v3, v3
	v_mov_b32_e32 v6, 0
	v_cvt_f32_f16_e32 v3, v3
	v_med3_f32 v4, v3, s9, v2
	v_cmp_nlg_f32_e64 vcc, |v3|, s8
	s_nop 1
	v_cndmask_b32_e32 v3, v4, v3, vcc
	v_cvt_pk_fp8_f32 v6, v3, v3
	v_lshl_add_u64 v[4:5], s[0:1], 0, v[0:1]
	v_add_u32_e32 v0, s7, v0
	v_cmp_le_i32_e32 vcc, s22, v0
	s_or_b64 s[4:5], vcc, s[4:5]
	global_store_byte v[4:5], v6, off
	s_andn2_b64 exec, exec, s[4:5]
	s_cbranch_execnz .LBB86_12
.LBB86_13:
	s_endpgm
.LBB86_14:
                                        ; implicit-def: $sgpr10_sgpr11
	s_branch .LBB86_6
	.section	.rodata,"a",@progbits
	.p2align	6, 0x0
	.amdhsa_kernel _ZN4vllm38concat_and_cache_mla_rope_fused_kernelIN3c108BFloat16ENS1_4HalfELb1EthLNS_18Fp8KVCacheDataTypeE1EEEvPKlPT_S8_PKS7_PKT0_illlliPT3_S6_iiiiPKf
		.amdhsa_group_segment_fixed_size 0
		.amdhsa_private_segment_fixed_size 0
		.amdhsa_kernarg_size 384
		.amdhsa_user_sgpr_count 2
		.amdhsa_user_sgpr_dispatch_ptr 0
		.amdhsa_user_sgpr_queue_ptr 0
		.amdhsa_user_sgpr_kernarg_segment_ptr 1
		.amdhsa_user_sgpr_dispatch_id 0
		.amdhsa_user_sgpr_kernarg_preload_length 0
		.amdhsa_user_sgpr_kernarg_preload_offset 0
		.amdhsa_user_sgpr_private_segment_size 0
		.amdhsa_uses_dynamic_stack 0
		.amdhsa_enable_private_segment 0
		.amdhsa_system_sgpr_workgroup_id_x 1
		.amdhsa_system_sgpr_workgroup_id_y 0
		.amdhsa_system_sgpr_workgroup_id_z 0
		.amdhsa_system_sgpr_workgroup_info 0
		.amdhsa_system_vgpr_workitem_id 0
		.amdhsa_next_free_vgpr 28
		.amdhsa_next_free_sgpr 50
		.amdhsa_accum_offset 28
		.amdhsa_reserve_vcc 1
		.amdhsa_float_round_mode_32 0
		.amdhsa_float_round_mode_16_64 0
		.amdhsa_float_denorm_mode_32 3
		.amdhsa_float_denorm_mode_16_64 3
		.amdhsa_dx10_clamp 1
		.amdhsa_ieee_mode 1
		.amdhsa_fp16_overflow 0
		.amdhsa_tg_split 0
		.amdhsa_exception_fp_ieee_invalid_op 0
		.amdhsa_exception_fp_denorm_src 0
		.amdhsa_exception_fp_ieee_div_zero 0
		.amdhsa_exception_fp_ieee_overflow 0
		.amdhsa_exception_fp_ieee_underflow 0
		.amdhsa_exception_fp_ieee_inexact 0
		.amdhsa_exception_int_div_zero 0
	.end_amdhsa_kernel
	.section	.text._ZN4vllm38concat_and_cache_mla_rope_fused_kernelIN3c108BFloat16ENS1_4HalfELb1EthLNS_18Fp8KVCacheDataTypeE1EEEvPKlPT_S8_PKS7_PKT0_illlliPT3_S6_iiiiPKf,"axG",@progbits,_ZN4vllm38concat_and_cache_mla_rope_fused_kernelIN3c108BFloat16ENS1_4HalfELb1EthLNS_18Fp8KVCacheDataTypeE1EEEvPKlPT_S8_PKS7_PKT0_illlliPT3_S6_iiiiPKf,comdat
.Lfunc_end86:
	.size	_ZN4vllm38concat_and_cache_mla_rope_fused_kernelIN3c108BFloat16ENS1_4HalfELb1EthLNS_18Fp8KVCacheDataTypeE1EEEvPKlPT_S8_PKS7_PKT0_illlliPT3_S6_iiiiPKf, .Lfunc_end86-_ZN4vllm38concat_and_cache_mla_rope_fused_kernelIN3c108BFloat16ENS1_4HalfELb1EthLNS_18Fp8KVCacheDataTypeE1EEEvPKlPT_S8_PKS7_PKT0_illlliPT3_S6_iiiiPKf
                                        ; -- End function
	.section	.AMDGPU.csdata,"",@progbits
; Kernel info:
; codeLenInByte = 3036
; NumSgprs: 56
; NumVgprs: 28
; NumAgprs: 0
; TotalNumVgprs: 28
; ScratchSize: 0
; MemoryBound: 0
; FloatMode: 240
; IeeeMode: 1
; LDSByteSize: 0 bytes/workgroup (compile time only)
; SGPRBlocks: 6
; VGPRBlocks: 3
; NumSGPRsForWavesPerEU: 56
; NumVGPRsForWavesPerEU: 28
; AccumOffset: 28
; Occupancy: 8
; WaveLimiterHint : 1
; COMPUTE_PGM_RSRC2:SCRATCH_EN: 0
; COMPUTE_PGM_RSRC2:USER_SGPR: 2
; COMPUTE_PGM_RSRC2:TRAP_HANDLER: 0
; COMPUTE_PGM_RSRC2:TGID_X_EN: 1
; COMPUTE_PGM_RSRC2:TGID_Y_EN: 0
; COMPUTE_PGM_RSRC2:TGID_Z_EN: 0
; COMPUTE_PGM_RSRC2:TIDIG_COMP_CNT: 0
; COMPUTE_PGM_RSRC3_GFX90A:ACCUM_OFFSET: 6
; COMPUTE_PGM_RSRC3_GFX90A:TG_SPLIT: 0
	.section	.text._ZN4vllm38concat_and_cache_mla_rope_fused_kernelIN3c108BFloat16ENS1_4HalfELb0EthLNS_18Fp8KVCacheDataTypeE1EEEvPKlPT_S8_PKS7_PKT0_illlliPT3_S6_iiiiPKf,"axG",@progbits,_ZN4vllm38concat_and_cache_mla_rope_fused_kernelIN3c108BFloat16ENS1_4HalfELb0EthLNS_18Fp8KVCacheDataTypeE1EEEvPKlPT_S8_PKS7_PKT0_illlliPT3_S6_iiiiPKf,comdat
	.protected	_ZN4vllm38concat_and_cache_mla_rope_fused_kernelIN3c108BFloat16ENS1_4HalfELb0EthLNS_18Fp8KVCacheDataTypeE1EEEvPKlPT_S8_PKS7_PKT0_illlliPT3_S6_iiiiPKf ; -- Begin function _ZN4vllm38concat_and_cache_mla_rope_fused_kernelIN3c108BFloat16ENS1_4HalfELb0EthLNS_18Fp8KVCacheDataTypeE1EEEvPKlPT_S8_PKS7_PKT0_illlliPT3_S6_iiiiPKf
	.globl	_ZN4vllm38concat_and_cache_mla_rope_fused_kernelIN3c108BFloat16ENS1_4HalfELb0EthLNS_18Fp8KVCacheDataTypeE1EEEvPKlPT_S8_PKS7_PKT0_illlliPT3_S6_iiiiPKf
	.p2align	8
	.type	_ZN4vllm38concat_and_cache_mla_rope_fused_kernelIN3c108BFloat16ENS1_4HalfELb0EthLNS_18Fp8KVCacheDataTypeE1EEEvPKlPT_S8_PKS7_PKT0_illlliPT3_S6_iiiiPKf,@function
_ZN4vllm38concat_and_cache_mla_rope_fused_kernelIN3c108BFloat16ENS1_4HalfELb0EthLNS_18Fp8KVCacheDataTypeE1EEEvPKlPT_S8_PKS7_PKT0_illlliPT3_S6_iiiiPKf: ; @_ZN4vllm38concat_and_cache_mla_rope_fused_kernelIN3c108BFloat16ENS1_4HalfELb0EthLNS_18Fp8KVCacheDataTypeE1EEEvPKlPT_S8_PKS7_PKT0_illlliPT3_S6_iiiiPKf
; %bb.0:
	s_load_dwordx2 s[6:7], s[0:1], 0x60
	s_mov_b32 s3, 0
	s_lshl_b64 s[4:5], s[2:3], 3
	s_waitcnt lgkmcnt(0)
	s_add_u32 s6, s6, s4
	s_addc_u32 s7, s7, s5
	s_load_dwordx2 s[26:27], s[6:7], 0x0
	s_waitcnt lgkmcnt(0)
	v_cmp_lt_i64_e64 s[6:7], s[26:27], 0
	s_and_b64 vcc, exec, s[6:7]
	s_cbranch_vccnz .LBB87_13
; %bb.1:
	s_load_dword s3, s[0:1], 0x28
	s_load_dwordx2 s[6:7], s[0:1], 0x0
	s_load_dwordx4 s[12:15], s[0:1], 0x10
	v_lshlrev_b32_e32 v2, 1, v0
	s_waitcnt lgkmcnt(0)
	s_ashr_i32 s22, s3, 31
	s_add_u32 s16, s6, s4
	s_addc_u32 s17, s7, s5
	s_load_dwordx2 s[18:19], s[16:17], 0x0
	s_load_dwordx2 s[24:25], s[0:1], 0x20
	s_load_dwordx8 s[4:11], s[0:1], 0x30
	s_load_dwordx2 s[20:21], s[0:1], 0x58
	s_load_dword s23, s[0:1], 0x50
	s_waitcnt lgkmcnt(0)
	s_mul_i32 s16, s18, s22
	s_mul_hi_u32 s17, s18, s3
	s_mul_i32 s19, s19, s3
	s_add_i32 s16, s17, s16
	s_add_i32 s29, s16, s19
	s_lshr_b32 s16, s3, 31
	s_mul_i32 s28, s18, s3
	s_add_i32 s3, s3, s16
	s_ashr_i32 s22, s3, 1
	s_mul_i32 s3, s22, s23
	v_cmp_gt_i32_e32 vcc, s3, v0
	s_and_saveexec_b64 s[16:17], vcc
	s_cbranch_execz .LBB87_4
; %bb.2:
	s_load_dwordx2 s[30:31], s[0:1], 0x8
	s_load_dword s34, s[0:1], 0x8c
	s_lshl_b64 s[18:19], s[28:29], 1
	s_add_u32 s18, s24, s18
	s_mul_i32 s5, s2, s5
	s_mul_hi_u32 s33, s2, s4
	s_addc_u32 s19, s25, s19
	s_add_i32 s5, s33, s5
	s_mul_i32 s4, s2, s4
	s_ashr_i32 s23, s22, 31
	s_lshl_b64 s[4:5], s[4:5], 1
	s_waitcnt lgkmcnt(0)
	s_add_u32 s30, s30, s4
	s_addc_u32 s31, s31, s5
	s_abs_i32 s33, s22
	v_cvt_f32_u32_e32 v1, s33
	s_sub_i32 s4, 0, s33
	s_and_b32 s36, s34, 0xffff
	s_sub_i32 s37, 0, s22
	v_rcp_iflag_f32_e32 v1, v1
	s_lshl_b32 s39, s36, 1
	s_mov_b64 s[34:35], 0
	s_movk_i32 s40, 0x7fff
	v_mul_f32_e32 v1, 0x4f7ffffe, v1
	v_cvt_u32_f32_e32 v1, v1
	v_mov_b32_e32 v5, 0x7fc0
	s_mov_b32 s41, 0x5040100
	v_mov_b32_e32 v4, v2
	v_mul_lo_u32 v3, s4, v1
	v_mul_hi_u32 v3, v1, v3
	s_lshl_b32 s4, s22, 1
	v_add_u32_e32 v1, v1, v3
	s_sub_i32 s38, 0, s4
	v_mov_b32_e32 v3, 0x7fc00000
	v_mov_b32_e32 v6, v0
.LBB87_3:                               ; =>This Inner Loop Header: Depth=1
	v_sub_u32_e32 v8, 0, v6
	v_max_i32_e32 v8, v6, v8
	v_mul_hi_u32 v9, v8, v1
	v_mul_lo_u32 v10, v9, s33
	v_sub_u32_e32 v8, v8, v10
	v_add_u32_e32 v11, 1, v9
	v_cmp_le_u32_e32 vcc, s33, v8
	v_subrev_u32_e32 v10, s33, v8
	v_ashrrev_i32_e32 v7, 31, v6
	v_cndmask_b32_e32 v9, v9, v11, vcc
	v_cndmask_b32_e32 v8, v8, v10, vcc
	v_add_u32_e32 v10, 1, v9
	v_cmp_le_u32_e32 vcc, s33, v8
	v_xor_b32_e32 v7, s23, v7
	s_nop 0
	v_cndmask_b32_e32 v8, v9, v10, vcc
	v_xor_b32_e32 v8, v8, v7
	v_sub_u32_e32 v7, v8, v7
	v_mad_u64_u32 v[8:9], s[4:5], s37, v7, v[6:7]
	v_ashrrev_i32_e32 v14, 31, v7
	v_ashrrev_i32_e32 v9, 31, v8
	v_mul_lo_u32 v15, v7, s7
	v_mad_u64_u32 v[10:11], s[4:5], v7, s6, 0
	v_mad_u64_u32 v[12:13], s[4:5], s38, v7, v[4:5]
	v_mul_lo_u32 v7, v14, s6
	v_lshl_add_u64 v[8:9], v[8:9], 1, s[18:19]
	v_add3_u32 v11, v11, v15, v7
	v_lshl_add_u64 v[14:15], s[22:23], 1, v[8:9]
	global_load_ushort v7, v[8:9], off
	global_load_ushort v16, v[14:15], off
	v_ashrrev_i32_e32 v13, 31, v12
	v_lshl_add_u64 v[10:11], v[10:11], 1, s[30:31]
	v_lshl_add_u64 v[8:9], v[12:13], 1, v[10:11]
	global_load_dword v10, v[8:9], off
	v_add_u32_e32 v6, s36, v6
	v_cmp_le_i32_e32 vcc, s3, v6
	s_or_b64 s[34:35], vcc, s[34:35]
	v_add_u32_e32 v4, s39, v4
	s_waitcnt vmcnt(2)
	v_cvt_f32_f16_e32 v12, v7
	s_waitcnt vmcnt(1)
	v_cvt_f32_f16_e32 v13, v16
	v_cmp_o_f16_e32 vcc, v7, v7
	v_bfe_u32 v14, v12, 16, 1
	v_add3_u32 v12, v12, v14, s40
	v_bfe_u32 v14, v13, 16, 1
	v_and_b32_e32 v12, 0xffff0000, v12
	s_waitcnt vmcnt(0)
	v_and_b32_e32 v11, 0xffff0000, v10
	v_lshlrev_b32_e32 v10, 16, v10
	v_add3_u32 v13, v13, v14, s40
	v_cndmask_b32_e32 v12, v3, v12, vcc
	v_and_b32_e32 v7, 0xffff0000, v13
	v_cmp_o_f16_e32 vcc, v16, v16
	v_pk_mul_f32 v[12:13], v[12:13], v[10:11] op_sel_hi:[0,1]
	v_bfe_u32 v15, v13, 16, 1
	v_cndmask_b32_e32 v14, v3, v7, vcc
	v_bfe_u32 v7, v12, 16, 1
	v_pk_mul_f32 v[10:11], v[14:15], v[10:11] op_sel_hi:[0,1]
	v_add3_u32 v14, v13, v15, s40
	v_add3_u32 v7, v12, v7, s40
	v_bfe_u32 v15, v11, 16, 1
	v_bfe_u32 v16, v10, 16, 1
	v_and_b32_e32 v7, 0xffff0000, v7
	v_and_b32_e32 v14, 0xffff0000, v14
	v_add3_u32 v16, v10, v16, s40
	v_add3_u32 v15, v11, v15, s40
	v_cmp_o_f32_e32 vcc, v12, v12
	v_cmp_o_f32_e64 s[4:5], v13, v13
	v_and_b32_e32 v15, 0xffff0000, v15
	v_and_b32_e32 v16, 0xffff0000, v16
	v_cndmask_b32_e64 v13, v3, v14, s[4:5]
	v_cndmask_b32_e32 v12, v3, v7, vcc
	v_cmp_o_f32_e32 vcc, v11, v11
	v_cmp_o_f32_e64 s[4:5], v10, v10
	s_nop 0
	v_cndmask_b32_e32 v10, v3, v15, vcc
	v_cndmask_b32_e64 v11, v3, v16, s[4:5]
	v_pk_add_f32 v[14:15], v[12:13], v[10:11] neg_lo:[0,1] neg_hi:[0,1]
	v_pk_add_f32 v[10:11], v[12:13], v[10:11]
	v_bfe_u32 v7, v14, 16, 1
	v_bfe_u32 v10, v11, 16, 1
	v_add3_u32 v10, v11, v10, s40
	v_add3_u32 v7, v14, v7, s40
	v_lshrrev_b32_e32 v7, 16, v7
	v_lshrrev_b32_e32 v10, 16, v10
	v_cmp_o_f32_e32 vcc, v11, v11
	v_cmp_o_f32_e64 s[4:5], v14, v14
	s_nop 0
	v_cndmask_b32_e32 v10, v5, v10, vcc
	v_cndmask_b32_e64 v7, v5, v7, s[4:5]
	v_perm_b32 v7, v10, v7, s41
	global_store_dword v[8:9], v7, off
	s_andn2_b64 exec, exec, s[34:35]
	s_cbranch_execnz .LBB87_3
.LBB87_4:
	s_or_b64 exec, exec, s[16:17]
	s_load_dwordx4 s[16:19], s[0:1], 0x68
	s_waitcnt lgkmcnt(0)
	s_ashr_i32 s7, s19, 31
	s_mov_b32 s6, s19
	s_or_b64 s[4:5], s[26:27], s[6:7]
	s_mov_b32 s4, 0
	s_cmp_lg_u64 s[4:5], 0
	s_cbranch_scc0 .LBB87_14
; %bb.5:
	s_add_u32 s4, s6, s7
	s_mov_b32 s30, s7
	s_mov_b32 s31, s7
	s_addc_u32 s5, s7, s7
	s_xor_b64 s[36:37], s[4:5], s[30:31]
	v_cvt_f32_u32_e32 v1, s36
	v_cvt_f32_u32_e32 v3, s37
	s_sub_u32 s3, 0, s36
	s_subb_u32 s4, 0, s37
	v_fmamk_f32 v1, v3, 0x4f800000, v1
	v_rcp_f32_e32 v1, v1
	s_nop 0
	v_mul_f32_e32 v1, 0x5f7ffffc, v1
	v_mul_f32_e32 v3, 0x2f800000, v1
	v_trunc_f32_e32 v3, v3
	v_fmamk_f32 v1, v3, 0xcf800000, v1
	v_cvt_u32_f32_e32 v3, v3
	v_cvt_u32_f32_e32 v1, v1
	v_readfirstlane_b32 s5, v3
	v_readfirstlane_b32 s19, v1
	s_mul_i32 s23, s3, s5
	s_mul_hi_u32 s38, s3, s19
	s_mul_i32 s33, s4, s19
	s_add_i32 s23, s38, s23
	s_add_i32 s23, s23, s33
	s_mul_i32 s39, s3, s19
	s_mul_hi_u32 s33, s19, s23
	s_mul_i32 s38, s19, s23
	s_mul_hi_u32 s19, s19, s39
	s_add_u32 s19, s19, s38
	s_addc_u32 s33, 0, s33
	s_mul_hi_u32 s40, s5, s39
	s_mul_i32 s39, s5, s39
	s_add_u32 s19, s19, s39
	s_mul_hi_u32 s38, s5, s23
	s_addc_u32 s19, s33, s40
	s_addc_u32 s33, s38, 0
	s_mul_i32 s23, s5, s23
	s_add_u32 s19, s19, s23
	s_addc_u32 s23, 0, s33
	v_add_co_u32_e32 v1, vcc, s19, v1
	s_cmp_lg_u64 vcc, 0
	s_addc_u32 s5, s5, s23
	v_readfirstlane_b32 s23, v1
	s_mul_i32 s19, s3, s5
	s_mul_hi_u32 s33, s3, s23
	s_add_i32 s19, s33, s19
	s_mul_i32 s4, s4, s23
	s_add_i32 s19, s19, s4
	s_mul_i32 s3, s3, s23
	s_mul_hi_u32 s33, s5, s3
	s_mul_i32 s38, s5, s3
	s_mul_i32 s40, s23, s19
	s_mul_hi_u32 s3, s23, s3
	s_mul_hi_u32 s39, s23, s19
	s_add_u32 s3, s3, s40
	s_addc_u32 s23, 0, s39
	s_add_u32 s3, s3, s38
	s_mul_hi_u32 s4, s5, s19
	s_addc_u32 s3, s23, s33
	s_addc_u32 s4, s4, 0
	s_mul_i32 s19, s5, s19
	s_add_u32 s3, s3, s19
	s_addc_u32 s4, 0, s4
	v_add_co_u32_e32 v1, vcc, s3, v1
	s_cmp_lg_u64 vcc, 0
	s_addc_u32 s3, s5, s4
	s_ashr_i32 s38, s27, 31
	s_add_u32 s4, s26, s38
	s_mov_b32 s39, s38
	s_addc_u32 s5, s27, s38
	s_xor_b64 s[40:41], s[4:5], s[38:39]
	v_readfirstlane_b32 s19, v1
	s_mul_i32 s5, s40, s3
	s_mul_hi_u32 s23, s40, s19
	s_mul_hi_u32 s4, s40, s3
	s_add_u32 s5, s23, s5
	s_addc_u32 s4, 0, s4
	s_mul_hi_u32 s33, s41, s19
	s_mul_i32 s19, s41, s19
	s_add_u32 s5, s5, s19
	s_mul_hi_u32 s23, s41, s3
	s_addc_u32 s4, s4, s33
	s_addc_u32 s5, s23, 0
	s_mul_i32 s3, s41, s3
	s_add_u32 s3, s4, s3
	s_addc_u32 s19, 0, s5
	s_mul_i32 s4, s36, s19
	s_mul_hi_u32 s5, s36, s3
	s_add_i32 s4, s5, s4
	s_mul_i32 s5, s37, s3
	s_add_i32 s23, s4, s5
	s_mul_i32 s5, s36, s3
	v_mov_b32_e32 v1, s5
	s_sub_i32 s4, s41, s23
	v_sub_co_u32_e32 v1, vcc, s40, v1
	s_cmp_lg_u64 vcc, 0
	s_subb_u32 s33, s4, s37
	v_subrev_co_u32_e64 v3, s[4:5], s36, v1
	s_cmp_lg_u64 s[4:5], 0
	s_subb_u32 s4, s33, 0
	s_cmp_ge_u32 s4, s37
	v_readfirstlane_b32 s33, v3
	s_cselect_b32 s5, -1, 0
	s_cmp_ge_u32 s33, s36
	s_cselect_b32 s33, -1, 0
	s_cmp_eq_u32 s4, s37
	s_cselect_b32 s4, s33, s5
	s_add_u32 s5, s3, 1
	s_addc_u32 s33, s19, 0
	s_add_u32 s40, s3, 2
	s_addc_u32 s42, s19, 0
	s_cmp_lg_u32 s4, 0
	s_cselect_b32 s4, s40, s5
	s_cselect_b32 s5, s42, s33
	s_cmp_lg_u64 vcc, 0
	s_subb_u32 s23, s41, s23
	s_cmp_ge_u32 s23, s37
	v_readfirstlane_b32 s40, v1
	s_cselect_b32 s33, -1, 0
	s_cmp_ge_u32 s40, s36
	s_cselect_b32 s36, -1, 0
	s_cmp_eq_u32 s23, s37
	s_cselect_b32 s23, s36, s33
	s_cmp_lg_u32 s23, 0
	s_cselect_b32 s5, s5, s19
	s_cselect_b32 s4, s4, s3
	s_xor_b64 s[30:31], s[38:39], s[30:31]
	s_xor_b64 s[4:5], s[4:5], s[30:31]
	s_sub_u32 s30, s4, s30
	s_subb_u32 s31, s5, s31
	s_cbranch_execnz .LBB87_7
.LBB87_6:
	v_cvt_f32_u32_e32 v1, s6
	s_sub_i32 s3, 0, s6
	s_mov_b32 s31, 0
	v_rcp_iflag_f32_e32 v1, v1
	s_nop 0
	v_mul_f32_e32 v1, 0x4f7ffffe, v1
	v_cvt_u32_f32_e32 v1, v1
	s_nop 0
	v_readfirstlane_b32 s4, v1
	s_mul_i32 s3, s3, s4
	s_mul_hi_u32 s3, s4, s3
	s_add_i32 s4, s4, s3
	s_mul_hi_u32 s3, s26, s4
	s_mul_i32 s5, s3, s6
	s_sub_i32 s5, s26, s5
	s_add_i32 s4, s3, 1
	s_sub_i32 s19, s5, s6
	s_cmp_ge_u32 s5, s6
	s_cselect_b32 s3, s4, s3
	s_cselect_b32 s5, s19, s5
	s_add_i32 s4, s3, 1
	s_cmp_ge_u32 s5, s6
	s_cselect_b32 s30, s4, s3
.LBB87_7:
	s_mul_i32 s3, s30, s7
	s_mul_hi_u32 s4, s30, s6
	s_load_dwordx2 s[34:35], s[0:1], 0x78
	s_add_i32 s3, s4, s3
	s_mul_i32 s4, s31, s6
	s_add_i32 s3, s3, s4
	s_mul_i32 s4, s30, s6
	s_sub_u32 s33, s26, s4
	s_subb_u32 s19, s27, s3
	v_cmp_gt_i32_e32 vcc, s22, v0
	s_mul_hi_u32 s37, s30, s16
	s_mul_i32 s38, s31, s16
	s_mul_i32 s39, s30, s16
	s_mul_hi_u32 s36, s33, s17
	s_mul_i32 s19, s19, s17
	s_mul_i32 s31, s33, s17
	s_and_saveexec_b64 s[26:27], vcc
	s_cbranch_execz .LBB87_10
; %bb.8:
	s_ashr_i32 s3, s16, 31
	s_mul_i32 s3, s30, s3
	s_load_dword s4, s[0:1], 0x8c
	s_add_i32 s3, s37, s3
	s_add_i32 s6, s3, s38
	s_ashr_i32 s3, s17, 31
	s_mul_i32 s3, s33, s3
	s_add_i32 s3, s36, s3
	s_ashr_i32 s23, s22, 31
	s_add_i32 s7, s3, s19
	s_ashr_i32 s42, s18, 31
	s_waitcnt lgkmcnt(0)
	s_and_b32 s40, s4, 0xffff
	s_lshl_b64 s[4:5], s[28:29], 1
	s_add_u32 s4, s24, s4
	v_mov_b32_e32 v3, 0
	s_addc_u32 s5, s25, s5
	v_lshl_add_u64 v[4:5], s[4:5], 0, v[2:3]
	s_mul_i32 s4, s9, s2
	s_mul_hi_u32 s5, s8, s2
	s_add_i32 s5, s5, s4
	s_mul_i32 s4, s8, s2
	s_lshl_b32 s41, s40, 1
	s_lshl_b64 s[4:5], s[4:5], 1
	s_add_u32 s4, s12, s4
	v_lshlrev_b32_e32 v8, 2, v0
	v_mov_b32_e32 v9, v3
	s_addc_u32 s5, s13, s5
	s_lshl_b32 s28, s40, 2
	v_lshl_add_u64 v[8:9], s[4:5], 0, v[8:9]
	s_add_u32 s4, s39, s31
	s_addc_u32 s5, s6, s7
	s_load_dword s3, s[34:35], 0x0
	s_add_u32 s6, s20, s18
	s_addc_u32 s7, s21, s42
	s_add_u32 s4, s6, s4
	s_addc_u32 s5, s7, s5
	s_mov_b32 s29, 0
	v_lshl_add_u64 v[6:7], s[22:23], 1, v[4:5]
	v_lshl_add_u64 v[2:3], s[4:5], 0, v[2:3]
	s_mov_b64 s[12:13], 0
	s_movk_i32 s23, 0x7fff
	v_mov_b32_e32 v1, 0x7fc00000
	v_mov_b32_e32 v10, 0x7fc0
	s_mov_b32 s42, 0x5040100
	s_mov_b32 s43, 0x7f800000
	;; [unrolled: 1-line block ×3, first 2 shown]
	v_mov_b32_e32 v11, 0xc3700000
	s_mov_b64 s[24:25], 0
	v_mov_b32_e32 v12, v0
.LBB87_9:                               ; =>This Inner Loop Header: Depth=1
	v_lshl_add_u64 v[14:15], v[4:5], 0, s[24:25]
	v_lshl_add_u64 v[16:17], v[6:7], 0, s[24:25]
	global_load_ushort v13, v[14:15], off
	global_load_ushort v18, v[16:17], off
	global_load_dword v19, v[8:9], off
	v_lshl_add_u64 v[14:15], v[2:3], 0, s[24:25]
	v_add_u32_e32 v12, s40, v12
	s_add_u32 s24, s24, s41
	s_addc_u32 s25, s25, 0
	v_cmp_le_i32_e32 vcc, s22, v12
	s_or_b64 s[12:13], vcc, s[12:13]
	v_mov_b32_e32 v23, 0
	v_mov_b32_e32 v22, 0
	s_waitcnt vmcnt(2)
	v_cmp_o_f16_e64 s[4:5], v13, v13
	s_waitcnt vmcnt(1)
	v_cvt_f32_f16_e32 v20, v18
	s_waitcnt vmcnt(0)
	v_and_b32_e32 v17, 0xffff0000, v19
	v_lshlrev_b32_e32 v16, 16, v19
	v_cvt_f32_f16_e32 v19, v13
	v_bfe_u32 v24, v20, 16, 1
	v_add3_u32 v20, v20, v24, s23
	v_and_b32_e32 v20, 0xffff0000, v20
	v_bfe_u32 v21, v19, 16, 1
	v_add3_u32 v19, v19, v21, s23
	v_and_b32_e32 v19, 0xffff0000, v19
	v_cmp_o_f16_e32 vcc, v18, v18
	v_cndmask_b32_e64 v18, v1, v19, s[4:5]
	v_pk_mul_f32 v[18:19], v[18:19], v[16:17] op_sel_hi:[0,1]
	v_cndmask_b32_e32 v20, v1, v20, vcc
	v_pk_mul_f32 v[16:17], v[20:21], v[16:17] op_sel_hi:[0,1]
	v_bfe_u32 v13, v18, 16, 1
	v_bfe_u32 v20, v19, 16, 1
	;; [unrolled: 1-line block ×4, first 2 shown]
	v_add3_u32 v20, v19, v20, s23
	v_add3_u32 v13, v18, v13, s23
	;; [unrolled: 1-line block ×4, first 2 shown]
	v_and_b32_e32 v13, 0xffff0000, v13
	v_and_b32_e32 v20, 0xffff0000, v20
	;; [unrolled: 1-line block ×4, first 2 shown]
	v_cmp_o_f32_e32 vcc, v18, v18
	v_cmp_o_f32_e64 s[4:5], v16, v16
	v_cmp_o_f32_e64 s[6:7], v17, v17
	;; [unrolled: 1-line block ×3, first 2 shown]
	v_cndmask_b32_e32 v16, v1, v13, vcc
	v_cndmask_b32_e64 v19, v1, v24, s[4:5]
	v_cndmask_b32_e64 v17, v1, v20, s[8:9]
	;; [unrolled: 1-line block ×3, first 2 shown]
	v_pk_add_f32 v[20:21], v[16:17], v[18:19] neg_lo:[0,1] neg_hi:[0,1]
	v_pk_add_f32 v[16:17], v[16:17], v[18:19]
	v_bfe_u32 v13, v20, 16, 1
	v_bfe_u32 v16, v17, 16, 1
	v_add3_u32 v13, v20, v13, s23
	v_add3_u32 v16, v17, v16, s23
	v_lshrrev_b32_e32 v13, 16, v13
	v_cmp_o_f32_e64 s[4:5], v20, v20
	v_lshrrev_b32_e32 v16, 16, v16
	v_cmp_o_f32_e32 vcc, v17, v17
	v_cndmask_b32_e64 v13, v10, v13, s[4:5]
	v_cvt_f32_f16_e32 v17, v13
	v_cndmask_b32_e32 v16, v10, v16, vcc
	v_perm_b32 v13, v16, v13, s42
	v_cvt_f32_f16_e32 v16, v16
	s_waitcnt lgkmcnt(0)
	v_div_scale_f32 v18, s[4:5], s3, s3, v17
	v_rcp_f32_e32 v24, v18
	v_div_scale_f32 v20, s[4:5], s3, s3, v16
	v_rcp_f32_e32 v25, v20
	v_fma_f32 v26, -v18, v24, 1.0
	v_div_scale_f32 v19, vcc, v17, s3, v17
	v_fma_f32 v27, -v20, v25, 1.0
	v_fmac_f32_e32 v24, v26, v24
	v_div_scale_f32 v21, s[4:5], v16, s3, v16
	v_fmac_f32_e32 v25, v27, v25
	v_mul_f32_e32 v26, v19, v24
	v_mul_f32_e32 v27, v21, v25
	v_fma_f32 v28, -v18, v26, v19
	v_fma_f32 v29, -v20, v27, v21
	v_fmac_f32_e32 v26, v28, v24
	v_fmac_f32_e32 v27, v29, v25
	v_fma_f32 v18, -v18, v26, v19
	v_fma_f32 v19, -v20, v27, v21
	v_div_fmas_f32 v18, v18, v24, v26
	s_mov_b64 vcc, s[4:5]
	v_div_fixup_f32 v17, v18, s3, v17
	v_div_fmas_f32 v18, v19, v25, v27
	v_cvt_f16_f32_e32 v17, v17
	v_div_fixup_f32 v16, v18, s3, v16
	v_cvt_f16_f32_e32 v16, v16
	global_store_dword v[8:9], v13, off
	v_cvt_f32_f16_e32 v17, v17
	v_lshl_add_u64 v[8:9], v[8:9], 0, s[28:29]
	v_cvt_f32_f16_e32 v16, v16
	v_med3_f32 v18, v17, s44, v11
	v_cmp_nlg_f32_e64 vcc, |v17|, s43
	s_nop 1
	v_cndmask_b32_e32 v17, v18, v17, vcc
	v_med3_f32 v18, v16, s44, v11
	v_cmp_nlg_f32_e64 vcc, |v16|, s43
	v_cvt_pk_fp8_f32 v22, v17, v17
	s_nop 0
	v_cndmask_b32_e32 v16, v18, v16, vcc
	v_cvt_pk_fp8_f32 v23, v16, v16
	v_lshlrev_b16_e32 v13, 8, v23
	v_or_b32_sdwa v13, v22, v13 dst_sel:DWORD dst_unused:UNUSED_PAD src0_sel:BYTE_0 src1_sel:DWORD
	global_store_short v[14:15], v13, off
	s_andn2_b64 exec, exec, s[12:13]
	s_cbranch_execnz .LBB87_9
.LBB87_10:
	s_or_b64 exec, exec, s[26:27]
	v_cmp_gt_i32_e32 vcc, s18, v0
	s_and_saveexec_b64 s[4:5], vcc
	s_cbranch_execz .LBB87_13
; %bb.11:
	s_mul_i32 s3, s2, s11
	s_mul_hi_u32 s4, s2, s10
	s_add_i32 s3, s4, s3
	s_mul_i32 s2, s2, s10
	s_lshl_b64 s[2:3], s[2:3], 1
	s_add_u32 s2, s14, s2
	s_addc_u32 s3, s15, s3
	s_ashr_i32 s4, s16, 31
	s_mul_i32 s4, s30, s4
	s_add_i32 s4, s37, s4
	s_add_i32 s4, s4, s38
	s_add_u32 s5, s20, s39
	s_addc_u32 s4, s21, s4
	s_ashr_i32 s6, s17, 31
	s_mul_i32 s33, s33, s6
	s_add_i32 s6, s36, s33
	s_add_i32 s6, s6, s19
	s_load_dword s7, s[0:1], 0x8c
	s_add_u32 s0, s5, s31
	s_addc_u32 s1, s4, s6
	s_waitcnt lgkmcnt(0)
	s_load_dword s6, s[34:35], 0x0
	s_mov_b64 s[4:5], 0
	s_and_b32 s7, s7, 0xffff
	s_mov_b32 s8, 0x7f800000
	s_mov_b32 s9, 0x43700000
	v_mov_b32_e32 v2, 0xc3700000
.LBB87_12:                              ; =>This Inner Loop Header: Depth=1
	v_ashrrev_i32_e32 v1, 31, v0
	v_lshl_add_u64 v[4:5], v[0:1], 1, s[2:3]
	global_load_ushort v3, v[4:5], off
	s_waitcnt vmcnt(0)
	v_cvt_f32_f16_e32 v3, v3
	s_waitcnt lgkmcnt(0)
	v_div_scale_f32 v4, s[10:11], s6, s6, v3
	v_rcp_f32_e32 v5, v4
	v_div_scale_f32 v6, vcc, v3, s6, v3
	v_fma_f32 v7, -v4, v5, 1.0
	v_fmac_f32_e32 v5, v7, v5
	v_mul_f32_e32 v7, v6, v5
	v_fma_f32 v8, -v4, v7, v6
	v_fmac_f32_e32 v7, v8, v5
	v_fma_f32 v4, -v4, v7, v6
	v_div_fmas_f32 v4, v4, v5, v7
	v_div_fixup_f32 v3, v4, s6, v3
	v_cvt_f16_f32_e32 v3, v3
	v_mov_b32_e32 v6, 0
	v_cvt_f32_f16_e32 v3, v3
	v_med3_f32 v4, v3, s9, v2
	v_cmp_nlg_f32_e64 vcc, |v3|, s8
	s_nop 1
	v_cndmask_b32_e32 v3, v4, v3, vcc
	v_cvt_pk_fp8_f32 v6, v3, v3
	v_lshl_add_u64 v[4:5], s[0:1], 0, v[0:1]
	v_add_u32_e32 v0, s7, v0
	v_cmp_le_i32_e32 vcc, s18, v0
	s_or_b64 s[4:5], vcc, s[4:5]
	global_store_byte v[4:5], v6, off
	s_andn2_b64 exec, exec, s[4:5]
	s_cbranch_execnz .LBB87_12
.LBB87_13:
	s_endpgm
.LBB87_14:
                                        ; implicit-def: $sgpr30_sgpr31
	s_branch .LBB87_6
	.section	.rodata,"a",@progbits
	.p2align	6, 0x0
	.amdhsa_kernel _ZN4vllm38concat_and_cache_mla_rope_fused_kernelIN3c108BFloat16ENS1_4HalfELb0EthLNS_18Fp8KVCacheDataTypeE1EEEvPKlPT_S8_PKS7_PKT0_illlliPT3_S6_iiiiPKf
		.amdhsa_group_segment_fixed_size 0
		.amdhsa_private_segment_fixed_size 0
		.amdhsa_kernarg_size 384
		.amdhsa_user_sgpr_count 2
		.amdhsa_user_sgpr_dispatch_ptr 0
		.amdhsa_user_sgpr_queue_ptr 0
		.amdhsa_user_sgpr_kernarg_segment_ptr 1
		.amdhsa_user_sgpr_dispatch_id 0
		.amdhsa_user_sgpr_kernarg_preload_length 0
		.amdhsa_user_sgpr_kernarg_preload_offset 0
		.amdhsa_user_sgpr_private_segment_size 0
		.amdhsa_uses_dynamic_stack 0
		.amdhsa_enable_private_segment 0
		.amdhsa_system_sgpr_workgroup_id_x 1
		.amdhsa_system_sgpr_workgroup_id_y 0
		.amdhsa_system_sgpr_workgroup_id_z 0
		.amdhsa_system_sgpr_workgroup_info 0
		.amdhsa_system_vgpr_workitem_id 0
		.amdhsa_next_free_vgpr 30
		.amdhsa_next_free_sgpr 45
		.amdhsa_accum_offset 32
		.amdhsa_reserve_vcc 1
		.amdhsa_float_round_mode_32 0
		.amdhsa_float_round_mode_16_64 0
		.amdhsa_float_denorm_mode_32 3
		.amdhsa_float_denorm_mode_16_64 3
		.amdhsa_dx10_clamp 1
		.amdhsa_ieee_mode 1
		.amdhsa_fp16_overflow 0
		.amdhsa_tg_split 0
		.amdhsa_exception_fp_ieee_invalid_op 0
		.amdhsa_exception_fp_denorm_src 0
		.amdhsa_exception_fp_ieee_div_zero 0
		.amdhsa_exception_fp_ieee_overflow 0
		.amdhsa_exception_fp_ieee_underflow 0
		.amdhsa_exception_fp_ieee_inexact 0
		.amdhsa_exception_int_div_zero 0
	.end_amdhsa_kernel
	.section	.text._ZN4vllm38concat_and_cache_mla_rope_fused_kernelIN3c108BFloat16ENS1_4HalfELb0EthLNS_18Fp8KVCacheDataTypeE1EEEvPKlPT_S8_PKS7_PKT0_illlliPT3_S6_iiiiPKf,"axG",@progbits,_ZN4vllm38concat_and_cache_mla_rope_fused_kernelIN3c108BFloat16ENS1_4HalfELb0EthLNS_18Fp8KVCacheDataTypeE1EEEvPKlPT_S8_PKS7_PKT0_illlliPT3_S6_iiiiPKf,comdat
.Lfunc_end87:
	.size	_ZN4vllm38concat_and_cache_mla_rope_fused_kernelIN3c108BFloat16ENS1_4HalfELb0EthLNS_18Fp8KVCacheDataTypeE1EEEvPKlPT_S8_PKS7_PKT0_illlliPT3_S6_iiiiPKf, .Lfunc_end87-_ZN4vllm38concat_and_cache_mla_rope_fused_kernelIN3c108BFloat16ENS1_4HalfELb0EthLNS_18Fp8KVCacheDataTypeE1EEEvPKlPT_S8_PKS7_PKT0_illlliPT3_S6_iiiiPKf
                                        ; -- End function
	.section	.AMDGPU.csdata,"",@progbits
; Kernel info:
; codeLenInByte = 3024
; NumSgprs: 51
; NumVgprs: 30
; NumAgprs: 0
; TotalNumVgprs: 30
; ScratchSize: 0
; MemoryBound: 0
; FloatMode: 240
; IeeeMode: 1
; LDSByteSize: 0 bytes/workgroup (compile time only)
; SGPRBlocks: 6
; VGPRBlocks: 3
; NumSGPRsForWavesPerEU: 51
; NumVGPRsForWavesPerEU: 30
; AccumOffset: 32
; Occupancy: 8
; WaveLimiterHint : 1
; COMPUTE_PGM_RSRC2:SCRATCH_EN: 0
; COMPUTE_PGM_RSRC2:USER_SGPR: 2
; COMPUTE_PGM_RSRC2:TRAP_HANDLER: 0
; COMPUTE_PGM_RSRC2:TGID_X_EN: 1
; COMPUTE_PGM_RSRC2:TGID_Y_EN: 0
; COMPUTE_PGM_RSRC2:TGID_Z_EN: 0
; COMPUTE_PGM_RSRC2:TIDIG_COMP_CNT: 0
; COMPUTE_PGM_RSRC3_GFX90A:ACCUM_OFFSET: 7
; COMPUTE_PGM_RSRC3_GFX90A:TG_SPLIT: 0
	.section	.text._ZN4vllm38concat_and_cache_mla_rope_fused_kernelIN3c108BFloat16ES2_Lb1EthLNS_18Fp8KVCacheDataTypeE1EEEvPKlPT_S7_PKS6_PKT0_illlliPT3_S5_iiiiPKf,"axG",@progbits,_ZN4vllm38concat_and_cache_mla_rope_fused_kernelIN3c108BFloat16ES2_Lb1EthLNS_18Fp8KVCacheDataTypeE1EEEvPKlPT_S7_PKS6_PKT0_illlliPT3_S5_iiiiPKf,comdat
	.protected	_ZN4vllm38concat_and_cache_mla_rope_fused_kernelIN3c108BFloat16ES2_Lb1EthLNS_18Fp8KVCacheDataTypeE1EEEvPKlPT_S7_PKS6_PKT0_illlliPT3_S5_iiiiPKf ; -- Begin function _ZN4vllm38concat_and_cache_mla_rope_fused_kernelIN3c108BFloat16ES2_Lb1EthLNS_18Fp8KVCacheDataTypeE1EEEvPKlPT_S7_PKS6_PKT0_illlliPT3_S5_iiiiPKf
	.globl	_ZN4vllm38concat_and_cache_mla_rope_fused_kernelIN3c108BFloat16ES2_Lb1EthLNS_18Fp8KVCacheDataTypeE1EEEvPKlPT_S7_PKS6_PKT0_illlliPT3_S5_iiiiPKf
	.p2align	8
	.type	_ZN4vllm38concat_and_cache_mla_rope_fused_kernelIN3c108BFloat16ES2_Lb1EthLNS_18Fp8KVCacheDataTypeE1EEEvPKlPT_S7_PKS6_PKT0_illlliPT3_S5_iiiiPKf,@function
_ZN4vllm38concat_and_cache_mla_rope_fused_kernelIN3c108BFloat16ES2_Lb1EthLNS_18Fp8KVCacheDataTypeE1EEEvPKlPT_S7_PKS6_PKT0_illlliPT3_S5_iiiiPKf: ; @_ZN4vllm38concat_and_cache_mla_rope_fused_kernelIN3c108BFloat16ES2_Lb1EthLNS_18Fp8KVCacheDataTypeE1EEEvPKlPT_S7_PKS6_PKT0_illlliPT3_S5_iiiiPKf
; %bb.0:
	s_load_dwordx2 s[6:7], s[0:1], 0x60
	s_mov_b32 s3, 0
	s_lshl_b64 s[4:5], s[2:3], 3
	s_waitcnt lgkmcnt(0)
	s_add_u32 s6, s6, s4
	s_addc_u32 s7, s7, s5
	s_load_dwordx2 s[30:31], s[6:7], 0x0
	s_waitcnt lgkmcnt(0)
	v_cmp_lt_i64_e64 s[6:7], s[30:31], 0
	s_and_b64 vcc, exec, s[6:7]
	s_cbranch_vccnz .LBB88_13
; %bb.1:
	s_load_dword s3, s[0:1], 0x28
	s_load_dwordx2 s[6:7], s[0:1], 0x0
	s_load_dwordx4 s[16:19], s[0:1], 0x10
	s_waitcnt lgkmcnt(0)
	s_ashr_i32 s22, s3, 31
	s_add_u32 s4, s6, s4
	s_addc_u32 s5, s7, s5
	s_load_dwordx2 s[6:7], s[4:5], 0x0
	s_load_dwordx2 s[26:27], s[0:1], 0x20
	s_load_dwordx8 s[8:15], s[0:1], 0x30
	s_load_dwordx2 s[20:21], s[0:1], 0x58
	s_load_dword s25, s[0:1], 0x50
	s_waitcnt lgkmcnt(0)
	s_mul_i32 s4, s6, s22
	s_mul_hi_u32 s5, s6, s3
	s_mul_i32 s7, s7, s3
	s_add_i32 s4, s5, s4
	s_add_i32 s5, s4, s7
	s_mul_i32 s4, s6, s3
	s_lshl_b64 s[28:29], s[4:5], 1
	s_add_u32 s22, s26, s28
	s_addc_u32 s23, s27, s29
	s_lshr_b32 s4, s3, 31
	s_add_i32 s3, s3, s4
	s_ashr_i32 s24, s3, 1
	s_mul_i32 s3, s24, s25
	v_cmp_gt_i32_e32 vcc, s3, v0
	s_and_saveexec_b64 s[34:35], vcc
	s_cbranch_execz .LBB88_4
; %bb.2:
	s_load_dwordx2 s[4:5], s[0:1], 0x8
	s_mul_i32 s6, s2, s9
	s_mul_hi_u32 s7, s2, s8
	s_add_i32 s7, s7, s6
	s_mul_i32 s6, s2, s8
	s_load_dword s8, s[0:1], 0x8c
	s_ashr_i32 s25, s24, 31
	s_lshl_b64 s[6:7], s[6:7], 1
	s_waitcnt lgkmcnt(0)
	s_add_u32 s36, s4, s6
	s_addc_u32 s37, s5, s7
	s_abs_i32 s33, s24
	v_cvt_f32_u32_e32 v1, s33
	s_sub_i32 s4, 0, s33
	s_mov_b64 s[38:39], 0
	s_and_b32 s42, s8, 0xffff
	v_rcp_iflag_f32_e32 v1, v1
	s_sub_i32 s43, 0, s24
	s_lshl_b64 s[40:41], s[24:25], 1
	s_movk_i32 s44, 0x7fff
	v_mul_f32_e32 v1, 0x4f7ffffe, v1
	v_cvt_u32_f32_e32 v1, v1
	v_mov_b32_e32 v3, 0x7fc00000
	v_mov_b32_e32 v4, 0x7fc0
	v_mul_lo_u32 v2, s4, v1
	v_mul_hi_u32 v2, v1, v2
	v_add_u32_e32 v1, v1, v2
	v_mov_b32_e32 v2, v0
.LBB88_3:                               ; =>This Inner Loop Header: Depth=1
	v_sub_u32_e32 v6, 0, v2
	v_max_i32_e32 v6, v2, v6
	v_mul_hi_u32 v7, v6, v1
	v_mul_lo_u32 v8, v7, s33
	v_sub_u32_e32 v6, v6, v8
	v_add_u32_e32 v9, 1, v7
	v_cmp_le_u32_e32 vcc, s33, v6
	v_subrev_u32_e32 v8, s33, v6
	v_ashrrev_i32_e32 v5, 31, v2
	v_cndmask_b32_e32 v7, v7, v9, vcc
	v_cndmask_b32_e32 v6, v6, v8, vcc
	v_add_u32_e32 v8, 1, v7
	v_cmp_le_u32_e32 vcc, s33, v6
	v_xor_b32_e32 v5, s25, v5
	s_nop 0
	v_cndmask_b32_e32 v6, v7, v8, vcc
	v_xor_b32_e32 v6, v6, v5
	v_sub_u32_e32 v5, v6, v5
	v_mad_u64_u32 v[6:7], s[4:5], s43, v5, v[2:3]
	v_ashrrev_i32_e32 v10, 31, v5
	v_ashrrev_i32_e32 v7, 31, v6
	v_mul_lo_u32 v11, v5, s11
	v_mad_u64_u32 v[8:9], s[4:5], v5, s10, 0
	v_mul_lo_u32 v5, v10, s10
	v_lshlrev_b64 v[6:7], 1, v[6:7]
	v_add3_u32 v9, v9, v11, v5
	v_lshl_add_u64 v[10:11], s[22:23], 0, v[6:7]
	v_lshl_add_u64 v[8:9], v[8:9], 1, s[36:37]
	;; [unrolled: 1-line block ×4, first 2 shown]
	global_load_ushort v5, v[12:13], off
	global_load_ushort v14, v[10:11], off
	v_lshl_add_u64 v[8:9], v[6:7], 0, s[40:41]
	global_load_ushort v12, v[6:7], off
	global_load_ushort v13, v[8:9], off
	v_add_u32_e32 v2, s42, v2
	v_cmp_le_i32_e32 vcc, s3, v2
	s_or_b64 s[38:39], vcc, s[38:39]
	s_waitcnt vmcnt(3)
	v_lshlrev_b32_e32 v10, 16, v5
	s_waitcnt vmcnt(2)
	v_lshlrev_b32_e32 v11, 16, v14
	;; [unrolled: 2-line block ×4, first 2 shown]
	v_mov_b32_e32 v14, v11
	v_mov_b32_e32 v15, v10
	v_pk_mul_f32 v[14:15], v[14:15], v[12:13]
	v_pk_mul_f32 v[10:11], v[10:11], v[12:13]
	v_bfe_u32 v5, v14, 16, 1
	v_bfe_u32 v12, v15, 16, 1
	;; [unrolled: 1-line block ×4, first 2 shown]
	v_add3_u32 v12, v15, v12, s44
	v_add3_u32 v5, v14, v5, s44
	;; [unrolled: 1-line block ×4, first 2 shown]
	v_and_b32_e32 v5, 0xffff0000, v5
	v_and_b32_e32 v12, 0xffff0000, v12
	v_cmp_o_f32_e32 vcc, v14, v14
	v_cmp_o_f32_e64 s[8:9], v15, v15
	v_and_b32_e32 v13, 0xffff0000, v13
	v_and_b32_e32 v14, 0xffff0000, v16
	v_cmp_o_f32_e64 s[4:5], v11, v11
	v_cmp_o_f32_e64 s[6:7], v10, v10
	v_cndmask_b32_e64 v10, v3, v12, s[8:9]
	v_cndmask_b32_e32 v5, v3, v5, vcc
	v_cndmask_b32_e64 v11, v3, v14, s[4:5]
	v_cndmask_b32_e64 v12, v3, v13, s[6:7]
	v_sub_f32_e32 v5, v5, v10
	v_add_f32_e32 v10, v12, v11
	v_bfe_u32 v11, v5, 16, 1
	v_bfe_u32 v12, v10, 16, 1
	v_add3_u32 v11, v5, v11, s44
	v_add3_u32 v12, v10, v12, s44
	v_lshrrev_b32_e32 v11, 16, v11
	v_cmp_o_f32_e64 s[4:5], v5, v5
	v_lshrrev_b32_e32 v12, 16, v12
	v_cmp_o_f32_e32 vcc, v10, v10
	v_cndmask_b32_e64 v5, v4, v11, s[4:5]
	s_nop 0
	v_cndmask_b32_e32 v10, v4, v12, vcc
	global_store_short v[6:7], v5, off
	global_store_short v[8:9], v10, off
	s_andn2_b64 exec, exec, s[38:39]
	s_cbranch_execnz .LBB88_3
.LBB88_4:
	s_or_b64 exec, exec, s[34:35]
	s_load_dwordx4 s[8:11], s[0:1], 0x68
	s_waitcnt lgkmcnt(0)
	s_ashr_i32 s7, s11, 31
	s_mov_b32 s6, s11
	s_or_b64 s[4:5], s[30:31], s[6:7]
	s_mov_b32 s4, 0
	s_cmp_lg_u64 s[4:5], 0
	s_cbranch_scc0 .LBB88_14
; %bb.5:
	s_add_u32 s4, s6, s7
	s_mov_b32 s34, s7
	s_mov_b32 s35, s7
	s_addc_u32 s5, s7, s7
	s_xor_b64 s[38:39], s[4:5], s[34:35]
	v_cvt_f32_u32_e32 v1, s38
	v_cvt_f32_u32_e32 v2, s39
	s_sub_u32 s3, 0, s38
	s_subb_u32 s4, 0, s39
	v_fmamk_f32 v1, v2, 0x4f800000, v1
	v_rcp_f32_e32 v1, v1
	s_nop 0
	v_mul_f32_e32 v1, 0x5f7ffffc, v1
	v_mul_f32_e32 v2, 0x2f800000, v1
	v_trunc_f32_e32 v2, v2
	v_fmamk_f32 v1, v2, 0xcf800000, v1
	v_cvt_u32_f32_e32 v2, v2
	v_cvt_u32_f32_e32 v1, v1
	v_readfirstlane_b32 s5, v2
	v_readfirstlane_b32 s11, v1
	s_mul_i32 s25, s3, s5
	s_mul_hi_u32 s40, s3, s11
	s_mul_i32 s33, s4, s11
	s_add_i32 s25, s40, s25
	s_add_i32 s25, s25, s33
	s_mul_i32 s41, s3, s11
	s_mul_hi_u32 s33, s11, s25
	s_mul_i32 s40, s11, s25
	s_mul_hi_u32 s11, s11, s41
	s_add_u32 s11, s11, s40
	s_addc_u32 s33, 0, s33
	s_mul_hi_u32 s42, s5, s41
	s_mul_i32 s41, s5, s41
	s_add_u32 s11, s11, s41
	s_mul_hi_u32 s40, s5, s25
	s_addc_u32 s11, s33, s42
	s_addc_u32 s33, s40, 0
	s_mul_i32 s25, s5, s25
	s_add_u32 s11, s11, s25
	s_addc_u32 s25, 0, s33
	v_add_co_u32_e32 v1, vcc, s11, v1
	s_cmp_lg_u64 vcc, 0
	s_addc_u32 s5, s5, s25
	v_readfirstlane_b32 s25, v1
	s_mul_i32 s11, s3, s5
	s_mul_hi_u32 s33, s3, s25
	s_add_i32 s11, s33, s11
	s_mul_i32 s4, s4, s25
	s_add_i32 s11, s11, s4
	s_mul_i32 s3, s3, s25
	s_mul_hi_u32 s33, s5, s3
	s_mul_i32 s40, s5, s3
	s_mul_i32 s42, s25, s11
	s_mul_hi_u32 s3, s25, s3
	s_mul_hi_u32 s41, s25, s11
	s_add_u32 s3, s3, s42
	s_addc_u32 s25, 0, s41
	s_add_u32 s3, s3, s40
	s_mul_hi_u32 s4, s5, s11
	s_addc_u32 s3, s25, s33
	s_addc_u32 s4, s4, 0
	s_mul_i32 s11, s5, s11
	s_add_u32 s3, s3, s11
	s_addc_u32 s4, 0, s4
	v_add_co_u32_e32 v1, vcc, s3, v1
	s_cmp_lg_u64 vcc, 0
	s_addc_u32 s3, s5, s4
	s_ashr_i32 s40, s31, 31
	s_add_u32 s4, s30, s40
	s_mov_b32 s41, s40
	s_addc_u32 s5, s31, s40
	s_xor_b64 s[42:43], s[4:5], s[40:41]
	v_readfirstlane_b32 s11, v1
	s_mul_i32 s5, s42, s3
	s_mul_hi_u32 s25, s42, s11
	s_mul_hi_u32 s4, s42, s3
	s_add_u32 s5, s25, s5
	s_addc_u32 s4, 0, s4
	s_mul_hi_u32 s33, s43, s11
	s_mul_i32 s11, s43, s11
	s_add_u32 s5, s5, s11
	s_mul_hi_u32 s25, s43, s3
	s_addc_u32 s4, s4, s33
	s_addc_u32 s5, s25, 0
	s_mul_i32 s3, s43, s3
	s_add_u32 s3, s4, s3
	s_addc_u32 s11, 0, s5
	s_mul_i32 s4, s38, s11
	s_mul_hi_u32 s5, s38, s3
	s_add_i32 s4, s5, s4
	s_mul_i32 s5, s39, s3
	s_add_i32 s25, s4, s5
	s_mul_i32 s5, s38, s3
	v_mov_b32_e32 v1, s5
	s_sub_i32 s4, s43, s25
	v_sub_co_u32_e32 v1, vcc, s42, v1
	s_cmp_lg_u64 vcc, 0
	s_subb_u32 s33, s4, s39
	v_subrev_co_u32_e64 v2, s[4:5], s38, v1
	s_cmp_lg_u64 s[4:5], 0
	s_subb_u32 s4, s33, 0
	s_cmp_ge_u32 s4, s39
	v_readfirstlane_b32 s33, v2
	s_cselect_b32 s5, -1, 0
	s_cmp_ge_u32 s33, s38
	s_cselect_b32 s33, -1, 0
	s_cmp_eq_u32 s4, s39
	s_cselect_b32 s4, s33, s5
	s_add_u32 s5, s3, 1
	s_addc_u32 s33, s11, 0
	s_add_u32 s42, s3, 2
	s_addc_u32 s44, s11, 0
	s_cmp_lg_u32 s4, 0
	s_cselect_b32 s4, s42, s5
	s_cselect_b32 s5, s44, s33
	s_cmp_lg_u64 vcc, 0
	s_subb_u32 s25, s43, s25
	s_cmp_ge_u32 s25, s39
	v_readfirstlane_b32 s42, v1
	s_cselect_b32 s33, -1, 0
	s_cmp_ge_u32 s42, s38
	s_cselect_b32 s38, -1, 0
	s_cmp_eq_u32 s25, s39
	s_cselect_b32 s25, s38, s33
	s_cmp_lg_u32 s25, 0
	s_cselect_b32 s5, s5, s11
	s_cselect_b32 s4, s4, s3
	s_xor_b64 s[34:35], s[40:41], s[34:35]
	s_xor_b64 s[4:5], s[4:5], s[34:35]
	s_sub_u32 s34, s4, s34
	s_subb_u32 s35, s5, s35
	s_cbranch_execnz .LBB88_7
.LBB88_6:
	v_cvt_f32_u32_e32 v1, s6
	s_sub_i32 s3, 0, s6
	s_mov_b32 s35, 0
	v_rcp_iflag_f32_e32 v1, v1
	s_nop 0
	v_mul_f32_e32 v1, 0x4f7ffffe, v1
	v_cvt_u32_f32_e32 v1, v1
	s_nop 0
	v_readfirstlane_b32 s4, v1
	s_mul_i32 s3, s3, s4
	s_mul_hi_u32 s3, s4, s3
	s_add_i32 s4, s4, s3
	s_mul_hi_u32 s3, s30, s4
	s_mul_i32 s5, s3, s6
	s_sub_i32 s5, s30, s5
	s_add_i32 s4, s3, 1
	s_sub_i32 s11, s5, s6
	s_cmp_ge_u32 s5, s6
	s_cselect_b32 s3, s4, s3
	s_cselect_b32 s5, s11, s5
	s_add_i32 s4, s3, 1
	s_cmp_ge_u32 s5, s6
	s_cselect_b32 s34, s4, s3
.LBB88_7:
	s_mul_i32 s3, s34, s7
	s_mul_hi_u32 s4, s34, s6
	s_load_dwordx2 s[36:37], s[0:1], 0x78
	s_add_i32 s3, s4, s3
	s_mul_i32 s4, s35, s6
	s_add_i32 s3, s3, s4
	s_mul_i32 s4, s34, s6
	s_sub_u32 s40, s30, s4
	s_subb_u32 s11, s31, s3
	v_cmp_gt_i32_e32 vcc, s24, v0
	s_mul_hi_u32 s41, s34, s8
	s_mul_i32 s42, s35, s8
	s_mul_i32 s43, s34, s8
	s_mul_hi_u32 s35, s40, s9
	s_mul_i32 s11, s11, s9
	s_mul_i32 s33, s40, s9
	s_and_saveexec_b64 s[30:31], vcc
	s_cbranch_execz .LBB88_10
; %bb.8:
	s_mul_i32 s3, s2, s13
	s_mul_hi_u32 s4, s2, s12
	s_add_i32 s5, s4, s3
	s_mul_i32 s4, s2, s12
	s_ashr_i32 s25, s24, 31
	s_lshl_b64 s[4:5], s[4:5], 1
	s_add_u32 s12, s16, s4
	s_addc_u32 s13, s17, s5
	s_ashr_i32 s3, s8, 31
	s_load_dword s6, s[0:1], 0x8c
	s_mul_i32 s3, s34, s3
	s_add_i32 s3, s41, s3
	s_add_i32 s45, s3, s42
	s_ashr_i32 s3, s9, 31
	s_mul_i32 s3, s40, s3
	s_add_i32 s3, s35, s3
	s_waitcnt lgkmcnt(0)
	s_and_b32 s38, s6, 0xffff
	s_add_i32 s46, s3, s11
	s_ashr_i32 s47, s10, 31
	s_lshl_b32 s44, s38, 1
	s_lshl_b64 s[6:7], s[24:25], 1
	s_add_u32 s28, s28, s6
	s_addc_u32 s29, s29, s7
	s_add_u32 s26, s26, s28
	s_addc_u32 s27, s27, s29
	;; [unrolled: 2-line block ×5, first 2 shown]
	s_load_dword s3, s[36:37], 0x0
	s_add_u32 s4, s4, s10
	s_addc_u32 s5, s5, s47
	s_add_u32 s4, s20, s4
	v_mov_b32_e32 v1, 0
	s_addc_u32 s5, s21, s5
	s_mov_b32 s39, 0
	v_lshlrev_b32_e32 v2, 1, v0
	v_mov_b32_e32 v3, v1
	v_lshl_add_u64 v[4:5], s[4:5], 0, v[0:1]
	s_mov_b64 s[28:29], 0
	s_movk_i32 s45, 0x7fff
	v_mov_b32_e32 v1, 0x7fc00000
	v_mov_b32_e32 v10, 0x7fc0
	s_mov_b32 s46, 0x7f800000
	s_mov_b32 s47, 0x43700000
	v_mov_b32_e32 v11, 0xc3700000
	v_mov_b32_e32 v12, v0
.LBB88_9:                               ; =>This Inner Loop Header: Depth=1
	v_lshl_add_u64 v[6:7], s[16:17], 0, v[2:3]
	v_lshl_add_u64 v[14:15], s[22:23], 0, v[2:3]
	;; [unrolled: 1-line block ×4, first 2 shown]
	global_load_ushort v13, v[6:7], off
	global_load_ushort v18, v[16:17], off
	;; [unrolled: 1-line block ×4, first 2 shown]
	s_add_u32 s22, s22, s44
	s_addc_u32 s23, s23, 0
	s_add_u32 s26, s26, s44
	s_addc_u32 s27, s27, 0
	;; [unrolled: 2-line block ×3, first 2 shown]
	v_add_u32_e32 v12, s38, v12
	s_add_u32 s12, s12, s44
	v_cmp_le_i32_e32 vcc, s24, v12
	s_addc_u32 s13, s13, 0
	s_or_b64 s[28:29], vcc, s[28:29]
	v_mov_b32_e32 v22, 0
	v_mov_b32_e32 v23, 0
	v_lshl_add_u64 v[14:15], v[4:5], 0, s[24:25]
	s_waitcnt vmcnt(3)
	v_lshlrev_b32_e32 v17, 16, v13
	s_waitcnt vmcnt(2)
	v_lshlrev_b32_e32 v18, 16, v18
	;; [unrolled: 2-line block ×4, first 2 shown]
	v_mov_b32_e32 v20, v19
	v_mov_b32_e32 v21, v18
	v_pk_mul_f32 v[18:19], v[18:19], v[16:17]
	v_pk_mul_f32 v[16:17], v[20:21], v[16:17]
	v_bfe_u32 v13, v18, 16, 1
	v_bfe_u32 v20, v19, 16, 1
	;; [unrolled: 1-line block ×4, first 2 shown]
	v_add3_u32 v20, v19, v20, s45
	v_add3_u32 v13, v18, v13, s45
	;; [unrolled: 1-line block ×4, first 2 shown]
	v_and_b32_e32 v13, 0xffff0000, v13
	v_and_b32_e32 v20, 0xffff0000, v20
	v_cmp_o_f32_e32 vcc, v18, v18
	v_cmp_o_f32_e64 s[4:5], v19, v19
	v_and_b32_e32 v18, 0xffff0000, v21
	v_and_b32_e32 v19, 0xffff0000, v24
	v_cmp_o_f32_e64 s[6:7], v16, v16
	v_cndmask_b32_e64 v16, v1, v20, s[4:5]
	v_cndmask_b32_e32 v13, v1, v13, vcc
	v_cmp_o_f32_e32 vcc, v17, v17
	v_cndmask_b32_e64 v18, v1, v18, s[6:7]
	v_add_f32_e32 v13, v13, v16
	v_cndmask_b32_e32 v17, v1, v19, vcc
	v_sub_f32_e32 v16, v18, v17
	v_bfe_u32 v17, v13, 16, 1
	v_bfe_u32 v18, v16, 16, 1
	v_add3_u32 v17, v13, v17, s45
	v_add3_u32 v18, v16, v18, s45
	v_lshrrev_b32_e32 v17, 16, v17
	v_cmp_o_f32_e32 vcc, v13, v13
	v_lshrrev_b32_e32 v13, 16, v18
	s_nop 0
	v_cndmask_b32_e32 v17, v10, v17, vcc
	v_cmp_o_f32_e32 vcc, v16, v16
	v_cvt_f32_f16_e32 v16, v17
	s_nop 0
	v_cndmask_b32_e32 v13, v10, v13, vcc
	global_store_short v[8:9], v13, off
	v_cvt_f32_f16_e32 v8, v13
	s_waitcnt lgkmcnt(0)
	v_div_scale_f32 v9, s[4:5], s3, s3, v16
	v_rcp_f32_e32 v20, v9
	v_div_scale_f32 v18, s[6:7], s3, s3, v8
	v_rcp_f32_e32 v21, v18
	v_fma_f32 v24, -v9, v20, 1.0
	v_div_scale_f32 v13, s[4:5], v16, s3, v16
	v_fma_f32 v25, -v18, v21, 1.0
	v_div_scale_f32 v19, vcc, v8, s3, v8
	v_fmac_f32_e32 v20, v24, v20
	v_fmac_f32_e32 v21, v25, v21
	v_mul_f32_e32 v24, v13, v20
	v_mul_f32_e32 v25, v19, v21
	v_fma_f32 v26, -v9, v24, v13
	v_fma_f32 v27, -v18, v25, v19
	v_fmac_f32_e32 v24, v26, v20
	v_fmac_f32_e32 v25, v27, v21
	v_fma_f32 v9, -v9, v24, v13
	v_fma_f32 v13, -v18, v25, v19
	v_div_fmas_f32 v13, v13, v21, v25
	s_mov_b64 vcc, s[4:5]
	v_div_fixup_f32 v8, v13, s3, v8
	v_div_fmas_f32 v9, v9, v20, v24
	v_cvt_f16_f32_e32 v8, v8
	v_div_fixup_f32 v9, v9, s3, v16
	v_cvt_f16_f32_e32 v9, v9
	v_cvt_f32_f16_e32 v8, v8
	v_cvt_f32_f16_e32 v9, v9
	v_med3_f32 v13, v8, s47, v11
	v_cmp_nlg_f32_e64 vcc, |v8|, s46
	s_nop 1
	v_cndmask_b32_e32 v8, v13, v8, vcc
	v_med3_f32 v13, v9, s47, v11
	v_cmp_nlg_f32_e64 vcc, |v9|, s46
	v_cvt_pk_fp8_f32 v22, v8, v8
	global_store_short v[6:7], v17, off
	global_store_byte v[4:5], v22, off
	v_cndmask_b32_e32 v8, v13, v9, vcc
	v_cvt_pk_fp8_f32 v23, v8, v8
	v_lshl_add_u64 v[4:5], v[4:5], 0, s[38:39]
	global_store_byte v[14:15], v23, off
	s_andn2_b64 exec, exec, s[28:29]
	s_cbranch_execnz .LBB88_9
.LBB88_10:
	s_or_b64 exec, exec, s[30:31]
	v_cmp_gt_i32_e32 vcc, s10, v0
	s_and_saveexec_b64 s[4:5], vcc
	s_cbranch_execz .LBB88_13
; %bb.11:
	s_mul_i32 s3, s2, s15
	s_mul_hi_u32 s4, s2, s14
	s_add_i32 s3, s4, s3
	s_mul_i32 s2, s2, s14
	s_lshl_b64 s[2:3], s[2:3], 1
	s_add_u32 s2, s18, s2
	s_addc_u32 s3, s19, s3
	s_ashr_i32 s4, s8, 31
	s_mul_i32 s4, s34, s4
	s_add_i32 s4, s41, s4
	s_add_i32 s4, s4, s42
	s_add_u32 s5, s20, s43
	s_addc_u32 s4, s21, s4
	s_ashr_i32 s6, s9, 31
	s_mul_i32 s40, s40, s6
	s_add_i32 s6, s35, s40
	s_add_i32 s6, s6, s11
	s_load_dword s7, s[0:1], 0x8c
	s_add_u32 s0, s5, s33
	s_addc_u32 s1, s4, s6
	s_waitcnt lgkmcnt(0)
	s_load_dword s6, s[36:37], 0x0
	s_mov_b64 s[4:5], 0
	s_and_b32 s7, s7, 0xffff
	s_mov_b32 s8, 0x7f800000
	s_mov_b32 s9, 0x43700000
	v_mov_b32_e32 v2, 0xc3700000
.LBB88_12:                              ; =>This Inner Loop Header: Depth=1
	v_ashrrev_i32_e32 v1, 31, v0
	v_lshl_add_u64 v[4:5], v[0:1], 1, s[2:3]
	global_load_ushort v3, v[4:5], off
	s_waitcnt vmcnt(0)
	v_cvt_f32_f16_e32 v3, v3
	s_waitcnt lgkmcnt(0)
	v_div_scale_f32 v4, s[12:13], s6, s6, v3
	v_rcp_f32_e32 v5, v4
	v_div_scale_f32 v6, vcc, v3, s6, v3
	v_fma_f32 v7, -v4, v5, 1.0
	v_fmac_f32_e32 v5, v7, v5
	v_mul_f32_e32 v7, v6, v5
	v_fma_f32 v8, -v4, v7, v6
	v_fmac_f32_e32 v7, v8, v5
	v_fma_f32 v4, -v4, v7, v6
	v_div_fmas_f32 v4, v4, v5, v7
	v_div_fixup_f32 v3, v4, s6, v3
	v_cvt_f16_f32_e32 v3, v3
	v_mov_b32_e32 v6, 0
	v_cvt_f32_f16_e32 v3, v3
	v_med3_f32 v4, v3, s9, v2
	v_cmp_nlg_f32_e64 vcc, |v3|, s8
	s_nop 1
	v_cndmask_b32_e32 v3, v4, v3, vcc
	v_cvt_pk_fp8_f32 v6, v3, v3
	v_lshl_add_u64 v[4:5], s[0:1], 0, v[0:1]
	v_add_u32_e32 v0, s7, v0
	v_cmp_le_i32_e32 vcc, s10, v0
	s_or_b64 s[4:5], vcc, s[4:5]
	global_store_byte v[4:5], v6, off
	s_andn2_b64 exec, exec, s[4:5]
	s_cbranch_execnz .LBB88_12
.LBB88_13:
	s_endpgm
.LBB88_14:
                                        ; implicit-def: $sgpr34_sgpr35
	s_branch .LBB88_6
	.section	.rodata,"a",@progbits
	.p2align	6, 0x0
	.amdhsa_kernel _ZN4vllm38concat_and_cache_mla_rope_fused_kernelIN3c108BFloat16ES2_Lb1EthLNS_18Fp8KVCacheDataTypeE1EEEvPKlPT_S7_PKS6_PKT0_illlliPT3_S5_iiiiPKf
		.amdhsa_group_segment_fixed_size 0
		.amdhsa_private_segment_fixed_size 0
		.amdhsa_kernarg_size 384
		.amdhsa_user_sgpr_count 2
		.amdhsa_user_sgpr_dispatch_ptr 0
		.amdhsa_user_sgpr_queue_ptr 0
		.amdhsa_user_sgpr_kernarg_segment_ptr 1
		.amdhsa_user_sgpr_dispatch_id 0
		.amdhsa_user_sgpr_kernarg_preload_length 0
		.amdhsa_user_sgpr_kernarg_preload_offset 0
		.amdhsa_user_sgpr_private_segment_size 0
		.amdhsa_uses_dynamic_stack 0
		.amdhsa_enable_private_segment 0
		.amdhsa_system_sgpr_workgroup_id_x 1
		.amdhsa_system_sgpr_workgroup_id_y 0
		.amdhsa_system_sgpr_workgroup_id_z 0
		.amdhsa_system_sgpr_workgroup_info 0
		.amdhsa_system_vgpr_workitem_id 0
		.amdhsa_next_free_vgpr 28
		.amdhsa_next_free_sgpr 48
		.amdhsa_accum_offset 28
		.amdhsa_reserve_vcc 1
		.amdhsa_float_round_mode_32 0
		.amdhsa_float_round_mode_16_64 0
		.amdhsa_float_denorm_mode_32 3
		.amdhsa_float_denorm_mode_16_64 3
		.amdhsa_dx10_clamp 1
		.amdhsa_ieee_mode 1
		.amdhsa_fp16_overflow 0
		.amdhsa_tg_split 0
		.amdhsa_exception_fp_ieee_invalid_op 0
		.amdhsa_exception_fp_denorm_src 0
		.amdhsa_exception_fp_ieee_div_zero 0
		.amdhsa_exception_fp_ieee_overflow 0
		.amdhsa_exception_fp_ieee_underflow 0
		.amdhsa_exception_fp_ieee_inexact 0
		.amdhsa_exception_int_div_zero 0
	.end_amdhsa_kernel
	.section	.text._ZN4vllm38concat_and_cache_mla_rope_fused_kernelIN3c108BFloat16ES2_Lb1EthLNS_18Fp8KVCacheDataTypeE1EEEvPKlPT_S7_PKS6_PKT0_illlliPT3_S5_iiiiPKf,"axG",@progbits,_ZN4vllm38concat_and_cache_mla_rope_fused_kernelIN3c108BFloat16ES2_Lb1EthLNS_18Fp8KVCacheDataTypeE1EEEvPKlPT_S7_PKS6_PKT0_illlliPT3_S5_iiiiPKf,comdat
.Lfunc_end88:
	.size	_ZN4vllm38concat_and_cache_mla_rope_fused_kernelIN3c108BFloat16ES2_Lb1EthLNS_18Fp8KVCacheDataTypeE1EEEvPKlPT_S7_PKS6_PKT0_illlliPT3_S5_iiiiPKf, .Lfunc_end88-_ZN4vllm38concat_and_cache_mla_rope_fused_kernelIN3c108BFloat16ES2_Lb1EthLNS_18Fp8KVCacheDataTypeE1EEEvPKlPT_S7_PKS6_PKT0_illlliPT3_S5_iiiiPKf
                                        ; -- End function
	.section	.AMDGPU.csdata,"",@progbits
; Kernel info:
; codeLenInByte = 2892
; NumSgprs: 54
; NumVgprs: 28
; NumAgprs: 0
; TotalNumVgprs: 28
; ScratchSize: 0
; MemoryBound: 0
; FloatMode: 240
; IeeeMode: 1
; LDSByteSize: 0 bytes/workgroup (compile time only)
; SGPRBlocks: 6
; VGPRBlocks: 3
; NumSGPRsForWavesPerEU: 54
; NumVGPRsForWavesPerEU: 28
; AccumOffset: 28
; Occupancy: 8
; WaveLimiterHint : 1
; COMPUTE_PGM_RSRC2:SCRATCH_EN: 0
; COMPUTE_PGM_RSRC2:USER_SGPR: 2
; COMPUTE_PGM_RSRC2:TRAP_HANDLER: 0
; COMPUTE_PGM_RSRC2:TGID_X_EN: 1
; COMPUTE_PGM_RSRC2:TGID_Y_EN: 0
; COMPUTE_PGM_RSRC2:TGID_Z_EN: 0
; COMPUTE_PGM_RSRC2:TIDIG_COMP_CNT: 0
; COMPUTE_PGM_RSRC3_GFX90A:ACCUM_OFFSET: 6
; COMPUTE_PGM_RSRC3_GFX90A:TG_SPLIT: 0
	.section	.text._ZN4vllm38concat_and_cache_mla_rope_fused_kernelIN3c108BFloat16ES2_Lb0EthLNS_18Fp8KVCacheDataTypeE1EEEvPKlPT_S7_PKS6_PKT0_illlliPT3_S5_iiiiPKf,"axG",@progbits,_ZN4vllm38concat_and_cache_mla_rope_fused_kernelIN3c108BFloat16ES2_Lb0EthLNS_18Fp8KVCacheDataTypeE1EEEvPKlPT_S7_PKS6_PKT0_illlliPT3_S5_iiiiPKf,comdat
	.protected	_ZN4vllm38concat_and_cache_mla_rope_fused_kernelIN3c108BFloat16ES2_Lb0EthLNS_18Fp8KVCacheDataTypeE1EEEvPKlPT_S7_PKS6_PKT0_illlliPT3_S5_iiiiPKf ; -- Begin function _ZN4vllm38concat_and_cache_mla_rope_fused_kernelIN3c108BFloat16ES2_Lb0EthLNS_18Fp8KVCacheDataTypeE1EEEvPKlPT_S7_PKS6_PKT0_illlliPT3_S5_iiiiPKf
	.globl	_ZN4vllm38concat_and_cache_mla_rope_fused_kernelIN3c108BFloat16ES2_Lb0EthLNS_18Fp8KVCacheDataTypeE1EEEvPKlPT_S7_PKS6_PKT0_illlliPT3_S5_iiiiPKf
	.p2align	8
	.type	_ZN4vllm38concat_and_cache_mla_rope_fused_kernelIN3c108BFloat16ES2_Lb0EthLNS_18Fp8KVCacheDataTypeE1EEEvPKlPT_S7_PKS6_PKT0_illlliPT3_S5_iiiiPKf,@function
_ZN4vllm38concat_and_cache_mla_rope_fused_kernelIN3c108BFloat16ES2_Lb0EthLNS_18Fp8KVCacheDataTypeE1EEEvPKlPT_S7_PKS6_PKT0_illlliPT3_S5_iiiiPKf: ; @_ZN4vllm38concat_and_cache_mla_rope_fused_kernelIN3c108BFloat16ES2_Lb0EthLNS_18Fp8KVCacheDataTypeE1EEEvPKlPT_S7_PKS6_PKT0_illlliPT3_S5_iiiiPKf
; %bb.0:
	s_load_dwordx2 s[6:7], s[0:1], 0x60
	s_mov_b32 s3, 0
	s_lshl_b64 s[4:5], s[2:3], 3
	s_waitcnt lgkmcnt(0)
	s_add_u32 s6, s6, s4
	s_addc_u32 s7, s7, s5
	s_load_dwordx2 s[26:27], s[6:7], 0x0
	s_waitcnt lgkmcnt(0)
	v_cmp_lt_i64_e64 s[6:7], s[26:27], 0
	s_and_b64 vcc, exec, s[6:7]
	s_cbranch_vccnz .LBB89_13
; %bb.1:
	s_load_dword s3, s[0:1], 0x28
	s_load_dwordx2 s[6:7], s[0:1], 0x0
	s_load_dwordx4 s[12:15], s[0:1], 0x10
	v_lshlrev_b32_e32 v2, 1, v0
	s_waitcnt lgkmcnt(0)
	s_ashr_i32 s22, s3, 31
	s_add_u32 s16, s6, s4
	s_addc_u32 s17, s7, s5
	s_load_dwordx2 s[18:19], s[16:17], 0x0
	s_load_dwordx2 s[24:25], s[0:1], 0x20
	s_load_dwordx8 s[4:11], s[0:1], 0x30
	s_load_dwordx2 s[20:21], s[0:1], 0x58
	s_load_dword s23, s[0:1], 0x50
	s_waitcnt lgkmcnt(0)
	s_mul_i32 s16, s18, s22
	s_mul_hi_u32 s17, s18, s3
	s_mul_i32 s19, s19, s3
	s_add_i32 s16, s17, s16
	s_add_i32 s29, s16, s19
	s_lshr_b32 s16, s3, 31
	s_mul_i32 s28, s18, s3
	s_add_i32 s3, s3, s16
	s_ashr_i32 s22, s3, 1
	s_mul_i32 s3, s22, s23
	v_cmp_gt_i32_e32 vcc, s3, v0
	s_and_saveexec_b64 s[16:17], vcc
	s_cbranch_execz .LBB89_4
; %bb.2:
	s_load_dwordx2 s[30:31], s[0:1], 0x8
	s_load_dword s34, s[0:1], 0x8c
	s_lshl_b64 s[18:19], s[28:29], 1
	s_add_u32 s18, s24, s18
	s_mul_i32 s5, s2, s5
	s_mul_hi_u32 s33, s2, s4
	s_addc_u32 s19, s25, s19
	s_add_i32 s5, s33, s5
	s_mul_i32 s4, s2, s4
	s_ashr_i32 s23, s22, 31
	s_lshl_b64 s[4:5], s[4:5], 1
	s_waitcnt lgkmcnt(0)
	s_add_u32 s30, s30, s4
	s_addc_u32 s31, s31, s5
	s_abs_i32 s33, s22
	v_cvt_f32_u32_e32 v1, s33
	s_sub_i32 s4, 0, s33
	s_and_b32 s36, s34, 0xffff
	s_sub_i32 s37, 0, s22
	v_rcp_iflag_f32_e32 v1, v1
	s_lshl_b32 s39, s36, 1
	s_mov_b64 s[34:35], 0
	s_movk_i32 s40, 0x7fff
	v_mul_f32_e32 v1, 0x4f7ffffe, v1
	v_cvt_u32_f32_e32 v1, v1
	v_mov_b32_e32 v5, 0x7fc0
	s_mov_b32 s41, 0x5040100
	v_mov_b32_e32 v4, v2
	v_mul_lo_u32 v3, s4, v1
	v_mul_hi_u32 v3, v1, v3
	s_lshl_b32 s4, s22, 1
	v_add_u32_e32 v1, v1, v3
	s_sub_i32 s38, 0, s4
	v_mov_b32_e32 v3, 0x7fc00000
	v_mov_b32_e32 v6, v0
.LBB89_3:                               ; =>This Inner Loop Header: Depth=1
	v_sub_u32_e32 v8, 0, v6
	v_max_i32_e32 v8, v6, v8
	v_mul_hi_u32 v9, v8, v1
	v_mul_lo_u32 v10, v9, s33
	v_sub_u32_e32 v8, v8, v10
	v_add_u32_e32 v11, 1, v9
	v_cmp_le_u32_e32 vcc, s33, v8
	v_subrev_u32_e32 v10, s33, v8
	v_ashrrev_i32_e32 v7, 31, v6
	v_cndmask_b32_e32 v9, v9, v11, vcc
	v_cndmask_b32_e32 v8, v8, v10, vcc
	v_add_u32_e32 v10, 1, v9
	v_cmp_le_u32_e32 vcc, s33, v8
	v_xor_b32_e32 v7, s23, v7
	s_nop 0
	v_cndmask_b32_e32 v8, v9, v10, vcc
	v_xor_b32_e32 v8, v8, v7
	v_sub_u32_e32 v7, v8, v7
	v_ashrrev_i32_e32 v14, 31, v7
	v_mad_u64_u32 v[8:9], s[4:5], s37, v7, v[6:7]
	v_mul_lo_u32 v15, v7, s7
	v_mad_u64_u32 v[10:11], s[4:5], v7, s6, 0
	v_mad_u64_u32 v[12:13], s[4:5], s38, v7, v[4:5]
	v_mul_lo_u32 v7, v14, s6
	v_ashrrev_i32_e32 v9, 31, v8
	v_add3_u32 v11, v11, v15, v7
	v_ashrrev_i32_e32 v13, 31, v12
	v_lshl_add_u64 v[8:9], v[8:9], 1, s[18:19]
	v_lshl_add_u64 v[10:11], v[10:11], 1, s[30:31]
	v_lshl_add_u64 v[14:15], s[22:23], 1, v[8:9]
	global_load_ushort v7, v[8:9], off
	global_load_ushort v16, v[14:15], off
	v_lshl_add_u64 v[8:9], v[12:13], 1, v[10:11]
	global_load_dword v10, v[8:9], off
	v_add_u32_e32 v6, s36, v6
	v_cmp_le_i32_e32 vcc, s3, v6
	s_or_b64 s[34:35], vcc, s[34:35]
	v_add_u32_e32 v4, s39, v4
	s_waitcnt vmcnt(2)
	v_lshlrev_b32_e32 v11, 16, v7
	s_waitcnt vmcnt(1)
	v_lshlrev_b32_e32 v13, 16, v16
	v_mov_b32_e32 v14, v11
	s_waitcnt vmcnt(0)
	v_and_b32_e32 v16, 0xffff0000, v10
	v_lshlrev_b32_e32 v12, 16, v10
	v_mov_b32_e32 v10, v13
	v_pk_mul_f32 v[10:11], v[10:11], v[16:17] op_sel_hi:[1,0]
	v_mov_b32_e32 v15, v12
	v_bfe_u32 v7, v10, 16, 1
	v_bfe_u32 v16, v11, 16, 1
	v_pk_mul_f32 v[12:13], v[14:15], v[12:13]
	v_add3_u32 v14, v11, v16, s40
	v_add3_u32 v7, v10, v7, s40
	v_bfe_u32 v15, v12, 16, 1
	v_bfe_u32 v16, v13, 16, 1
	v_and_b32_e32 v7, 0xffff0000, v7
	v_and_b32_e32 v14, 0xffff0000, v14
	v_add3_u32 v16, v13, v16, s40
	v_add3_u32 v15, v12, v15, s40
	v_cmp_o_f32_e32 vcc, v10, v10
	v_cmp_o_f32_e64 s[4:5], v11, v11
	v_and_b32_e32 v15, 0xffff0000, v15
	v_and_b32_e32 v16, 0xffff0000, v16
	v_cndmask_b32_e64 v11, v3, v14, s[4:5]
	v_cndmask_b32_e32 v10, v3, v7, vcc
	v_cmp_o_f32_e32 vcc, v12, v12
	v_cmp_o_f32_e64 s[4:5], v13, v13
	s_nop 0
	v_cndmask_b32_e32 v12, v3, v15, vcc
	v_cndmask_b32_e64 v13, v3, v16, s[4:5]
	v_pk_add_f32 v[14:15], v[12:13], v[10:11] neg_lo:[0,1] neg_hi:[0,1]
	v_pk_add_f32 v[10:11], v[12:13], v[10:11]
	v_bfe_u32 v7, v14, 16, 1
	v_bfe_u32 v10, v11, 16, 1
	v_add3_u32 v10, v11, v10, s40
	v_add3_u32 v7, v14, v7, s40
	v_lshrrev_b32_e32 v7, 16, v7
	v_lshrrev_b32_e32 v10, 16, v10
	v_cmp_o_f32_e32 vcc, v11, v11
	v_cmp_o_f32_e64 s[4:5], v14, v14
	s_nop 0
	v_cndmask_b32_e32 v10, v5, v10, vcc
	v_cndmask_b32_e64 v7, v5, v7, s[4:5]
	v_perm_b32 v7, v10, v7, s41
	global_store_dword v[8:9], v7, off
	s_andn2_b64 exec, exec, s[34:35]
	s_cbranch_execnz .LBB89_3
.LBB89_4:
	s_or_b64 exec, exec, s[16:17]
	s_load_dwordx4 s[16:19], s[0:1], 0x68
	s_waitcnt lgkmcnt(0)
	s_ashr_i32 s7, s19, 31
	s_mov_b32 s6, s19
	s_or_b64 s[4:5], s[26:27], s[6:7]
	s_mov_b32 s4, 0
	s_cmp_lg_u64 s[4:5], 0
	s_cbranch_scc0 .LBB89_14
; %bb.5:
	s_add_u32 s4, s6, s7
	s_mov_b32 s30, s7
	s_mov_b32 s31, s7
	s_addc_u32 s5, s7, s7
	s_xor_b64 s[36:37], s[4:5], s[30:31]
	v_cvt_f32_u32_e32 v1, s36
	v_cvt_f32_u32_e32 v3, s37
	s_sub_u32 s3, 0, s36
	s_subb_u32 s4, 0, s37
	v_fmamk_f32 v1, v3, 0x4f800000, v1
	v_rcp_f32_e32 v1, v1
	s_nop 0
	v_mul_f32_e32 v1, 0x5f7ffffc, v1
	v_mul_f32_e32 v3, 0x2f800000, v1
	v_trunc_f32_e32 v3, v3
	v_fmamk_f32 v1, v3, 0xcf800000, v1
	v_cvt_u32_f32_e32 v3, v3
	v_cvt_u32_f32_e32 v1, v1
	v_readfirstlane_b32 s5, v3
	v_readfirstlane_b32 s19, v1
	s_mul_i32 s23, s3, s5
	s_mul_hi_u32 s38, s3, s19
	s_mul_i32 s33, s4, s19
	s_add_i32 s23, s38, s23
	s_add_i32 s23, s23, s33
	s_mul_i32 s39, s3, s19
	s_mul_hi_u32 s33, s19, s23
	s_mul_i32 s38, s19, s23
	s_mul_hi_u32 s19, s19, s39
	s_add_u32 s19, s19, s38
	s_addc_u32 s33, 0, s33
	s_mul_hi_u32 s40, s5, s39
	s_mul_i32 s39, s5, s39
	s_add_u32 s19, s19, s39
	s_mul_hi_u32 s38, s5, s23
	s_addc_u32 s19, s33, s40
	s_addc_u32 s33, s38, 0
	s_mul_i32 s23, s5, s23
	s_add_u32 s19, s19, s23
	s_addc_u32 s23, 0, s33
	v_add_co_u32_e32 v1, vcc, s19, v1
	s_cmp_lg_u64 vcc, 0
	s_addc_u32 s5, s5, s23
	v_readfirstlane_b32 s23, v1
	s_mul_i32 s19, s3, s5
	s_mul_hi_u32 s33, s3, s23
	s_add_i32 s19, s33, s19
	s_mul_i32 s4, s4, s23
	s_add_i32 s19, s19, s4
	s_mul_i32 s3, s3, s23
	s_mul_hi_u32 s33, s5, s3
	s_mul_i32 s38, s5, s3
	s_mul_i32 s40, s23, s19
	s_mul_hi_u32 s3, s23, s3
	s_mul_hi_u32 s39, s23, s19
	s_add_u32 s3, s3, s40
	s_addc_u32 s23, 0, s39
	s_add_u32 s3, s3, s38
	s_mul_hi_u32 s4, s5, s19
	s_addc_u32 s3, s23, s33
	s_addc_u32 s4, s4, 0
	s_mul_i32 s19, s5, s19
	s_add_u32 s3, s3, s19
	s_addc_u32 s4, 0, s4
	v_add_co_u32_e32 v1, vcc, s3, v1
	s_cmp_lg_u64 vcc, 0
	s_addc_u32 s3, s5, s4
	s_ashr_i32 s38, s27, 31
	s_add_u32 s4, s26, s38
	s_mov_b32 s39, s38
	s_addc_u32 s5, s27, s38
	s_xor_b64 s[40:41], s[4:5], s[38:39]
	v_readfirstlane_b32 s19, v1
	s_mul_i32 s5, s40, s3
	s_mul_hi_u32 s23, s40, s19
	s_mul_hi_u32 s4, s40, s3
	s_add_u32 s5, s23, s5
	s_addc_u32 s4, 0, s4
	s_mul_hi_u32 s33, s41, s19
	s_mul_i32 s19, s41, s19
	s_add_u32 s5, s5, s19
	s_mul_hi_u32 s23, s41, s3
	s_addc_u32 s4, s4, s33
	s_addc_u32 s5, s23, 0
	s_mul_i32 s3, s41, s3
	s_add_u32 s3, s4, s3
	s_addc_u32 s19, 0, s5
	s_mul_i32 s4, s36, s19
	s_mul_hi_u32 s5, s36, s3
	s_add_i32 s4, s5, s4
	s_mul_i32 s5, s37, s3
	s_add_i32 s23, s4, s5
	s_mul_i32 s5, s36, s3
	v_mov_b32_e32 v1, s5
	s_sub_i32 s4, s41, s23
	v_sub_co_u32_e32 v1, vcc, s40, v1
	s_cmp_lg_u64 vcc, 0
	s_subb_u32 s33, s4, s37
	v_subrev_co_u32_e64 v3, s[4:5], s36, v1
	s_cmp_lg_u64 s[4:5], 0
	s_subb_u32 s4, s33, 0
	s_cmp_ge_u32 s4, s37
	v_readfirstlane_b32 s33, v3
	s_cselect_b32 s5, -1, 0
	s_cmp_ge_u32 s33, s36
	s_cselect_b32 s33, -1, 0
	s_cmp_eq_u32 s4, s37
	s_cselect_b32 s4, s33, s5
	s_add_u32 s5, s3, 1
	s_addc_u32 s33, s19, 0
	s_add_u32 s40, s3, 2
	s_addc_u32 s42, s19, 0
	s_cmp_lg_u32 s4, 0
	s_cselect_b32 s4, s40, s5
	s_cselect_b32 s5, s42, s33
	s_cmp_lg_u64 vcc, 0
	s_subb_u32 s23, s41, s23
	s_cmp_ge_u32 s23, s37
	v_readfirstlane_b32 s40, v1
	s_cselect_b32 s33, -1, 0
	s_cmp_ge_u32 s40, s36
	s_cselect_b32 s36, -1, 0
	s_cmp_eq_u32 s23, s37
	s_cselect_b32 s23, s36, s33
	s_cmp_lg_u32 s23, 0
	s_cselect_b32 s5, s5, s19
	s_cselect_b32 s4, s4, s3
	s_xor_b64 s[30:31], s[38:39], s[30:31]
	s_xor_b64 s[4:5], s[4:5], s[30:31]
	s_sub_u32 s30, s4, s30
	s_subb_u32 s31, s5, s31
	s_cbranch_execnz .LBB89_7
.LBB89_6:
	v_cvt_f32_u32_e32 v1, s6
	s_sub_i32 s3, 0, s6
	s_mov_b32 s31, 0
	v_rcp_iflag_f32_e32 v1, v1
	s_nop 0
	v_mul_f32_e32 v1, 0x4f7ffffe, v1
	v_cvt_u32_f32_e32 v1, v1
	s_nop 0
	v_readfirstlane_b32 s4, v1
	s_mul_i32 s3, s3, s4
	s_mul_hi_u32 s3, s4, s3
	s_add_i32 s4, s4, s3
	s_mul_hi_u32 s3, s26, s4
	s_mul_i32 s5, s3, s6
	s_sub_i32 s5, s26, s5
	s_add_i32 s4, s3, 1
	s_sub_i32 s19, s5, s6
	s_cmp_ge_u32 s5, s6
	s_cselect_b32 s3, s4, s3
	s_cselect_b32 s5, s19, s5
	s_add_i32 s4, s3, 1
	s_cmp_ge_u32 s5, s6
	s_cselect_b32 s30, s4, s3
.LBB89_7:
	s_mul_i32 s3, s30, s7
	s_mul_hi_u32 s4, s30, s6
	s_load_dwordx2 s[34:35], s[0:1], 0x78
	s_add_i32 s3, s4, s3
	s_mul_i32 s4, s31, s6
	s_add_i32 s3, s3, s4
	s_mul_i32 s4, s30, s6
	s_sub_u32 s33, s26, s4
	s_subb_u32 s19, s27, s3
	v_cmp_gt_i32_e32 vcc, s22, v0
	s_mul_hi_u32 s37, s30, s16
	s_mul_i32 s38, s31, s16
	s_mul_i32 s39, s30, s16
	s_mul_hi_u32 s36, s33, s17
	s_mul_i32 s19, s19, s17
	s_mul_i32 s31, s33, s17
	s_and_saveexec_b64 s[26:27], vcc
	s_cbranch_execz .LBB89_10
; %bb.8:
	s_ashr_i32 s3, s16, 31
	s_mul_i32 s3, s30, s3
	s_load_dword s4, s[0:1], 0x8c
	s_add_i32 s3, s37, s3
	s_add_i32 s6, s3, s38
	s_ashr_i32 s3, s17, 31
	s_mul_i32 s3, s33, s3
	s_add_i32 s3, s36, s3
	s_ashr_i32 s23, s22, 31
	s_add_i32 s7, s3, s19
	s_ashr_i32 s41, s18, 31
	s_waitcnt lgkmcnt(0)
	s_and_b32 s40, s4, 0xffff
	s_lshl_b64 s[4:5], s[28:29], 1
	s_add_u32 s4, s24, s4
	v_mov_b32_e32 v3, 0
	s_addc_u32 s5, s25, s5
	v_lshl_add_u64 v[4:5], s[4:5], 0, v[2:3]
	s_mul_i32 s4, s9, s2
	s_mul_hi_u32 s5, s8, s2
	s_add_i32 s5, s5, s4
	s_mul_i32 s4, s8, s2
	s_lshl_b32 s28, s40, 1
	s_lshl_b64 s[24:25], s[22:23], 1
	s_lshl_b64 s[4:5], s[4:5], 1
	s_add_u32 s4, s12, s4
	v_lshlrev_b32_e32 v6, 2, v0
	v_mov_b32_e32 v7, v3
	s_addc_u32 s5, s13, s5
	s_lshl_b32 s8, s40, 2
	v_lshl_add_u64 v[6:7], s[4:5], 0, v[6:7]
	s_add_u32 s4, s39, s31
	s_addc_u32 s5, s6, s7
	s_add_u32 s6, s20, s18
	s_load_dword s3, s[34:35], 0x0
	s_addc_u32 s7, s21, s41
	s_add_u32 s4, s6, s4
	s_addc_u32 s5, s7, s5
	s_mov_b32 s29, 0
	v_lshl_add_u64 v[2:3], s[4:5], 0, v[2:3]
	v_lshl_add_u64 v[6:7], v[6:7], 0, 2
	s_mov_b32 s9, s29
	v_lshl_add_u64 v[2:3], v[2:3], 0, 1
	s_mov_b64 s[12:13], 0
	s_movk_i32 s23, 0x7fff
	v_mov_b32_e32 v1, 0x7fc00000
	v_mov_b32_e32 v8, 0x7fc0
	s_mov_b32 s41, 0x5040100
	s_mov_b32 s42, 0x7f800000
	;; [unrolled: 1-line block ×3, first 2 shown]
	v_mov_b32_e32 v9, 0xc3700000
	v_mov_b32_e32 v10, v0
.LBB89_9:                               ; =>This Inner Loop Header: Depth=1
	global_load_ushort v11, v[4:5], off
	global_load_dword v15, v[6:7], off offset:-2
	v_lshl_add_u64 v[12:13], v[4:5], 0, s[24:25]
	global_load_ushort v12, v[12:13], off
	v_add_u32_e32 v10, s40, v10
	v_cmp_le_i32_e32 vcc, s22, v10
	s_or_b64 s[12:13], vcc, s[12:13]
	v_mov_b32_e32 v21, 0
	v_mov_b32_e32 v20, 0
	v_lshl_add_u64 v[4:5], v[4:5], 0, s[28:29]
	s_waitcnt vmcnt(2)
	v_lshlrev_b32_e32 v13, 16, v11
	s_waitcnt vmcnt(1)
	v_lshlrev_b32_e32 v16, 16, v15
	v_mov_b32_e32 v18, v13
	s_waitcnt vmcnt(0)
	v_lshlrev_b32_e32 v17, 16, v12
	v_mov_b32_e32 v19, v16
	v_and_b32_e32 v14, 0xffff0000, v15
	v_mov_b32_e32 v12, v17
	v_pk_mul_f32 v[16:17], v[18:19], v[16:17]
	v_pk_mul_f32 v[12:13], v[12:13], v[14:15] op_sel_hi:[1,0]
	v_bfe_u32 v11, v16, 16, 1
	v_bfe_u32 v14, v17, 16, 1
	;; [unrolled: 1-line block ×4, first 2 shown]
	v_add3_u32 v14, v17, v14, s23
	v_add3_u32 v11, v16, v11, s23
	;; [unrolled: 1-line block ×4, first 2 shown]
	v_and_b32_e32 v11, 0xffff0000, v11
	v_and_b32_e32 v14, 0xffff0000, v14
	v_cmp_o_f32_e32 vcc, v16, v16
	v_cmp_o_f32_e64 s[4:5], v17, v17
	v_and_b32_e32 v16, 0xffff0000, v15
	v_and_b32_e32 v17, 0xffff0000, v18
	v_cmp_o_f32_e64 s[6:7], v12, v12
	v_cndmask_b32_e64 v15, v1, v14, s[4:5]
	v_cndmask_b32_e32 v14, v1, v11, vcc
	v_cmp_o_f32_e32 vcc, v13, v13
	v_cndmask_b32_e64 v12, v1, v16, s[6:7]
	s_nop 0
	v_cndmask_b32_e32 v13, v1, v17, vcc
	v_pk_add_f32 v[16:17], v[14:15], v[12:13] neg_lo:[0,1] neg_hi:[0,1]
	v_pk_add_f32 v[12:13], v[14:15], v[12:13]
	v_bfe_u32 v11, v16, 16, 1
	v_bfe_u32 v12, v13, 16, 1
	v_add3_u32 v12, v13, v12, s23
	v_add3_u32 v11, v16, v11, s23
	v_lshrrev_b32_e32 v11, 16, v11
	v_lshrrev_b32_e32 v12, 16, v12
	v_cmp_o_f32_e32 vcc, v13, v13
	v_cmp_o_f32_e64 s[4:5], v16, v16
	s_nop 0
	v_cndmask_b32_e32 v12, v8, v12, vcc
	v_cndmask_b32_e64 v11, v8, v11, s[4:5]
	v_perm_b32 v13, v12, v11, s41
	v_cvt_f32_f16_e32 v11, v11
	v_cvt_f32_f16_e32 v12, v12
	global_store_dword v[6:7], v13, off offset:-2
	v_lshl_add_u64 v[6:7], v[6:7], 0, s[8:9]
	s_waitcnt lgkmcnt(0)
	v_div_scale_f32 v13, s[4:5], s3, s3, v11
	v_div_scale_f32 v15, s[4:5], s3, s3, v12
	v_rcp_f32_e32 v17, v13
	v_rcp_f32_e32 v18, v15
	v_div_scale_f32 v14, vcc, v11, s3, v11
	v_fma_f32 v19, -v13, v17, 1.0
	v_fma_f32 v22, -v15, v18, 1.0
	v_fmac_f32_e32 v17, v19, v17
	v_div_scale_f32 v16, s[4:5], v12, s3, v12
	v_fmac_f32_e32 v18, v22, v18
	v_mul_f32_e32 v19, v14, v17
	v_mul_f32_e32 v22, v16, v18
	v_fma_f32 v23, -v13, v19, v14
	v_fma_f32 v24, -v15, v22, v16
	v_fmac_f32_e32 v19, v23, v17
	v_fmac_f32_e32 v22, v24, v18
	v_fma_f32 v13, -v13, v19, v14
	v_fma_f32 v14, -v15, v22, v16
	v_div_fmas_f32 v13, v13, v17, v19
	s_mov_b64 vcc, s[4:5]
	v_div_fixup_f32 v11, v13, s3, v11
	v_div_fmas_f32 v13, v14, v18, v22
	v_cvt_f16_f32_e32 v11, v11
	v_div_fixup_f32 v12, v13, s3, v12
	v_cvt_f16_f32_e32 v12, v12
	v_cvt_f32_f16_e32 v11, v11
	v_cvt_f32_f16_e32 v12, v12
	v_med3_f32 v13, v11, s43, v9
	v_cmp_nlg_f32_e64 vcc, |v11|, s42
	s_nop 1
	v_cndmask_b32_e32 v11, v13, v11, vcc
	v_med3_f32 v13, v12, s43, v9
	v_cmp_nlg_f32_e64 vcc, |v12|, s42
	v_cvt_pk_fp8_f32 v20, v11, v11
	s_nop 0
	v_cndmask_b32_e32 v12, v13, v12, vcc
	v_cvt_pk_fp8_f32 v21, v12, v12
	v_lshlrev_b16_e32 v11, 8, v21
	v_or_b32_sdwa v11, v20, v11 dst_sel:DWORD dst_unused:UNUSED_PAD src0_sel:BYTE_0 src1_sel:DWORD
	global_store_short v[2:3], v11, off offset:-1
	v_lshl_add_u64 v[2:3], v[2:3], 0, s[28:29]
	s_andn2_b64 exec, exec, s[12:13]
	s_cbranch_execnz .LBB89_9
.LBB89_10:
	s_or_b64 exec, exec, s[26:27]
	v_cmp_gt_i32_e32 vcc, s18, v0
	s_and_saveexec_b64 s[4:5], vcc
	s_cbranch_execz .LBB89_13
; %bb.11:
	s_mul_i32 s3, s2, s11
	s_mul_hi_u32 s4, s2, s10
	s_add_i32 s3, s4, s3
	s_mul_i32 s2, s2, s10
	s_lshl_b64 s[2:3], s[2:3], 1
	s_add_u32 s2, s14, s2
	s_addc_u32 s3, s15, s3
	s_ashr_i32 s4, s16, 31
	s_mul_i32 s4, s30, s4
	s_add_i32 s4, s37, s4
	s_add_i32 s4, s4, s38
	s_add_u32 s5, s20, s39
	s_addc_u32 s4, s21, s4
	s_ashr_i32 s6, s17, 31
	s_mul_i32 s33, s33, s6
	s_add_i32 s6, s36, s33
	s_add_i32 s6, s6, s19
	s_load_dword s7, s[0:1], 0x8c
	s_add_u32 s0, s5, s31
	s_addc_u32 s1, s4, s6
	s_waitcnt lgkmcnt(0)
	s_load_dword s6, s[34:35], 0x0
	s_mov_b64 s[4:5], 0
	s_and_b32 s7, s7, 0xffff
	s_mov_b32 s8, 0x7f800000
	s_mov_b32 s9, 0x43700000
	v_mov_b32_e32 v2, 0xc3700000
.LBB89_12:                              ; =>This Inner Loop Header: Depth=1
	v_ashrrev_i32_e32 v1, 31, v0
	v_lshl_add_u64 v[4:5], v[0:1], 1, s[2:3]
	global_load_ushort v3, v[4:5], off
	s_waitcnt vmcnt(0)
	v_cvt_f32_f16_e32 v3, v3
	s_waitcnt lgkmcnt(0)
	v_div_scale_f32 v4, s[10:11], s6, s6, v3
	v_rcp_f32_e32 v5, v4
	v_div_scale_f32 v6, vcc, v3, s6, v3
	v_fma_f32 v7, -v4, v5, 1.0
	v_fmac_f32_e32 v5, v7, v5
	v_mul_f32_e32 v7, v6, v5
	v_fma_f32 v8, -v4, v7, v6
	v_fmac_f32_e32 v7, v8, v5
	v_fma_f32 v4, -v4, v7, v6
	v_div_fmas_f32 v4, v4, v5, v7
	v_div_fixup_f32 v3, v4, s6, v3
	v_cvt_f16_f32_e32 v3, v3
	v_mov_b32_e32 v6, 0
	v_cvt_f32_f16_e32 v3, v3
	v_med3_f32 v4, v3, s9, v2
	v_cmp_nlg_f32_e64 vcc, |v3|, s8
	s_nop 1
	v_cndmask_b32_e32 v3, v4, v3, vcc
	v_cvt_pk_fp8_f32 v6, v3, v3
	v_lshl_add_u64 v[4:5], s[0:1], 0, v[0:1]
	v_add_u32_e32 v0, s7, v0
	v_cmp_le_i32_e32 vcc, s18, v0
	s_or_b64 s[4:5], vcc, s[4:5]
	global_store_byte v[4:5], v6, off
	s_andn2_b64 exec, exec, s[4:5]
	s_cbranch_execnz .LBB89_12
.LBB89_13:
	s_endpgm
.LBB89_14:
                                        ; implicit-def: $sgpr30_sgpr31
	s_branch .LBB89_6
	.section	.rodata,"a",@progbits
	.p2align	6, 0x0
	.amdhsa_kernel _ZN4vllm38concat_and_cache_mla_rope_fused_kernelIN3c108BFloat16ES2_Lb0EthLNS_18Fp8KVCacheDataTypeE1EEEvPKlPT_S7_PKS6_PKT0_illlliPT3_S5_iiiiPKf
		.amdhsa_group_segment_fixed_size 0
		.amdhsa_private_segment_fixed_size 0
		.amdhsa_kernarg_size 384
		.amdhsa_user_sgpr_count 2
		.amdhsa_user_sgpr_dispatch_ptr 0
		.amdhsa_user_sgpr_queue_ptr 0
		.amdhsa_user_sgpr_kernarg_segment_ptr 1
		.amdhsa_user_sgpr_dispatch_id 0
		.amdhsa_user_sgpr_kernarg_preload_length 0
		.amdhsa_user_sgpr_kernarg_preload_offset 0
		.amdhsa_user_sgpr_private_segment_size 0
		.amdhsa_uses_dynamic_stack 0
		.amdhsa_enable_private_segment 0
		.amdhsa_system_sgpr_workgroup_id_x 1
		.amdhsa_system_sgpr_workgroup_id_y 0
		.amdhsa_system_sgpr_workgroup_id_z 0
		.amdhsa_system_sgpr_workgroup_info 0
		.amdhsa_system_vgpr_workitem_id 0
		.amdhsa_next_free_vgpr 25
		.amdhsa_next_free_sgpr 44
		.amdhsa_accum_offset 28
		.amdhsa_reserve_vcc 1
		.amdhsa_float_round_mode_32 0
		.amdhsa_float_round_mode_16_64 0
		.amdhsa_float_denorm_mode_32 3
		.amdhsa_float_denorm_mode_16_64 3
		.amdhsa_dx10_clamp 1
		.amdhsa_ieee_mode 1
		.amdhsa_fp16_overflow 0
		.amdhsa_tg_split 0
		.amdhsa_exception_fp_ieee_invalid_op 0
		.amdhsa_exception_fp_denorm_src 0
		.amdhsa_exception_fp_ieee_div_zero 0
		.amdhsa_exception_fp_ieee_overflow 0
		.amdhsa_exception_fp_ieee_underflow 0
		.amdhsa_exception_fp_ieee_inexact 0
		.amdhsa_exception_int_div_zero 0
	.end_amdhsa_kernel
	.section	.text._ZN4vllm38concat_and_cache_mla_rope_fused_kernelIN3c108BFloat16ES2_Lb0EthLNS_18Fp8KVCacheDataTypeE1EEEvPKlPT_S7_PKS6_PKT0_illlliPT3_S5_iiiiPKf,"axG",@progbits,_ZN4vllm38concat_and_cache_mla_rope_fused_kernelIN3c108BFloat16ES2_Lb0EthLNS_18Fp8KVCacheDataTypeE1EEEvPKlPT_S7_PKS6_PKT0_illlliPT3_S5_iiiiPKf,comdat
.Lfunc_end89:
	.size	_ZN4vllm38concat_and_cache_mla_rope_fused_kernelIN3c108BFloat16ES2_Lb0EthLNS_18Fp8KVCacheDataTypeE1EEEvPKlPT_S7_PKS6_PKT0_illlliPT3_S5_iiiiPKf, .Lfunc_end89-_ZN4vllm38concat_and_cache_mla_rope_fused_kernelIN3c108BFloat16ES2_Lb0EthLNS_18Fp8KVCacheDataTypeE1EEEvPKlPT_S7_PKS6_PKT0_illlliPT3_S5_iiiiPKf
                                        ; -- End function
	.section	.AMDGPU.csdata,"",@progbits
; Kernel info:
; codeLenInByte = 2916
; NumSgprs: 50
; NumVgprs: 25
; NumAgprs: 0
; TotalNumVgprs: 25
; ScratchSize: 0
; MemoryBound: 0
; FloatMode: 240
; IeeeMode: 1
; LDSByteSize: 0 bytes/workgroup (compile time only)
; SGPRBlocks: 6
; VGPRBlocks: 3
; NumSGPRsForWavesPerEU: 50
; NumVGPRsForWavesPerEU: 25
; AccumOffset: 28
; Occupancy: 8
; WaveLimiterHint : 1
; COMPUTE_PGM_RSRC2:SCRATCH_EN: 0
; COMPUTE_PGM_RSRC2:USER_SGPR: 2
; COMPUTE_PGM_RSRC2:TRAP_HANDLER: 0
; COMPUTE_PGM_RSRC2:TGID_X_EN: 1
; COMPUTE_PGM_RSRC2:TGID_Y_EN: 0
; COMPUTE_PGM_RSRC2:TGID_Z_EN: 0
; COMPUTE_PGM_RSRC2:TIDIG_COMP_CNT: 0
; COMPUTE_PGM_RSRC3_GFX90A:ACCUM_OFFSET: 6
; COMPUTE_PGM_RSRC3_GFX90A:TG_SPLIT: 0
	.section	.text._ZN4vllm38concat_and_cache_mla_rope_fused_kernelIffLb1E14__hip_bfloat16hLNS_18Fp8KVCacheDataTypeE1EEEvPKlPT_S6_PKS5_PKT0_illlliPT3_S4_iiiiPKf,"axG",@progbits,_ZN4vllm38concat_and_cache_mla_rope_fused_kernelIffLb1E14__hip_bfloat16hLNS_18Fp8KVCacheDataTypeE1EEEvPKlPT_S6_PKS5_PKT0_illlliPT3_S4_iiiiPKf,comdat
	.protected	_ZN4vllm38concat_and_cache_mla_rope_fused_kernelIffLb1E14__hip_bfloat16hLNS_18Fp8KVCacheDataTypeE1EEEvPKlPT_S6_PKS5_PKT0_illlliPT3_S4_iiiiPKf ; -- Begin function _ZN4vllm38concat_and_cache_mla_rope_fused_kernelIffLb1E14__hip_bfloat16hLNS_18Fp8KVCacheDataTypeE1EEEvPKlPT_S6_PKS5_PKT0_illlliPT3_S4_iiiiPKf
	.globl	_ZN4vllm38concat_and_cache_mla_rope_fused_kernelIffLb1E14__hip_bfloat16hLNS_18Fp8KVCacheDataTypeE1EEEvPKlPT_S6_PKS5_PKT0_illlliPT3_S4_iiiiPKf
	.p2align	8
	.type	_ZN4vllm38concat_and_cache_mla_rope_fused_kernelIffLb1E14__hip_bfloat16hLNS_18Fp8KVCacheDataTypeE1EEEvPKlPT_S6_PKS5_PKT0_illlliPT3_S4_iiiiPKf,@function
_ZN4vllm38concat_and_cache_mla_rope_fused_kernelIffLb1E14__hip_bfloat16hLNS_18Fp8KVCacheDataTypeE1EEEvPKlPT_S6_PKS5_PKT0_illlliPT3_S4_iiiiPKf: ; @_ZN4vllm38concat_and_cache_mla_rope_fused_kernelIffLb1E14__hip_bfloat16hLNS_18Fp8KVCacheDataTypeE1EEEvPKlPT_S6_PKS5_PKT0_illlliPT3_S4_iiiiPKf
; %bb.0:
	s_load_dwordx2 s[6:7], s[0:1], 0x60
	s_mov_b32 s3, 0
	s_lshl_b64 s[4:5], s[2:3], 3
	s_waitcnt lgkmcnt(0)
	s_add_u32 s6, s6, s4
	s_addc_u32 s7, s7, s5
	s_load_dwordx2 s[30:31], s[6:7], 0x0
	s_waitcnt lgkmcnt(0)
	v_cmp_lt_i64_e64 s[6:7], s[30:31], 0
	s_and_b64 vcc, exec, s[6:7]
	s_cbranch_vccnz .LBB90_13
; %bb.1:
	s_load_dword s3, s[0:1], 0x28
	s_load_dwordx2 s[6:7], s[0:1], 0x0
	s_load_dwordx4 s[12:15], s[0:1], 0x10
	s_waitcnt lgkmcnt(0)
	s_ashr_i32 s22, s3, 31
	s_add_u32 s16, s6, s4
	s_addc_u32 s17, s7, s5
	s_load_dwordx2 s[18:19], s[16:17], 0x0
	s_load_dwordx2 s[26:27], s[0:1], 0x20
	s_load_dwordx8 s[4:11], s[0:1], 0x30
	s_load_dwordx2 s[20:21], s[0:1], 0x58
	s_load_dword s25, s[0:1], 0x50
	s_waitcnt lgkmcnt(0)
	s_mul_i32 s16, s18, s22
	s_mul_hi_u32 s17, s18, s3
	s_mul_i32 s19, s19, s3
	s_add_i32 s16, s17, s16
	s_add_i32 s17, s16, s19
	s_mul_i32 s16, s18, s3
	s_lshl_b64 s[28:29], s[16:17], 2
	s_add_u32 s22, s26, s28
	s_addc_u32 s23, s27, s29
	s_lshr_b32 s16, s3, 31
	s_add_i32 s3, s3, s16
	s_ashr_i32 s24, s3, 1
	s_mul_i32 s3, s24, s25
	v_cmp_gt_i32_e32 vcc, s3, v0
	s_and_saveexec_b64 s[16:17], vcc
	s_cbranch_execz .LBB90_4
; %bb.2:
	s_load_dwordx2 s[18:19], s[0:1], 0x8
	s_load_dword s34, s[0:1], 0x8c
	s_mul_i32 s5, s2, s5
	s_mul_hi_u32 s33, s2, s4
	s_add_i32 s5, s33, s5
	s_mul_i32 s4, s2, s4
	s_ashr_i32 s25, s24, 31
	s_lshl_b64 s[4:5], s[4:5], 2
	s_waitcnt lgkmcnt(0)
	s_add_u32 s4, s18, s4
	s_addc_u32 s5, s19, s5
	s_abs_i32 s33, s24
	v_cvt_f32_u32_e32 v1, s33
	s_sub_i32 s38, 0, s33
	s_mov_b64 s[18:19], 0
	s_and_b32 s36, s34, 0xffff
	v_rcp_iflag_f32_e32 v1, v1
	s_sub_i32 s37, 0, s24
	s_lshl_b64 s[34:35], s[24:25], 2
	v_mul_f32_e32 v1, 0x4f7ffffe, v1
	v_cvt_u32_f32_e32 v1, v1
	v_mul_lo_u32 v2, s38, v1
	v_mul_hi_u32 v2, v1, v2
	v_add_u32_e32 v1, v1, v2
	v_mov_b32_e32 v2, v0
.LBB90_3:                               ; =>This Inner Loop Header: Depth=1
	v_sub_u32_e32 v4, 0, v2
	v_max_i32_e32 v4, v2, v4
	v_mul_hi_u32 v5, v4, v1
	v_mul_lo_u32 v6, v5, s33
	v_sub_u32_e32 v4, v4, v6
	v_add_u32_e32 v7, 1, v5
	v_cmp_le_u32_e32 vcc, s33, v4
	v_subrev_u32_e32 v6, s33, v4
	v_ashrrev_i32_e32 v3, 31, v2
	v_cndmask_b32_e32 v5, v5, v7, vcc
	v_cndmask_b32_e32 v4, v4, v6, vcc
	v_add_u32_e32 v6, 1, v5
	v_cmp_le_u32_e32 vcc, s33, v4
	v_xor_b32_e32 v3, s25, v3
	s_nop 0
	v_cndmask_b32_e32 v4, v5, v6, vcc
	v_xor_b32_e32 v4, v4, v3
	v_sub_u32_e32 v3, v4, v3
	v_ashrrev_i32_e32 v8, 31, v3
	v_mad_u64_u32 v[4:5], s[38:39], s37, v3, v[2:3]
	v_mul_lo_u32 v9, v3, s7
	v_mad_u64_u32 v[6:7], s[38:39], v3, s6, 0
	v_mul_lo_u32 v3, v8, s6
	v_ashrrev_i32_e32 v5, 31, v4
	v_add3_u32 v7, v7, v9, v3
	v_lshlrev_b64 v[4:5], 2, v[4:5]
	v_lshl_add_u64 v[6:7], v[6:7], 2, s[4:5]
	v_lshl_add_u64 v[8:9], s[22:23], 0, v[4:5]
	;; [unrolled: 1-line block ×4, first 2 shown]
	global_load_dword v3, v[8:9], off
	global_load_dword v12, v[10:11], off
	v_lshl_add_u64 v[6:7], v[4:5], 0, s[34:35]
	global_load_dword v8, v[4:5], off
	global_load_dword v9, v[6:7], off
	v_add_u32_e32 v2, s36, v2
	v_cmp_le_i32_e32 vcc, s3, v2
	s_or_b64 s[18:19], vcc, s[18:19]
	s_waitcnt vmcnt(0)
	v_mul_f32_e32 v10, v12, v9
	v_mul_f32_e32 v9, v3, v9
	v_fma_f32 v3, v3, v8, -v10
	v_fmac_f32_e32 v9, v12, v8
	global_store_dword v[4:5], v3, off
	global_store_dword v[6:7], v9, off
	s_andn2_b64 exec, exec, s[18:19]
	s_cbranch_execnz .LBB90_3
.LBB90_4:
	s_or_b64 exec, exec, s[16:17]
	s_load_dwordx4 s[16:19], s[0:1], 0x68
	s_waitcnt lgkmcnt(0)
	s_ashr_i32 s37, s19, 31
	s_mov_b32 s36, s19
	s_or_b64 s[4:5], s[30:31], s[36:37]
	s_mov_b32 s4, 0
	s_cmp_lg_u64 s[4:5], 0
	s_cbranch_scc0 .LBB90_14
; %bb.5:
	s_add_u32 s4, s36, s37
	s_mov_b32 s6, s37
	s_mov_b32 s7, s37
	s_addc_u32 s5, s37, s37
	s_xor_b64 s[38:39], s[4:5], s[6:7]
	v_cvt_f32_u32_e32 v1, s38
	v_cvt_f32_u32_e32 v2, s39
	s_sub_u32 s3, 0, s38
	s_subb_u32 s4, 0, s39
	v_fmamk_f32 v1, v2, 0x4f800000, v1
	v_rcp_f32_e32 v1, v1
	s_nop 0
	v_mul_f32_e32 v1, 0x5f7ffffc, v1
	v_mul_f32_e32 v2, 0x2f800000, v1
	v_trunc_f32_e32 v2, v2
	v_fmamk_f32 v1, v2, 0xcf800000, v1
	v_cvt_u32_f32_e32 v2, v2
	v_cvt_u32_f32_e32 v1, v1
	v_readfirstlane_b32 s5, v2
	v_readfirstlane_b32 s19, v1
	s_mul_i32 s25, s3, s5
	s_mul_hi_u32 s40, s3, s19
	s_mul_i32 s33, s4, s19
	s_add_i32 s25, s40, s25
	s_add_i32 s25, s25, s33
	s_mul_i32 s41, s3, s19
	s_mul_hi_u32 s33, s19, s25
	s_mul_i32 s40, s19, s25
	s_mul_hi_u32 s19, s19, s41
	s_add_u32 s19, s19, s40
	s_addc_u32 s33, 0, s33
	s_mul_hi_u32 s42, s5, s41
	s_mul_i32 s41, s5, s41
	s_add_u32 s19, s19, s41
	s_mul_hi_u32 s40, s5, s25
	s_addc_u32 s19, s33, s42
	s_addc_u32 s33, s40, 0
	s_mul_i32 s25, s5, s25
	s_add_u32 s19, s19, s25
	s_addc_u32 s25, 0, s33
	v_add_co_u32_e32 v1, vcc, s19, v1
	s_cmp_lg_u64 vcc, 0
	s_addc_u32 s5, s5, s25
	v_readfirstlane_b32 s25, v1
	s_mul_i32 s19, s3, s5
	s_mul_hi_u32 s33, s3, s25
	s_add_i32 s19, s33, s19
	s_mul_i32 s4, s4, s25
	s_add_i32 s19, s19, s4
	s_mul_i32 s3, s3, s25
	s_mul_hi_u32 s33, s5, s3
	s_mul_i32 s40, s5, s3
	s_mul_i32 s42, s25, s19
	s_mul_hi_u32 s3, s25, s3
	s_mul_hi_u32 s41, s25, s19
	s_add_u32 s3, s3, s42
	s_addc_u32 s25, 0, s41
	s_add_u32 s3, s3, s40
	s_mul_hi_u32 s4, s5, s19
	s_addc_u32 s3, s25, s33
	s_addc_u32 s4, s4, 0
	s_mul_i32 s19, s5, s19
	s_add_u32 s3, s3, s19
	s_addc_u32 s4, 0, s4
	v_add_co_u32_e32 v1, vcc, s3, v1
	s_cmp_lg_u64 vcc, 0
	s_addc_u32 s3, s5, s4
	s_ashr_i32 s40, s31, 31
	s_add_u32 s4, s30, s40
	s_mov_b32 s41, s40
	s_addc_u32 s5, s31, s40
	s_xor_b64 s[42:43], s[4:5], s[40:41]
	v_readfirstlane_b32 s19, v1
	s_mul_i32 s5, s42, s3
	s_mul_hi_u32 s25, s42, s19
	s_mul_hi_u32 s4, s42, s3
	s_add_u32 s5, s25, s5
	s_addc_u32 s4, 0, s4
	s_mul_hi_u32 s33, s43, s19
	s_mul_i32 s19, s43, s19
	s_add_u32 s5, s5, s19
	s_mul_hi_u32 s25, s43, s3
	s_addc_u32 s4, s4, s33
	s_addc_u32 s5, s25, 0
	s_mul_i32 s3, s43, s3
	s_add_u32 s3, s4, s3
	s_addc_u32 s19, 0, s5
	s_mul_i32 s4, s38, s19
	s_mul_hi_u32 s5, s38, s3
	s_add_i32 s4, s5, s4
	s_mul_i32 s5, s39, s3
	s_add_i32 s25, s4, s5
	s_mul_i32 s5, s38, s3
	v_mov_b32_e32 v1, s5
	s_sub_i32 s4, s43, s25
	v_sub_co_u32_e32 v1, vcc, s42, v1
	s_cmp_lg_u64 vcc, 0
	s_subb_u32 s33, s4, s39
	v_subrev_co_u32_e64 v2, s[4:5], s38, v1
	s_cmp_lg_u64 s[4:5], 0
	s_subb_u32 s4, s33, 0
	s_cmp_ge_u32 s4, s39
	v_readfirstlane_b32 s33, v2
	s_cselect_b32 s5, -1, 0
	s_cmp_ge_u32 s33, s38
	s_cselect_b32 s33, -1, 0
	s_cmp_eq_u32 s4, s39
	s_cselect_b32 s4, s33, s5
	s_add_u32 s5, s3, 1
	s_addc_u32 s33, s19, 0
	s_add_u32 s42, s3, 2
	s_addc_u32 s44, s19, 0
	s_cmp_lg_u32 s4, 0
	s_cselect_b32 s4, s42, s5
	s_cselect_b32 s5, s44, s33
	s_cmp_lg_u64 vcc, 0
	s_subb_u32 s25, s43, s25
	s_cmp_ge_u32 s25, s39
	v_readfirstlane_b32 s42, v1
	s_cselect_b32 s33, -1, 0
	s_cmp_ge_u32 s42, s38
	s_cselect_b32 s38, -1, 0
	s_cmp_eq_u32 s25, s39
	s_cselect_b32 s25, s38, s33
	s_cmp_lg_u32 s25, 0
	s_cselect_b32 s5, s5, s19
	s_cselect_b32 s4, s4, s3
	s_xor_b64 s[6:7], s[40:41], s[6:7]
	s_xor_b64 s[4:5], s[4:5], s[6:7]
	s_sub_u32 s6, s4, s6
	s_subb_u32 s7, s5, s7
	s_cbranch_execnz .LBB90_7
.LBB90_6:
	v_cvt_f32_u32_e32 v1, s36
	s_sub_i32 s3, 0, s36
	s_mov_b32 s7, 0
	v_rcp_iflag_f32_e32 v1, v1
	s_nop 0
	v_mul_f32_e32 v1, 0x4f7ffffe, v1
	v_cvt_u32_f32_e32 v1, v1
	s_nop 0
	v_readfirstlane_b32 s4, v1
	s_mul_i32 s3, s3, s4
	s_mul_hi_u32 s3, s4, s3
	s_add_i32 s4, s4, s3
	s_mul_hi_u32 s3, s30, s4
	s_mul_i32 s5, s3, s36
	s_sub_i32 s5, s30, s5
	s_add_i32 s4, s3, 1
	s_sub_i32 s6, s5, s36
	s_cmp_ge_u32 s5, s36
	s_cselect_b32 s3, s4, s3
	s_cselect_b32 s5, s6, s5
	s_add_i32 s4, s3, 1
	s_cmp_ge_u32 s5, s36
	s_cselect_b32 s6, s4, s3
.LBB90_7:
	s_mul_i32 s3, s6, s37
	s_mul_hi_u32 s4, s6, s36
	s_load_dwordx2 s[34:35], s[0:1], 0x78
	s_add_i32 s3, s4, s3
	s_mul_i32 s4, s7, s36
	s_add_i32 s3, s3, s4
	s_mul_i32 s4, s6, s36
	s_sub_u32 s33, s30, s4
	s_subb_u32 s3, s31, s3
	v_cmp_gt_i32_e32 vcc, s24, v0
	s_mul_hi_u32 s39, s6, s16
	s_mul_i32 s40, s7, s16
	s_mul_i32 s41, s6, s16
	s_mul_hi_u32 s38, s33, s17
	s_mul_i32 s7, s3, s17
	s_mul_i32 s19, s33, s17
	s_and_saveexec_b64 s[30:31], vcc
	s_cbranch_execz .LBB90_10
; %bb.8:
	s_mul_i32 s3, s2, s9
	s_mul_hi_u32 s4, s2, s8
	s_add_i32 s5, s4, s3
	s_mul_i32 s4, s2, s8
	s_ashr_i32 s25, s24, 31
	s_lshl_b64 s[4:5], s[4:5], 2
	s_add_u32 s8, s12, s4
	s_addc_u32 s9, s13, s5
	s_ashr_i32 s3, s16, 31
	s_load_dword s36, s[0:1], 0x8c
	s_mul_i32 s3, s6, s3
	s_add_i32 s3, s39, s3
	s_add_i32 s43, s3, s40
	s_ashr_i32 s3, s17, 31
	s_mul_i32 s3, s33, s3
	s_add_i32 s3, s38, s3
	s_waitcnt lgkmcnt(0)
	s_and_b32 s36, s36, 0xffff
	s_add_i32 s46, s3, s7
	s_ashr_i32 s47, s18, 31
	s_lshl_b32 s42, s36, 2
	s_lshl_b64 s[44:45], s[24:25], 2
	s_add_u32 s28, s28, s44
	s_addc_u32 s29, s29, s45
	s_add_u32 s26, s26, s28
	s_addc_u32 s27, s27, s29
	;; [unrolled: 2-line block ×5, first 2 shown]
	s_load_dword s3, s[34:35], 0x0
	s_add_u32 s4, s4, s18
	s_addc_u32 s5, s5, s47
	s_add_u32 s4, s20, s4
	v_mov_b32_e32 v1, 0
	s_addc_u32 s5, s21, s5
	s_mov_b32 s37, 0
	v_lshlrev_b32_e32 v2, 2, v0
	v_mov_b32_e32 v3, v1
	v_lshl_add_u64 v[4:5], s[4:5], 0, v[0:1]
	s_mov_b64 s[28:29], 0
	s_mov_b32 s43, 0x7f800000
	s_mov_b32 s44, 0x43700000
	v_mov_b32_e32 v1, 0xc3700000
	v_mov_b32_e32 v6, v0
.LBB90_9:                               ; =>This Inner Loop Header: Depth=1
	v_lshl_add_u64 v[10:11], s[26:27], 0, v[2:3]
	v_lshl_add_u64 v[8:9], s[22:23], 0, v[2:3]
	;; [unrolled: 1-line block ×4, first 2 shown]
	global_load_dword v7, v[10:11], off
	global_load_dword v16, v[14:15], off
	;; [unrolled: 1-line block ×4, first 2 shown]
	s_add_u32 s22, s22, s42
	s_addc_u32 s23, s23, 0
	s_add_u32 s26, s26, s42
	s_addc_u32 s27, s27, 0
	s_add_u32 s12, s12, s42
	s_addc_u32 s13, s13, 0
	v_add_u32_e32 v6, s36, v6
	s_add_u32 s8, s8, s42
	v_cmp_le_i32_e32 vcc, s24, v6
	s_addc_u32 s9, s9, 0
	s_or_b64 s[28:29], vcc, s[28:29]
	v_mov_b32_e32 v10, 0
	v_mov_b32_e32 v11, 0
	v_lshl_add_u64 v[8:9], v[4:5], 0, s[24:25]
	s_waitcnt vmcnt(2)
	v_mul_f32_e32 v19, v7, v16
	s_waitcnt vmcnt(1)
	v_mul_f32_e32 v16, v17, v16
	s_waitcnt vmcnt(0)
	v_fma_f32 v17, v17, v18, -v19
	v_fmac_f32_e32 v16, v7, v18
	v_lshlrev_b32_e32 v7, 16, v17
	global_store_dword v[12:13], v17, off
	v_lshlrev_b32_e32 v12, 16, v16
	s_waitcnt lgkmcnt(0)
	v_div_scale_f32 v13, s[4:5], s3, s3, v7
	v_div_scale_f32 v18, s[4:5], s3, s3, v12
	v_rcp_f32_e32 v20, v13
	v_rcp_f32_e32 v21, v18
	v_div_scale_f32 v17, vcc, v7, s3, v7
	v_fma_f32 v22, -v13, v20, 1.0
	v_fma_f32 v23, -v18, v21, 1.0
	v_fmac_f32_e32 v20, v22, v20
	v_div_scale_f32 v19, s[4:5], v12, s3, v12
	v_fmac_f32_e32 v21, v23, v21
	v_mul_f32_e32 v22, v17, v20
	v_mul_f32_e32 v23, v19, v21
	v_fma_f32 v24, -v13, v22, v17
	v_fma_f32 v25, -v18, v23, v19
	v_fmac_f32_e32 v22, v24, v20
	v_fmac_f32_e32 v23, v25, v21
	v_fma_f32 v13, -v13, v22, v17
	v_fma_f32 v17, -v18, v23, v19
	v_div_fmas_f32 v13, v13, v20, v22
	s_mov_b64 vcc, s[4:5]
	v_div_fixup_f32 v7, v13, s3, v7
	v_div_fmas_f32 v13, v17, v21, v23
	v_med3_f32 v17, v7, s44, v1
	v_div_fixup_f32 v12, v13, s3, v12
	v_cmp_nlg_f32_e64 vcc, |v7|, s43
	v_med3_f32 v13, v12, s44, v1
	s_nop 0
	v_cndmask_b32_e32 v7, v17, v7, vcc
	v_cmp_nlg_f32_e64 vcc, |v12|, s43
	v_cvt_pk_fp8_f32 v10, v7, v7
	global_store_dword v[14:15], v16, off
	global_store_byte v[4:5], v10, off
	v_cndmask_b32_e32 v7, v13, v12, vcc
	v_cvt_pk_fp8_f32 v11, v7, v7
	v_lshl_add_u64 v[4:5], v[4:5], 0, s[36:37]
	global_store_byte v[8:9], v11, off
	s_andn2_b64 exec, exec, s[28:29]
	s_cbranch_execnz .LBB90_9
.LBB90_10:
	s_or_b64 exec, exec, s[30:31]
	v_cmp_gt_i32_e32 vcc, s18, v0
	s_and_saveexec_b64 s[4:5], vcc
	s_cbranch_execz .LBB90_13
; %bb.11:
	s_mul_i32 s3, s2, s11
	s_mul_hi_u32 s4, s2, s10
	s_add_i32 s3, s4, s3
	s_mul_i32 s2, s2, s10
	s_lshl_b64 s[2:3], s[2:3], 2
	s_add_u32 s2, s14, s2
	s_addc_u32 s3, s15, s3
	s_ashr_i32 s4, s16, 31
	s_mul_i32 s4, s6, s4
	s_add_i32 s4, s39, s4
	s_add_i32 s4, s4, s40
	s_add_u32 s5, s20, s41
	s_addc_u32 s4, s21, s4
	s_ashr_i32 s6, s17, 31
	s_mul_i32 s33, s33, s6
	s_add_i32 s6, s38, s33
	s_add_i32 s6, s6, s7
	s_load_dword s8, s[0:1], 0x8c
	s_add_u32 s0, s5, s19
	s_addc_u32 s1, s4, s6
	s_waitcnt lgkmcnt(0)
	s_load_dword s6, s[34:35], 0x0
	s_mov_b64 s[4:5], 0
	s_and_b32 s7, s8, 0xffff
	s_mov_b32 s8, 0x7f800000
	s_mov_b32 s9, 0x43700000
	v_mov_b32_e32 v2, 0xc3700000
.LBB90_12:                              ; =>This Inner Loop Header: Depth=1
	v_ashrrev_i32_e32 v1, 31, v0
	v_lshl_add_u64 v[4:5], v[0:1], 2, s[2:3]
	global_load_ushort v3, v[4:5], off
	v_mov_b32_e32 v6, 0
	s_waitcnt vmcnt(0)
	v_lshlrev_b32_e32 v3, 16, v3
	s_waitcnt lgkmcnt(0)
	v_div_scale_f32 v4, s[10:11], s6, s6, v3
	v_rcp_f32_e32 v5, v4
	v_div_scale_f32 v7, vcc, v3, s6, v3
	v_fma_f32 v8, -v4, v5, 1.0
	v_fmac_f32_e32 v5, v8, v5
	v_mul_f32_e32 v8, v7, v5
	v_fma_f32 v9, -v4, v8, v7
	v_fmac_f32_e32 v8, v9, v5
	v_fma_f32 v4, -v4, v8, v7
	v_div_fmas_f32 v4, v4, v5, v8
	v_div_fixup_f32 v3, v4, s6, v3
	v_med3_f32 v4, v3, s9, v2
	v_cmp_nlg_f32_e64 vcc, |v3|, s8
	s_nop 1
	v_cndmask_b32_e32 v3, v4, v3, vcc
	v_cvt_pk_fp8_f32 v6, v3, v3
	v_lshl_add_u64 v[4:5], s[0:1], 0, v[0:1]
	v_add_u32_e32 v0, s7, v0
	v_cmp_le_i32_e32 vcc, s18, v0
	s_or_b64 s[4:5], vcc, s[4:5]
	global_store_byte v[4:5], v6, off
	s_andn2_b64 exec, exec, s[4:5]
	s_cbranch_execnz .LBB90_12
.LBB90_13:
	s_endpgm
.LBB90_14:
                                        ; implicit-def: $sgpr6_sgpr7
	s_branch .LBB90_6
	.section	.rodata,"a",@progbits
	.p2align	6, 0x0
	.amdhsa_kernel _ZN4vllm38concat_and_cache_mla_rope_fused_kernelIffLb1E14__hip_bfloat16hLNS_18Fp8KVCacheDataTypeE1EEEvPKlPT_S6_PKS5_PKT0_illlliPT3_S4_iiiiPKf
		.amdhsa_group_segment_fixed_size 0
		.amdhsa_private_segment_fixed_size 0
		.amdhsa_kernarg_size 384
		.amdhsa_user_sgpr_count 2
		.amdhsa_user_sgpr_dispatch_ptr 0
		.amdhsa_user_sgpr_queue_ptr 0
		.amdhsa_user_sgpr_kernarg_segment_ptr 1
		.amdhsa_user_sgpr_dispatch_id 0
		.amdhsa_user_sgpr_kernarg_preload_length 0
		.amdhsa_user_sgpr_kernarg_preload_offset 0
		.amdhsa_user_sgpr_private_segment_size 0
		.amdhsa_uses_dynamic_stack 0
		.amdhsa_enable_private_segment 0
		.amdhsa_system_sgpr_workgroup_id_x 1
		.amdhsa_system_sgpr_workgroup_id_y 0
		.amdhsa_system_sgpr_workgroup_id_z 0
		.amdhsa_system_sgpr_workgroup_info 0
		.amdhsa_system_vgpr_workitem_id 0
		.amdhsa_next_free_vgpr 26
		.amdhsa_next_free_sgpr 48
		.amdhsa_accum_offset 28
		.amdhsa_reserve_vcc 1
		.amdhsa_float_round_mode_32 0
		.amdhsa_float_round_mode_16_64 0
		.amdhsa_float_denorm_mode_32 3
		.amdhsa_float_denorm_mode_16_64 3
		.amdhsa_dx10_clamp 1
		.amdhsa_ieee_mode 1
		.amdhsa_fp16_overflow 0
		.amdhsa_tg_split 0
		.amdhsa_exception_fp_ieee_invalid_op 0
		.amdhsa_exception_fp_denorm_src 0
		.amdhsa_exception_fp_ieee_div_zero 0
		.amdhsa_exception_fp_ieee_overflow 0
		.amdhsa_exception_fp_ieee_underflow 0
		.amdhsa_exception_fp_ieee_inexact 0
		.amdhsa_exception_int_div_zero 0
	.end_amdhsa_kernel
	.section	.text._ZN4vllm38concat_and_cache_mla_rope_fused_kernelIffLb1E14__hip_bfloat16hLNS_18Fp8KVCacheDataTypeE1EEEvPKlPT_S6_PKS5_PKT0_illlliPT3_S4_iiiiPKf,"axG",@progbits,_ZN4vllm38concat_and_cache_mla_rope_fused_kernelIffLb1E14__hip_bfloat16hLNS_18Fp8KVCacheDataTypeE1EEEvPKlPT_S6_PKS5_PKT0_illlliPT3_S4_iiiiPKf,comdat
.Lfunc_end90:
	.size	_ZN4vllm38concat_and_cache_mla_rope_fused_kernelIffLb1E14__hip_bfloat16hLNS_18Fp8KVCacheDataTypeE1EEEvPKlPT_S6_PKS5_PKT0_illlliPT3_S4_iiiiPKf, .Lfunc_end90-_ZN4vllm38concat_and_cache_mla_rope_fused_kernelIffLb1E14__hip_bfloat16hLNS_18Fp8KVCacheDataTypeE1EEEvPKlPT_S6_PKS5_PKT0_illlliPT3_S4_iiiiPKf
                                        ; -- End function
	.section	.AMDGPU.csdata,"",@progbits
; Kernel info:
; codeLenInByte = 2328
; NumSgprs: 54
; NumVgprs: 26
; NumAgprs: 0
; TotalNumVgprs: 26
; ScratchSize: 0
; MemoryBound: 0
; FloatMode: 240
; IeeeMode: 1
; LDSByteSize: 0 bytes/workgroup (compile time only)
; SGPRBlocks: 6
; VGPRBlocks: 3
; NumSGPRsForWavesPerEU: 54
; NumVGPRsForWavesPerEU: 26
; AccumOffset: 28
; Occupancy: 8
; WaveLimiterHint : 1
; COMPUTE_PGM_RSRC2:SCRATCH_EN: 0
; COMPUTE_PGM_RSRC2:USER_SGPR: 2
; COMPUTE_PGM_RSRC2:TRAP_HANDLER: 0
; COMPUTE_PGM_RSRC2:TGID_X_EN: 1
; COMPUTE_PGM_RSRC2:TGID_Y_EN: 0
; COMPUTE_PGM_RSRC2:TGID_Z_EN: 0
; COMPUTE_PGM_RSRC2:TIDIG_COMP_CNT: 0
; COMPUTE_PGM_RSRC3_GFX90A:ACCUM_OFFSET: 6
; COMPUTE_PGM_RSRC3_GFX90A:TG_SPLIT: 0
	.section	.text._ZN4vllm38concat_and_cache_mla_rope_fused_kernelIffLb0E14__hip_bfloat16hLNS_18Fp8KVCacheDataTypeE1EEEvPKlPT_S6_PKS5_PKT0_illlliPT3_S4_iiiiPKf,"axG",@progbits,_ZN4vllm38concat_and_cache_mla_rope_fused_kernelIffLb0E14__hip_bfloat16hLNS_18Fp8KVCacheDataTypeE1EEEvPKlPT_S6_PKS5_PKT0_illlliPT3_S4_iiiiPKf,comdat
	.protected	_ZN4vllm38concat_and_cache_mla_rope_fused_kernelIffLb0E14__hip_bfloat16hLNS_18Fp8KVCacheDataTypeE1EEEvPKlPT_S6_PKS5_PKT0_illlliPT3_S4_iiiiPKf ; -- Begin function _ZN4vllm38concat_and_cache_mla_rope_fused_kernelIffLb0E14__hip_bfloat16hLNS_18Fp8KVCacheDataTypeE1EEEvPKlPT_S6_PKS5_PKT0_illlliPT3_S4_iiiiPKf
	.globl	_ZN4vllm38concat_and_cache_mla_rope_fused_kernelIffLb0E14__hip_bfloat16hLNS_18Fp8KVCacheDataTypeE1EEEvPKlPT_S6_PKS5_PKT0_illlliPT3_S4_iiiiPKf
	.p2align	8
	.type	_ZN4vllm38concat_and_cache_mla_rope_fused_kernelIffLb0E14__hip_bfloat16hLNS_18Fp8KVCacheDataTypeE1EEEvPKlPT_S6_PKS5_PKT0_illlliPT3_S4_iiiiPKf,@function
_ZN4vllm38concat_and_cache_mla_rope_fused_kernelIffLb0E14__hip_bfloat16hLNS_18Fp8KVCacheDataTypeE1EEEvPKlPT_S6_PKS5_PKT0_illlliPT3_S4_iiiiPKf: ; @_ZN4vllm38concat_and_cache_mla_rope_fused_kernelIffLb0E14__hip_bfloat16hLNS_18Fp8KVCacheDataTypeE1EEEvPKlPT_S6_PKS5_PKT0_illlliPT3_S4_iiiiPKf
; %bb.0:
	s_load_dwordx2 s[6:7], s[0:1], 0x60
	s_mov_b32 s3, 0
	s_lshl_b64 s[4:5], s[2:3], 3
	s_waitcnt lgkmcnt(0)
	s_add_u32 s6, s6, s4
	s_addc_u32 s7, s7, s5
	s_load_dwordx2 s[26:27], s[6:7], 0x0
	s_waitcnt lgkmcnt(0)
	v_cmp_lt_i64_e64 s[6:7], s[26:27], 0
	s_and_b64 vcc, exec, s[6:7]
	s_cbranch_vccnz .LBB91_13
; %bb.1:
	s_load_dword s3, s[0:1], 0x28
	s_load_dwordx2 s[6:7], s[0:1], 0x0
	s_load_dwordx4 s[12:15], s[0:1], 0x10
	v_lshlrev_b32_e32 v2, 1, v0
	s_waitcnt lgkmcnt(0)
	s_ashr_i32 s22, s3, 31
	s_add_u32 s16, s6, s4
	s_addc_u32 s17, s7, s5
	s_load_dwordx2 s[18:19], s[16:17], 0x0
	s_load_dwordx2 s[24:25], s[0:1], 0x20
	s_load_dwordx8 s[4:11], s[0:1], 0x30
	s_load_dwordx2 s[20:21], s[0:1], 0x58
	s_load_dword s23, s[0:1], 0x50
	s_waitcnt lgkmcnt(0)
	s_mul_i32 s16, s18, s22
	s_mul_hi_u32 s17, s18, s3
	s_mul_i32 s19, s19, s3
	s_add_i32 s16, s17, s16
	s_add_i32 s29, s16, s19
	s_lshr_b32 s16, s3, 31
	s_mul_i32 s28, s18, s3
	s_add_i32 s3, s3, s16
	s_ashr_i32 s22, s3, 1
	s_mul_i32 s3, s22, s23
	v_cmp_gt_i32_e32 vcc, s3, v0
	s_and_saveexec_b64 s[16:17], vcc
	s_cbranch_execz .LBB91_4
; %bb.2:
	s_load_dwordx2 s[30:31], s[0:1], 0x8
	s_load_dword s34, s[0:1], 0x8c
	s_lshl_b64 s[18:19], s[28:29], 2
	s_add_u32 s18, s24, s18
	s_mul_i32 s5, s2, s5
	s_mul_hi_u32 s33, s2, s4
	s_addc_u32 s19, s25, s19
	s_add_i32 s5, s33, s5
	s_mul_i32 s4, s2, s4
	s_ashr_i32 s23, s22, 31
	s_lshl_b64 s[4:5], s[4:5], 2
	s_waitcnt lgkmcnt(0)
	s_add_u32 s4, s30, s4
	s_addc_u32 s5, s31, s5
	s_abs_i32 s33, s22
	v_cvt_f32_u32_e32 v1, s33
	s_sub_i32 s30, 0, s33
	s_and_b32 s34, s34, 0xffff
	s_sub_i32 s35, 0, s22
	v_rcp_iflag_f32_e32 v1, v1
	s_lshl_b32 s37, s34, 1
	v_mov_b32_e32 v4, v2
	v_mov_b32_e32 v6, v0
	v_mul_f32_e32 v1, 0x4f7ffffe, v1
	v_cvt_u32_f32_e32 v1, v1
	v_mul_lo_u32 v3, s30, v1
	v_mul_hi_u32 v3, v1, v3
	s_lshl_b32 s30, s22, 1
	v_add_u32_e32 v1, v1, v3
	s_sub_i32 s36, 0, s30
	s_mov_b64 s[30:31], 0
.LBB91_3:                               ; =>This Inner Loop Header: Depth=1
	v_sub_u32_e32 v5, 0, v6
	v_max_i32_e32 v5, v6, v5
	v_mul_hi_u32 v7, v5, v1
	v_mul_lo_u32 v8, v7, s33
	v_sub_u32_e32 v5, v5, v8
	v_add_u32_e32 v9, 1, v7
	v_cmp_le_u32_e32 vcc, s33, v5
	v_subrev_u32_e32 v8, s33, v5
	v_ashrrev_i32_e32 v3, 31, v6
	v_cndmask_b32_e32 v7, v7, v9, vcc
	v_cndmask_b32_e32 v5, v5, v8, vcc
	v_add_u32_e32 v8, 1, v7
	v_cmp_le_u32_e32 vcc, s33, v5
	v_xor_b32_e32 v3, s23, v3
	s_nop 0
	v_cndmask_b32_e32 v5, v7, v8, vcc
	v_xor_b32_e32 v5, v5, v3
	v_sub_u32_e32 v3, v5, v3
	v_ashrrev_i32_e32 v5, 31, v3
	v_mad_u64_u32 v[8:9], s[38:39], s35, v3, v[6:7]
	v_mul_lo_u32 v7, v3, s7
	v_mad_u64_u32 v[10:11], s[38:39], v3, s6, 0
	v_mad_u64_u32 v[12:13], s[38:39], s36, v3, v[4:5]
	v_mul_lo_u32 v3, v5, s6
	v_ashrrev_i32_e32 v9, 31, v8
	v_add3_u32 v11, v11, v7, v3
	v_ashrrev_i32_e32 v13, 31, v12
	v_lshl_add_u64 v[8:9], v[8:9], 2, s[18:19]
	v_lshl_add_u64 v[10:11], v[10:11], 2, s[4:5]
	;; [unrolled: 1-line block ×3, first 2 shown]
	global_load_dword v3, v[8:9], off
	global_load_dword v5, v[14:15], off
	v_lshl_add_u64 v[8:9], v[12:13], 2, v[10:11]
	global_load_dwordx2 v[10:11], v[8:9], off
	v_add_u32_e32 v6, s34, v6
	v_cmp_le_i32_e32 vcc, s3, v6
	v_add_u32_e32 v4, s37, v4
	s_or_b64 s[30:31], vcc, s[30:31]
	s_waitcnt vmcnt(0)
	v_mul_f32_e32 v7, v5, v11
	v_mul_f32_e32 v13, v3, v11
	v_fma_f32 v12, v3, v10, -v7
	v_fmac_f32_e32 v13, v5, v10
	global_store_dwordx2 v[8:9], v[12:13], off
	s_andn2_b64 exec, exec, s[30:31]
	s_cbranch_execnz .LBB91_3
.LBB91_4:
	s_or_b64 exec, exec, s[16:17]
	s_load_dwordx4 s[16:19], s[0:1], 0x68
	s_waitcnt lgkmcnt(0)
	s_ashr_i32 s35, s19, 31
	s_mov_b32 s34, s19
	s_or_b64 s[4:5], s[26:27], s[34:35]
	s_mov_b32 s4, 0
	s_cmp_lg_u64 s[4:5], 0
	s_cbranch_scc0 .LBB91_14
; %bb.5:
	s_add_u32 s4, s34, s35
	s_mov_b32 s6, s35
	s_mov_b32 s7, s35
	s_addc_u32 s5, s35, s35
	s_xor_b64 s[36:37], s[4:5], s[6:7]
	v_cvt_f32_u32_e32 v1, s36
	v_cvt_f32_u32_e32 v3, s37
	s_sub_u32 s3, 0, s36
	s_subb_u32 s4, 0, s37
	v_fmamk_f32 v1, v3, 0x4f800000, v1
	v_rcp_f32_e32 v1, v1
	s_nop 0
	v_mul_f32_e32 v1, 0x5f7ffffc, v1
	v_mul_f32_e32 v3, 0x2f800000, v1
	v_trunc_f32_e32 v3, v3
	v_fmamk_f32 v1, v3, 0xcf800000, v1
	v_cvt_u32_f32_e32 v3, v3
	v_cvt_u32_f32_e32 v1, v1
	v_readfirstlane_b32 s5, v3
	v_readfirstlane_b32 s19, v1
	s_mul_i32 s23, s3, s5
	s_mul_hi_u32 s38, s3, s19
	s_mul_i32 s33, s4, s19
	s_add_i32 s23, s38, s23
	s_add_i32 s23, s23, s33
	s_mul_i32 s39, s3, s19
	s_mul_hi_u32 s33, s19, s23
	s_mul_i32 s38, s19, s23
	s_mul_hi_u32 s19, s19, s39
	s_add_u32 s19, s19, s38
	s_addc_u32 s33, 0, s33
	s_mul_hi_u32 s40, s5, s39
	s_mul_i32 s39, s5, s39
	s_add_u32 s19, s19, s39
	s_mul_hi_u32 s38, s5, s23
	s_addc_u32 s19, s33, s40
	s_addc_u32 s33, s38, 0
	s_mul_i32 s23, s5, s23
	s_add_u32 s19, s19, s23
	s_addc_u32 s23, 0, s33
	v_add_co_u32_e32 v1, vcc, s19, v1
	s_cmp_lg_u64 vcc, 0
	s_addc_u32 s5, s5, s23
	v_readfirstlane_b32 s23, v1
	s_mul_i32 s19, s3, s5
	s_mul_hi_u32 s33, s3, s23
	s_add_i32 s19, s33, s19
	s_mul_i32 s4, s4, s23
	s_add_i32 s19, s19, s4
	s_mul_i32 s3, s3, s23
	s_mul_hi_u32 s33, s5, s3
	s_mul_i32 s38, s5, s3
	s_mul_i32 s40, s23, s19
	s_mul_hi_u32 s3, s23, s3
	s_mul_hi_u32 s39, s23, s19
	s_add_u32 s3, s3, s40
	s_addc_u32 s23, 0, s39
	s_add_u32 s3, s3, s38
	s_mul_hi_u32 s4, s5, s19
	s_addc_u32 s3, s23, s33
	s_addc_u32 s4, s4, 0
	s_mul_i32 s19, s5, s19
	s_add_u32 s3, s3, s19
	s_addc_u32 s4, 0, s4
	v_add_co_u32_e32 v1, vcc, s3, v1
	s_cmp_lg_u64 vcc, 0
	s_addc_u32 s3, s5, s4
	s_ashr_i32 s38, s27, 31
	s_add_u32 s4, s26, s38
	s_mov_b32 s39, s38
	s_addc_u32 s5, s27, s38
	s_xor_b64 s[40:41], s[4:5], s[38:39]
	v_readfirstlane_b32 s19, v1
	s_mul_i32 s5, s40, s3
	s_mul_hi_u32 s23, s40, s19
	s_mul_hi_u32 s4, s40, s3
	s_add_u32 s5, s23, s5
	s_addc_u32 s4, 0, s4
	s_mul_hi_u32 s33, s41, s19
	s_mul_i32 s19, s41, s19
	s_add_u32 s5, s5, s19
	s_mul_hi_u32 s23, s41, s3
	s_addc_u32 s4, s4, s33
	s_addc_u32 s5, s23, 0
	s_mul_i32 s3, s41, s3
	s_add_u32 s3, s4, s3
	s_addc_u32 s19, 0, s5
	s_mul_i32 s4, s36, s19
	s_mul_hi_u32 s5, s36, s3
	s_add_i32 s4, s5, s4
	s_mul_i32 s5, s37, s3
	s_add_i32 s23, s4, s5
	s_mul_i32 s5, s36, s3
	v_mov_b32_e32 v1, s5
	s_sub_i32 s4, s41, s23
	v_sub_co_u32_e32 v1, vcc, s40, v1
	s_cmp_lg_u64 vcc, 0
	s_subb_u32 s33, s4, s37
	v_subrev_co_u32_e64 v3, s[4:5], s36, v1
	s_cmp_lg_u64 s[4:5], 0
	s_subb_u32 s4, s33, 0
	s_cmp_ge_u32 s4, s37
	v_readfirstlane_b32 s33, v3
	s_cselect_b32 s5, -1, 0
	s_cmp_ge_u32 s33, s36
	s_cselect_b32 s33, -1, 0
	s_cmp_eq_u32 s4, s37
	s_cselect_b32 s4, s33, s5
	s_add_u32 s5, s3, 1
	s_addc_u32 s33, s19, 0
	s_add_u32 s40, s3, 2
	s_addc_u32 s42, s19, 0
	s_cmp_lg_u32 s4, 0
	s_cselect_b32 s4, s40, s5
	s_cselect_b32 s5, s42, s33
	s_cmp_lg_u64 vcc, 0
	s_subb_u32 s23, s41, s23
	s_cmp_ge_u32 s23, s37
	v_readfirstlane_b32 s40, v1
	s_cselect_b32 s33, -1, 0
	s_cmp_ge_u32 s40, s36
	s_cselect_b32 s36, -1, 0
	s_cmp_eq_u32 s23, s37
	s_cselect_b32 s23, s36, s33
	s_cmp_lg_u32 s23, 0
	s_cselect_b32 s5, s5, s19
	s_cselect_b32 s4, s4, s3
	s_xor_b64 s[6:7], s[38:39], s[6:7]
	s_xor_b64 s[4:5], s[4:5], s[6:7]
	s_sub_u32 s6, s4, s6
	s_subb_u32 s7, s5, s7
	s_cbranch_execnz .LBB91_7
.LBB91_6:
	v_cvt_f32_u32_e32 v1, s34
	s_sub_i32 s3, 0, s34
	s_mov_b32 s7, 0
	v_rcp_iflag_f32_e32 v1, v1
	s_nop 0
	v_mul_f32_e32 v1, 0x4f7ffffe, v1
	v_cvt_u32_f32_e32 v1, v1
	s_nop 0
	v_readfirstlane_b32 s4, v1
	s_mul_i32 s3, s3, s4
	s_mul_hi_u32 s3, s4, s3
	s_add_i32 s4, s4, s3
	s_mul_hi_u32 s3, s26, s4
	s_mul_i32 s5, s3, s34
	s_sub_i32 s5, s26, s5
	s_add_i32 s4, s3, 1
	s_sub_i32 s6, s5, s34
	s_cmp_ge_u32 s5, s34
	s_cselect_b32 s3, s4, s3
	s_cselect_b32 s5, s6, s5
	s_add_i32 s4, s3, 1
	s_cmp_ge_u32 s5, s34
	s_cselect_b32 s6, s4, s3
.LBB91_7:
	s_mul_i32 s3, s6, s35
	s_mul_hi_u32 s4, s6, s34
	s_load_dwordx2 s[30:31], s[0:1], 0x78
	s_add_i32 s3, s4, s3
	s_mul_i32 s4, s7, s34
	s_add_i32 s3, s3, s4
	s_mul_i32 s4, s6, s34
	s_sub_u32 s33, s26, s4
	s_subb_u32 s3, s27, s3
	v_cmp_gt_i32_e32 vcc, s22, v0
	s_mul_hi_u32 s37, s6, s16
	s_mul_i32 s38, s7, s16
	s_mul_i32 s39, s6, s16
	s_mul_hi_u32 s36, s33, s17
	s_mul_i32 s7, s3, s17
	s_mul_i32 s19, s33, s17
	s_and_saveexec_b64 s[26:27], vcc
	s_cbranch_execz .LBB91_10
; %bb.8:
	s_ashr_i32 s3, s16, 31
	s_mul_i32 s3, s6, s3
	s_load_dword s4, s[0:1], 0x8c
	s_add_i32 s3, s37, s3
	s_add_i32 s34, s3, s38
	s_ashr_i32 s3, s17, 31
	s_mul_i32 s3, s33, s3
	s_add_i32 s3, s36, s3
	s_ashr_i32 s23, s22, 31
	s_add_i32 s35, s3, s7
	s_ashr_i32 s41, s18, 31
	s_waitcnt lgkmcnt(0)
	s_and_b32 s40, s4, 0xffff
	s_lshl_b64 s[4:5], s[28:29], 2
	s_add_u32 s4, s24, s4
	v_lshlrev_b32_e32 v6, 2, v0
	v_mov_b32_e32 v7, 0
	s_addc_u32 s5, s25, s5
	s_lshl_b32 s28, s40, 2
	s_lshl_b64 s[24:25], s[22:23], 2
	v_lshl_add_u64 v[4:5], s[4:5], 0, v[6:7]
	s_add_u32 s4, s39, s19
	s_addc_u32 s5, s34, s35
	s_add_u32 s23, s20, s18
	s_addc_u32 s34, s21, s41
	s_add_u32 s4, s23, s4
	v_mov_b32_e32 v3, v7
	s_addc_u32 s5, s34, s5
	v_lshl_add_u64 v[2:3], s[4:5], 0, v[2:3]
	s_mul_i32 s4, s9, s2
	s_mul_hi_u32 s5, s8, s2
	s_add_i32 s5, s5, s4
	s_mul_i32 s4, s8, s2
	s_load_dword s3, s[30:31], 0x0
	s_lshl_b32 s34, s40, 1
	s_lshl_b64 s[4:5], s[4:5], 2
	s_add_u32 s4, s12, s4
	v_lshlrev_b32_e32 v6, 3, v0
	s_addc_u32 s5, s13, s5
	s_mov_b32 s29, 0
	v_lshl_add_u64 v[6:7], s[4:5], 0, v[6:7]
	v_lshl_add_u64 v[2:3], v[2:3], 0, 1
	s_mov_b32 s35, s29
	v_lshl_add_u64 v[6:7], v[6:7], 0, 4
	s_lshl_b32 s8, s40, 3
	s_mov_b32 s9, s29
	s_mov_b64 s[12:13], 0
	s_mov_b32 s23, 0x7f800000
	s_mov_b32 s41, 0x43700000
	v_mov_b32_e32 v1, 0xc3700000
	v_mov_b32_e32 v8, v0
.LBB91_9:                               ; =>This Inner Loop Header: Depth=1
	v_lshl_add_u64 v[10:11], v[4:5], 0, s[24:25]
	global_load_dwordx2 v[12:13], v[6:7], off offset:-4
	global_load_dword v9, v[10:11], off
	global_load_dword v14, v[4:5], off
	v_add_u32_e32 v8, s40, v8
	v_cmp_le_i32_e32 vcc, s22, v8
	s_or_b64 s[12:13], vcc, s[12:13]
	v_mov_b32_e32 v16, 0
	v_mov_b32_e32 v15, 0
	v_lshl_add_u64 v[4:5], v[4:5], 0, s[28:29]
	s_waitcnt vmcnt(1)
	v_mul_f32_e32 v10, v9, v13
	s_waitcnt vmcnt(0)
	v_mul_f32_e32 v11, v14, v13
	v_fmac_f32_e32 v11, v9, v12
	v_fma_f32 v10, v14, v12, -v10
	v_lshlrev_b32_e32 v9, 16, v11
	global_store_dwordx2 v[6:7], v[10:11], off offset:-4
	v_lshlrev_b32_e32 v10, 16, v10
	s_waitcnt lgkmcnt(0)
	v_div_scale_f32 v11, s[4:5], s3, s3, v9
	v_div_scale_f32 v13, s[42:43], s3, s3, v10
	v_rcp_f32_e32 v17, v11
	v_rcp_f32_e32 v18, v13
	v_div_scale_f32 v12, s[4:5], v9, s3, v9
	v_fma_f32 v19, -v11, v17, 1.0
	v_fma_f32 v20, -v13, v18, 1.0
	v_div_scale_f32 v14, vcc, v10, s3, v10
	v_fmac_f32_e32 v17, v19, v17
	v_fmac_f32_e32 v18, v20, v18
	v_mul_f32_e32 v19, v12, v17
	v_mul_f32_e32 v20, v14, v18
	v_fma_f32 v21, -v11, v19, v12
	v_fma_f32 v22, -v13, v20, v14
	v_fmac_f32_e32 v19, v21, v17
	v_fmac_f32_e32 v20, v22, v18
	v_fma_f32 v11, -v11, v19, v12
	v_fma_f32 v12, -v13, v20, v14
	v_div_fmas_f32 v12, v12, v18, v20
	s_mov_b64 vcc, s[4:5]
	v_div_fixup_f32 v10, v12, s3, v10
	v_div_fmas_f32 v11, v11, v17, v19
	v_med3_f32 v12, v10, s41, v1
	v_div_fixup_f32 v9, v11, s3, v9
	v_cmp_nlg_f32_e64 vcc, |v10|, s23
	v_med3_f32 v11, v9, s41, v1
	v_lshl_add_u64 v[6:7], v[6:7], 0, s[8:9]
	v_cndmask_b32_e32 v10, v12, v10, vcc
	v_cmp_nlg_f32_e64 vcc, |v9|, s23
	v_cvt_pk_fp8_f32 v15, v10, v10
	s_nop 0
	v_cndmask_b32_e32 v9, v11, v9, vcc
	v_cvt_pk_fp8_f32 v16, v9, v9
	v_lshlrev_b16_e32 v9, 8, v16
	v_or_b32_sdwa v9, v15, v9 dst_sel:DWORD dst_unused:UNUSED_PAD src0_sel:BYTE_0 src1_sel:DWORD
	global_store_short v[2:3], v9, off offset:-1
	v_lshl_add_u64 v[2:3], v[2:3], 0, s[34:35]
	s_andn2_b64 exec, exec, s[12:13]
	s_cbranch_execnz .LBB91_9
.LBB91_10:
	s_or_b64 exec, exec, s[26:27]
	v_cmp_gt_i32_e32 vcc, s18, v0
	s_and_saveexec_b64 s[4:5], vcc
	s_cbranch_execz .LBB91_13
; %bb.11:
	s_mul_i32 s3, s2, s11
	s_mul_hi_u32 s4, s2, s10
	s_add_i32 s3, s4, s3
	s_mul_i32 s2, s2, s10
	s_lshl_b64 s[2:3], s[2:3], 2
	s_add_u32 s2, s14, s2
	s_addc_u32 s3, s15, s3
	s_ashr_i32 s4, s16, 31
	s_mul_i32 s4, s6, s4
	s_add_i32 s4, s37, s4
	s_add_i32 s4, s4, s38
	s_add_u32 s5, s20, s39
	s_addc_u32 s4, s21, s4
	s_ashr_i32 s6, s17, 31
	s_mul_i32 s33, s33, s6
	s_add_i32 s6, s36, s33
	s_add_i32 s6, s6, s7
	s_load_dword s8, s[0:1], 0x8c
	s_add_u32 s0, s5, s19
	s_addc_u32 s1, s4, s6
	s_waitcnt lgkmcnt(0)
	s_load_dword s6, s[30:31], 0x0
	s_mov_b64 s[4:5], 0
	s_and_b32 s7, s8, 0xffff
	s_mov_b32 s8, 0x7f800000
	s_mov_b32 s9, 0x43700000
	v_mov_b32_e32 v2, 0xc3700000
.LBB91_12:                              ; =>This Inner Loop Header: Depth=1
	v_ashrrev_i32_e32 v1, 31, v0
	v_lshl_add_u64 v[4:5], v[0:1], 2, s[2:3]
	global_load_ushort v3, v[4:5], off
	v_mov_b32_e32 v6, 0
	s_waitcnt vmcnt(0)
	v_lshlrev_b32_e32 v3, 16, v3
	s_waitcnt lgkmcnt(0)
	v_div_scale_f32 v4, s[10:11], s6, s6, v3
	v_rcp_f32_e32 v5, v4
	v_div_scale_f32 v7, vcc, v3, s6, v3
	v_fma_f32 v8, -v4, v5, 1.0
	v_fmac_f32_e32 v5, v8, v5
	v_mul_f32_e32 v8, v7, v5
	v_fma_f32 v9, -v4, v8, v7
	v_fmac_f32_e32 v8, v9, v5
	v_fma_f32 v4, -v4, v8, v7
	v_div_fmas_f32 v4, v4, v5, v8
	v_div_fixup_f32 v3, v4, s6, v3
	v_med3_f32 v4, v3, s9, v2
	v_cmp_nlg_f32_e64 vcc, |v3|, s8
	s_nop 1
	v_cndmask_b32_e32 v3, v4, v3, vcc
	v_cvt_pk_fp8_f32 v6, v3, v3
	v_lshl_add_u64 v[4:5], s[0:1], 0, v[0:1]
	v_add_u32_e32 v0, s7, v0
	v_cmp_le_i32_e32 vcc, s18, v0
	s_or_b64 s[4:5], vcc, s[4:5]
	global_store_byte v[4:5], v6, off
	s_andn2_b64 exec, exec, s[4:5]
	s_cbranch_execnz .LBB91_12
.LBB91_13:
	s_endpgm
.LBB91_14:
                                        ; implicit-def: $sgpr6_sgpr7
	s_branch .LBB91_6
	.section	.rodata,"a",@progbits
	.p2align	6, 0x0
	.amdhsa_kernel _ZN4vllm38concat_and_cache_mla_rope_fused_kernelIffLb0E14__hip_bfloat16hLNS_18Fp8KVCacheDataTypeE1EEEvPKlPT_S6_PKS5_PKT0_illlliPT3_S4_iiiiPKf
		.amdhsa_group_segment_fixed_size 0
		.amdhsa_private_segment_fixed_size 0
		.amdhsa_kernarg_size 384
		.amdhsa_user_sgpr_count 2
		.amdhsa_user_sgpr_dispatch_ptr 0
		.amdhsa_user_sgpr_queue_ptr 0
		.amdhsa_user_sgpr_kernarg_segment_ptr 1
		.amdhsa_user_sgpr_dispatch_id 0
		.amdhsa_user_sgpr_kernarg_preload_length 0
		.amdhsa_user_sgpr_kernarg_preload_offset 0
		.amdhsa_user_sgpr_private_segment_size 0
		.amdhsa_uses_dynamic_stack 0
		.amdhsa_enable_private_segment 0
		.amdhsa_system_sgpr_workgroup_id_x 1
		.amdhsa_system_sgpr_workgroup_id_y 0
		.amdhsa_system_sgpr_workgroup_id_z 0
		.amdhsa_system_sgpr_workgroup_info 0
		.amdhsa_system_vgpr_workitem_id 0
		.amdhsa_next_free_vgpr 23
		.amdhsa_next_free_sgpr 44
		.amdhsa_accum_offset 24
		.amdhsa_reserve_vcc 1
		.amdhsa_float_round_mode_32 0
		.amdhsa_float_round_mode_16_64 0
		.amdhsa_float_denorm_mode_32 3
		.amdhsa_float_denorm_mode_16_64 3
		.amdhsa_dx10_clamp 1
		.amdhsa_ieee_mode 1
		.amdhsa_fp16_overflow 0
		.amdhsa_tg_split 0
		.amdhsa_exception_fp_ieee_invalid_op 0
		.amdhsa_exception_fp_denorm_src 0
		.amdhsa_exception_fp_ieee_div_zero 0
		.amdhsa_exception_fp_ieee_overflow 0
		.amdhsa_exception_fp_ieee_underflow 0
		.amdhsa_exception_fp_ieee_inexact 0
		.amdhsa_exception_int_div_zero 0
	.end_amdhsa_kernel
	.section	.text._ZN4vllm38concat_and_cache_mla_rope_fused_kernelIffLb0E14__hip_bfloat16hLNS_18Fp8KVCacheDataTypeE1EEEvPKlPT_S6_PKS5_PKT0_illlliPT3_S4_iiiiPKf,"axG",@progbits,_ZN4vllm38concat_and_cache_mla_rope_fused_kernelIffLb0E14__hip_bfloat16hLNS_18Fp8KVCacheDataTypeE1EEEvPKlPT_S6_PKS5_PKT0_illlliPT3_S4_iiiiPKf,comdat
.Lfunc_end91:
	.size	_ZN4vllm38concat_and_cache_mla_rope_fused_kernelIffLb0E14__hip_bfloat16hLNS_18Fp8KVCacheDataTypeE1EEEvPKlPT_S6_PKS5_PKT0_illlliPT3_S4_iiiiPKf, .Lfunc_end91-_ZN4vllm38concat_and_cache_mla_rope_fused_kernelIffLb0E14__hip_bfloat16hLNS_18Fp8KVCacheDataTypeE1EEEvPKlPT_S6_PKS5_PKT0_illlliPT3_S4_iiiiPKf
                                        ; -- End function
	.section	.AMDGPU.csdata,"",@progbits
; Kernel info:
; codeLenInByte = 2296
; NumSgprs: 50
; NumVgprs: 23
; NumAgprs: 0
; TotalNumVgprs: 23
; ScratchSize: 0
; MemoryBound: 0
; FloatMode: 240
; IeeeMode: 1
; LDSByteSize: 0 bytes/workgroup (compile time only)
; SGPRBlocks: 6
; VGPRBlocks: 2
; NumSGPRsForWavesPerEU: 50
; NumVGPRsForWavesPerEU: 23
; AccumOffset: 24
; Occupancy: 8
; WaveLimiterHint : 1
; COMPUTE_PGM_RSRC2:SCRATCH_EN: 0
; COMPUTE_PGM_RSRC2:USER_SGPR: 2
; COMPUTE_PGM_RSRC2:TRAP_HANDLER: 0
; COMPUTE_PGM_RSRC2:TGID_X_EN: 1
; COMPUTE_PGM_RSRC2:TGID_Y_EN: 0
; COMPUTE_PGM_RSRC2:TGID_Z_EN: 0
; COMPUTE_PGM_RSRC2:TIDIG_COMP_CNT: 0
; COMPUTE_PGM_RSRC3_GFX90A:ACCUM_OFFSET: 5
; COMPUTE_PGM_RSRC3_GFX90A:TG_SPLIT: 0
	.section	.text._ZN4vllm38concat_and_cache_mla_rope_fused_kernelIfN3c104HalfELb1E14__hip_bfloat16hLNS_18Fp8KVCacheDataTypeE1EEEvPKlPT_S8_PKS7_PKT0_illlliPT3_S6_iiiiPKf,"axG",@progbits,_ZN4vllm38concat_and_cache_mla_rope_fused_kernelIfN3c104HalfELb1E14__hip_bfloat16hLNS_18Fp8KVCacheDataTypeE1EEEvPKlPT_S8_PKS7_PKT0_illlliPT3_S6_iiiiPKf,comdat
	.protected	_ZN4vllm38concat_and_cache_mla_rope_fused_kernelIfN3c104HalfELb1E14__hip_bfloat16hLNS_18Fp8KVCacheDataTypeE1EEEvPKlPT_S8_PKS7_PKT0_illlliPT3_S6_iiiiPKf ; -- Begin function _ZN4vllm38concat_and_cache_mla_rope_fused_kernelIfN3c104HalfELb1E14__hip_bfloat16hLNS_18Fp8KVCacheDataTypeE1EEEvPKlPT_S8_PKS7_PKT0_illlliPT3_S6_iiiiPKf
	.globl	_ZN4vllm38concat_and_cache_mla_rope_fused_kernelIfN3c104HalfELb1E14__hip_bfloat16hLNS_18Fp8KVCacheDataTypeE1EEEvPKlPT_S8_PKS7_PKT0_illlliPT3_S6_iiiiPKf
	.p2align	8
	.type	_ZN4vllm38concat_and_cache_mla_rope_fused_kernelIfN3c104HalfELb1E14__hip_bfloat16hLNS_18Fp8KVCacheDataTypeE1EEEvPKlPT_S8_PKS7_PKT0_illlliPT3_S6_iiiiPKf,@function
_ZN4vllm38concat_and_cache_mla_rope_fused_kernelIfN3c104HalfELb1E14__hip_bfloat16hLNS_18Fp8KVCacheDataTypeE1EEEvPKlPT_S8_PKS7_PKT0_illlliPT3_S6_iiiiPKf: ; @_ZN4vllm38concat_and_cache_mla_rope_fused_kernelIfN3c104HalfELb1E14__hip_bfloat16hLNS_18Fp8KVCacheDataTypeE1EEEvPKlPT_S8_PKS7_PKT0_illlliPT3_S6_iiiiPKf
; %bb.0:
	s_load_dwordx2 s[6:7], s[0:1], 0x60
	s_mov_b32 s3, 0
	s_lshl_b64 s[4:5], s[2:3], 3
	s_waitcnt lgkmcnt(0)
	s_add_u32 s6, s6, s4
	s_addc_u32 s7, s7, s5
	s_load_dwordx2 s[28:29], s[6:7], 0x0
	s_waitcnt lgkmcnt(0)
	v_cmp_lt_i64_e64 s[6:7], s[28:29], 0
	s_and_b64 vcc, exec, s[6:7]
	s_cbranch_vccnz .LBB92_13
; %bb.1:
	s_load_dword s3, s[0:1], 0x28
	s_load_dwordx2 s[6:7], s[0:1], 0x0
	s_load_dwordx4 s[12:15], s[0:1], 0x10
	s_waitcnt lgkmcnt(0)
	s_ashr_i32 s22, s3, 31
	s_add_u32 s16, s6, s4
	s_addc_u32 s17, s7, s5
	s_load_dwordx2 s[18:19], s[16:17], 0x0
	s_load_dwordx2 s[24:25], s[0:1], 0x20
	s_load_dwordx8 s[4:11], s[0:1], 0x30
	s_load_dwordx2 s[20:21], s[0:1], 0x58
	s_load_dword s23, s[0:1], 0x50
	s_waitcnt lgkmcnt(0)
	s_mul_i32 s16, s18, s22
	s_mul_hi_u32 s17, s18, s3
	s_mul_i32 s19, s19, s3
	s_add_i32 s16, s17, s16
	s_add_i32 s27, s16, s19
	s_lshr_b32 s16, s3, 31
	s_mul_i32 s26, s18, s3
	s_add_i32 s3, s3, s16
	s_ashr_i32 s22, s3, 1
	s_mul_i32 s3, s22, s23
	v_cmp_gt_i32_e32 vcc, s3, v0
	s_and_saveexec_b64 s[16:17], vcc
	s_cbranch_execz .LBB92_4
; %bb.2:
	s_load_dwordx2 s[30:31], s[0:1], 0x8
	s_load_dword s34, s[0:1], 0x8c
	s_lshl_b64 s[18:19], s[26:27], 1
	s_add_u32 s18, s24, s18
	s_mul_i32 s5, s2, s5
	s_mul_hi_u32 s33, s2, s4
	s_addc_u32 s19, s25, s19
	s_add_i32 s5, s33, s5
	s_mul_i32 s4, s2, s4
	s_ashr_i32 s23, s22, 31
	s_lshl_b64 s[4:5], s[4:5], 2
	s_waitcnt lgkmcnt(0)
	s_add_u32 s4, s30, s4
	s_addc_u32 s5, s31, s5
	s_abs_i32 s33, s22
	v_cvt_f32_u32_e32 v1, s33
	s_sub_i32 s30, 0, s33
	s_and_b32 s34, s34, 0xffff
	s_sub_i32 s35, 0, s22
	v_rcp_iflag_f32_e32 v1, v1
	s_nop 0
	v_mul_f32_e32 v1, 0x4f7ffffe, v1
	v_cvt_u32_f32_e32 v1, v1
	v_mul_lo_u32 v2, s30, v1
	v_mul_hi_u32 v2, v1, v2
	v_add_u32_e32 v1, v1, v2
	s_mov_b64 s[30:31], 0
	v_mov_b32_e32 v2, v0
.LBB92_3:                               ; =>This Inner Loop Header: Depth=1
	v_sub_u32_e32 v4, 0, v2
	v_max_i32_e32 v4, v2, v4
	v_mul_hi_u32 v5, v4, v1
	v_mul_lo_u32 v6, v5, s33
	v_sub_u32_e32 v4, v4, v6
	v_add_u32_e32 v7, 1, v5
	v_cmp_le_u32_e32 vcc, s33, v4
	v_subrev_u32_e32 v6, s33, v4
	v_ashrrev_i32_e32 v3, 31, v2
	v_cndmask_b32_e32 v5, v5, v7, vcc
	v_cndmask_b32_e32 v4, v4, v6, vcc
	v_add_u32_e32 v6, 1, v5
	v_cmp_le_u32_e32 vcc, s33, v4
	v_xor_b32_e32 v3, s23, v3
	s_nop 0
	v_cndmask_b32_e32 v4, v5, v6, vcc
	v_xor_b32_e32 v4, v4, v3
	v_sub_u32_e32 v3, v4, v3
	v_mad_u64_u32 v[4:5], s[36:37], s35, v3, v[2:3]
	v_ashrrev_i32_e32 v8, 31, v3
	v_ashrrev_i32_e32 v5, 31, v4
	v_mul_lo_u32 v10, v3, s7
	v_mad_u64_u32 v[6:7], s[36:37], v3, s6, 0
	v_mul_lo_u32 v3, v8, s6
	v_lshl_add_u64 v[8:9], v[4:5], 1, s[18:19]
	v_add3_u32 v7, v7, v10, v3
	v_lshl_add_u64 v[10:11], s[22:23], 1, v[8:9]
	global_load_ushort v3, v[8:9], off
	global_load_ushort v12, v[10:11], off
	v_lshl_add_u64 v[6:7], v[6:7], 2, s[4:5]
	v_lshl_add_u64 v[4:5], v[4:5], 2, v[6:7]
	;; [unrolled: 1-line block ×3, first 2 shown]
	global_load_dword v8, v[4:5], off
	global_load_dword v9, v[6:7], off
	v_add_u32_e32 v2, s34, v2
	v_cmp_le_i32_e32 vcc, s3, v2
	s_or_b64 s[30:31], vcc, s[30:31]
	s_waitcnt vmcnt(3)
	v_cvt_f32_f16_e32 v10, v3
	s_waitcnt vmcnt(2)
	v_cvt_f32_f16_e32 v11, v12
	s_waitcnt vmcnt(0)
	v_mul_f32_e32 v10, v9, v10
	v_mul_f32_e32 v9, v9, v11
	v_fma_mix_f32 v3, v8, v3, -v9 op_sel_hi:[0,1,0]
	v_fma_mix_f32 v10, v8, v12, v10 op_sel_hi:[0,1,0]
	global_store_dword v[4:5], v3, off
	global_store_dword v[6:7], v10, off
	s_andn2_b64 exec, exec, s[30:31]
	s_cbranch_execnz .LBB92_3
.LBB92_4:
	s_or_b64 exec, exec, s[16:17]
	s_load_dwordx4 s[16:19], s[0:1], 0x68
	s_waitcnt lgkmcnt(0)
	s_ashr_i32 s35, s19, 31
	s_mov_b32 s34, s19
	s_or_b64 s[4:5], s[28:29], s[34:35]
	s_mov_b32 s4, 0
	s_cmp_lg_u64 s[4:5], 0
	s_cbranch_scc0 .LBB92_14
; %bb.5:
	s_add_u32 s4, s34, s35
	s_mov_b32 s6, s35
	s_mov_b32 s7, s35
	s_addc_u32 s5, s35, s35
	s_xor_b64 s[36:37], s[4:5], s[6:7]
	v_cvt_f32_u32_e32 v1, s36
	v_cvt_f32_u32_e32 v2, s37
	s_sub_u32 s3, 0, s36
	s_subb_u32 s4, 0, s37
	v_fmamk_f32 v1, v2, 0x4f800000, v1
	v_rcp_f32_e32 v1, v1
	s_nop 0
	v_mul_f32_e32 v1, 0x5f7ffffc, v1
	v_mul_f32_e32 v2, 0x2f800000, v1
	v_trunc_f32_e32 v2, v2
	v_fmamk_f32 v1, v2, 0xcf800000, v1
	v_cvt_u32_f32_e32 v2, v2
	v_cvt_u32_f32_e32 v1, v1
	v_readfirstlane_b32 s5, v2
	v_readfirstlane_b32 s19, v1
	s_mul_i32 s23, s3, s5
	s_mul_hi_u32 s38, s3, s19
	s_mul_i32 s33, s4, s19
	s_add_i32 s23, s38, s23
	s_add_i32 s23, s23, s33
	s_mul_i32 s39, s3, s19
	s_mul_hi_u32 s33, s19, s23
	s_mul_i32 s38, s19, s23
	s_mul_hi_u32 s19, s19, s39
	s_add_u32 s19, s19, s38
	s_addc_u32 s33, 0, s33
	s_mul_hi_u32 s40, s5, s39
	s_mul_i32 s39, s5, s39
	s_add_u32 s19, s19, s39
	s_mul_hi_u32 s38, s5, s23
	s_addc_u32 s19, s33, s40
	s_addc_u32 s33, s38, 0
	s_mul_i32 s23, s5, s23
	s_add_u32 s19, s19, s23
	s_addc_u32 s23, 0, s33
	v_add_co_u32_e32 v1, vcc, s19, v1
	s_cmp_lg_u64 vcc, 0
	s_addc_u32 s5, s5, s23
	v_readfirstlane_b32 s23, v1
	s_mul_i32 s19, s3, s5
	s_mul_hi_u32 s33, s3, s23
	s_add_i32 s19, s33, s19
	s_mul_i32 s4, s4, s23
	s_add_i32 s19, s19, s4
	s_mul_i32 s3, s3, s23
	s_mul_hi_u32 s33, s5, s3
	s_mul_i32 s38, s5, s3
	s_mul_i32 s40, s23, s19
	s_mul_hi_u32 s3, s23, s3
	s_mul_hi_u32 s39, s23, s19
	s_add_u32 s3, s3, s40
	s_addc_u32 s23, 0, s39
	s_add_u32 s3, s3, s38
	s_mul_hi_u32 s4, s5, s19
	s_addc_u32 s3, s23, s33
	s_addc_u32 s4, s4, 0
	s_mul_i32 s19, s5, s19
	s_add_u32 s3, s3, s19
	s_addc_u32 s4, 0, s4
	v_add_co_u32_e32 v1, vcc, s3, v1
	s_cmp_lg_u64 vcc, 0
	s_addc_u32 s3, s5, s4
	s_ashr_i32 s38, s29, 31
	s_add_u32 s4, s28, s38
	s_mov_b32 s39, s38
	s_addc_u32 s5, s29, s38
	s_xor_b64 s[40:41], s[4:5], s[38:39]
	v_readfirstlane_b32 s19, v1
	s_mul_i32 s5, s40, s3
	s_mul_hi_u32 s23, s40, s19
	s_mul_hi_u32 s4, s40, s3
	s_add_u32 s5, s23, s5
	s_addc_u32 s4, 0, s4
	s_mul_hi_u32 s33, s41, s19
	s_mul_i32 s19, s41, s19
	s_add_u32 s5, s5, s19
	s_mul_hi_u32 s23, s41, s3
	s_addc_u32 s4, s4, s33
	s_addc_u32 s5, s23, 0
	s_mul_i32 s3, s41, s3
	s_add_u32 s3, s4, s3
	s_addc_u32 s19, 0, s5
	s_mul_i32 s4, s36, s19
	s_mul_hi_u32 s5, s36, s3
	s_add_i32 s4, s5, s4
	s_mul_i32 s5, s37, s3
	s_add_i32 s23, s4, s5
	s_mul_i32 s5, s36, s3
	v_mov_b32_e32 v1, s5
	s_sub_i32 s4, s41, s23
	v_sub_co_u32_e32 v1, vcc, s40, v1
	s_cmp_lg_u64 vcc, 0
	s_subb_u32 s33, s4, s37
	v_subrev_co_u32_e64 v2, s[4:5], s36, v1
	s_cmp_lg_u64 s[4:5], 0
	s_subb_u32 s4, s33, 0
	s_cmp_ge_u32 s4, s37
	v_readfirstlane_b32 s33, v2
	s_cselect_b32 s5, -1, 0
	s_cmp_ge_u32 s33, s36
	s_cselect_b32 s33, -1, 0
	s_cmp_eq_u32 s4, s37
	s_cselect_b32 s4, s33, s5
	s_add_u32 s5, s3, 1
	s_addc_u32 s33, s19, 0
	s_add_u32 s40, s3, 2
	s_addc_u32 s42, s19, 0
	s_cmp_lg_u32 s4, 0
	s_cselect_b32 s4, s40, s5
	s_cselect_b32 s5, s42, s33
	s_cmp_lg_u64 vcc, 0
	s_subb_u32 s23, s41, s23
	s_cmp_ge_u32 s23, s37
	v_readfirstlane_b32 s40, v1
	s_cselect_b32 s33, -1, 0
	s_cmp_ge_u32 s40, s36
	s_cselect_b32 s36, -1, 0
	s_cmp_eq_u32 s23, s37
	s_cselect_b32 s23, s36, s33
	s_cmp_lg_u32 s23, 0
	s_cselect_b32 s5, s5, s19
	s_cselect_b32 s4, s4, s3
	s_xor_b64 s[6:7], s[38:39], s[6:7]
	s_xor_b64 s[4:5], s[4:5], s[6:7]
	s_sub_u32 s6, s4, s6
	s_subb_u32 s7, s5, s7
	s_cbranch_execnz .LBB92_7
.LBB92_6:
	v_cvt_f32_u32_e32 v1, s34
	s_sub_i32 s3, 0, s34
	s_mov_b32 s7, 0
	v_rcp_iflag_f32_e32 v1, v1
	s_nop 0
	v_mul_f32_e32 v1, 0x4f7ffffe, v1
	v_cvt_u32_f32_e32 v1, v1
	s_nop 0
	v_readfirstlane_b32 s4, v1
	s_mul_i32 s3, s3, s4
	s_mul_hi_u32 s3, s4, s3
	s_add_i32 s4, s4, s3
	s_mul_hi_u32 s3, s28, s4
	s_mul_i32 s5, s3, s34
	s_sub_i32 s5, s28, s5
	s_add_i32 s4, s3, 1
	s_sub_i32 s6, s5, s34
	s_cmp_ge_u32 s5, s34
	s_cselect_b32 s3, s4, s3
	s_cselect_b32 s5, s6, s5
	s_add_i32 s4, s3, 1
	s_cmp_ge_u32 s5, s34
	s_cselect_b32 s6, s4, s3
.LBB92_7:
	s_mul_i32 s3, s6, s35
	s_mul_hi_u32 s4, s6, s34
	s_load_dwordx2 s[30:31], s[0:1], 0x78
	s_add_i32 s3, s4, s3
	s_mul_i32 s4, s7, s34
	s_add_i32 s3, s3, s4
	s_mul_i32 s4, s6, s34
	s_sub_u32 s33, s28, s4
	s_subb_u32 s3, s29, s3
	v_cmp_gt_i32_e32 vcc, s22, v0
	s_mul_hi_u32 s43, s6, s16
	s_mul_i32 s44, s7, s16
	s_mul_i32 s45, s6, s16
	s_mul_hi_u32 s42, s33, s17
	s_mul_i32 s7, s3, s17
	s_mul_i32 s19, s33, s17
	s_and_saveexec_b64 s[28:29], vcc
	s_cbranch_execz .LBB92_10
; %bb.8:
	s_ashr_i32 s3, s16, 31
	s_ashr_i32 s4, s17, 31
	s_mul_i32 s3, s6, s3
	s_mul_i32 s4, s33, s4
	s_add_i32 s3, s43, s3
	s_add_i32 s4, s42, s4
	s_ashr_i32 s23, s22, 31
	s_add_i32 s3, s3, s44
	s_add_i32 s4, s4, s7
	s_add_u32 s38, s45, s19
	s_load_dword s5, s[0:1], 0x8c
	s_addc_u32 s39, s3, s4
	s_add_u32 s3, s38, s20
	s_addc_u32 s4, s39, s21
	s_ashr_i32 s40, s18, 31
	s_add_u32 s34, s3, s18
	s_addc_u32 s35, s4, s40
	s_waitcnt lgkmcnt(0)
	s_and_b32 s46, s5, 0xffff
	s_lshl_b64 s[4:5], s[26:27], 1
	v_mov_b32_e32 v1, 0
	s_add_u32 s4, s24, s4
	v_lshlrev_b32_e32 v2, 1, v0
	v_mov_b32_e32 v3, v1
	s_addc_u32 s5, s25, s5
	v_lshl_add_u64 v[2:3], s[4:5], 0, v[2:3]
	s_mul_i32 s4, s9, s2
	s_mul_hi_u32 s5, s8, s2
	s_add_i32 s5, s5, s4
	s_mul_i32 s4, s8, s2
	s_lshl_b32 s36, s46, 1
	s_lshl_b64 s[24:25], s[22:23], 1
	s_lshl_b64 s[26:27], s[22:23], 2
	;; [unrolled: 1-line block ×3, first 2 shown]
	s_add_u32 s4, s12, s4
	v_lshlrev_b32_e32 v4, 2, v0
	v_mov_b32_e32 v5, v1
	s_addc_u32 s5, s13, s5
	s_lshl_b32 s8, s46, 2
	v_lshl_add_u64 v[4:5], s[4:5], 0, v[4:5]
	s_add_u32 s4, s38, s22
	s_load_dword s3, s[30:31], 0x0
	s_addc_u32 s5, s39, s23
	s_add_u32 s4, s4, s18
	s_addc_u32 s5, s5, s40
	s_mov_b32 s37, 0
	s_add_u32 s12, s20, s4
	s_mov_b32 s9, s37
	s_addc_u32 s13, s21, s5
	s_mov_b64 s[38:39], 0
	s_mov_b32 s23, 0x7f800000
	s_mov_b32 s47, 0x43700000
	v_mov_b32_e32 v6, 0xc3700000
	s_mov_b64 s[40:41], 0
.LBB92_9:                               ; =>This Inner Loop Header: Depth=1
	global_load_ushort v7, v[2:3], off
	v_lshl_add_u64 v[8:9], v[2:3], 0, s[24:25]
	v_lshl_add_u64 v[10:11], v[4:5], 0, s[26:27]
	global_load_dword v14, v[4:5], off
	global_load_ushort v15, v[8:9], off
	global_load_dword v16, v[10:11], off
	s_add_u32 s40, s40, s46
	v_add_u32_e32 v19, s40, v0
	v_cmp_le_i32_e32 vcc, s22, v19
	s_addc_u32 s41, s41, 0
	v_lshl_add_u64 v[12:13], s[12:13], 0, v[0:1]
	s_add_u32 s12, s12, s46
	s_addc_u32 s13, s13, 0
	v_lshl_add_u64 v[8:9], s[34:35], 0, v[0:1]
	s_add_u32 s34, s34, s46
	s_addc_u32 s35, s35, 0
	s_or_b64 s[38:39], vcc, s[38:39]
	v_mov_b32_e32 v17, 0
	v_mov_b32_e32 v18, 0
	v_lshl_add_u64 v[2:3], v[2:3], 0, s[36:37]
	s_waitcnt vmcnt(3)
	v_cvt_f32_f16_e32 v19, v7
	s_waitcnt vmcnt(1)
	v_cvt_f32_f16_e32 v20, v15
	s_waitcnt vmcnt(0)
	v_mul_f32_e32 v19, v16, v19
	v_fma_mix_f32 v15, v14, v15, v19 op_sel_hi:[0,1,0]
	v_mul_f32_e32 v16, v16, v20
	v_fma_mix_f32 v7, v14, v7, -v16 op_sel_hi:[0,1,0]
	v_lshlrev_b32_e32 v14, 16, v15
	global_store_dword v[4:5], v7, off
	v_lshlrev_b32_e32 v7, 16, v7
	s_waitcnt lgkmcnt(0)
	v_div_scale_f32 v16, s[4:5], s3, s3, v14
	v_div_scale_f32 v20, s[48:49], s3, s3, v7
	v_rcp_f32_e32 v22, v16
	v_rcp_f32_e32 v23, v20
	v_div_scale_f32 v19, s[4:5], v14, s3, v14
	v_fma_f32 v24, -v16, v22, 1.0
	v_fma_f32 v25, -v20, v23, 1.0
	v_div_scale_f32 v21, vcc, v7, s3, v7
	v_fmac_f32_e32 v22, v24, v22
	v_fmac_f32_e32 v23, v25, v23
	v_mul_f32_e32 v24, v19, v22
	v_mul_f32_e32 v25, v21, v23
	v_fma_f32 v26, -v16, v24, v19
	v_fma_f32 v27, -v20, v25, v21
	v_fmac_f32_e32 v24, v26, v22
	v_fmac_f32_e32 v25, v27, v23
	v_fma_f32 v16, -v16, v24, v19
	v_fma_f32 v19, -v20, v25, v21
	v_div_fmas_f32 v19, v19, v23, v25
	s_mov_b64 vcc, s[4:5]
	v_div_fixup_f32 v7, v19, s3, v7
	v_div_fmas_f32 v16, v16, v22, v24
	v_med3_f32 v19, v7, s47, v6
	v_div_fixup_f32 v14, v16, s3, v14
	v_cmp_nlg_f32_e64 vcc, |v7|, s23
	v_med3_f32 v16, v14, s47, v6
	v_lshl_add_u64 v[4:5], v[4:5], 0, s[8:9]
	v_cndmask_b32_e32 v7, v19, v7, vcc
	v_cmp_nlg_f32_e64 vcc, |v14|, s23
	v_cvt_pk_fp8_f32 v17, v7, v7
	global_store_dword v[10:11], v15, off
	v_cndmask_b32_e32 v7, v16, v14, vcc
	v_cvt_pk_fp8_f32 v18, v7, v7
	global_store_byte v[8:9], v17, off
	global_store_byte v[12:13], v18, off
	s_andn2_b64 exec, exec, s[38:39]
	s_cbranch_execnz .LBB92_9
.LBB92_10:
	s_or_b64 exec, exec, s[28:29]
	v_cmp_gt_i32_e32 vcc, s18, v0
	s_and_saveexec_b64 s[4:5], vcc
	s_cbranch_execz .LBB92_13
; %bb.11:
	s_mul_i32 s3, s2, s11
	s_mul_hi_u32 s4, s2, s10
	s_add_i32 s3, s4, s3
	s_mul_i32 s2, s2, s10
	s_lshl_b64 s[2:3], s[2:3], 2
	s_add_u32 s2, s14, s2
	s_addc_u32 s3, s15, s3
	s_ashr_i32 s4, s16, 31
	s_mul_i32 s4, s6, s4
	s_add_i32 s4, s43, s4
	s_add_i32 s4, s4, s44
	s_add_u32 s5, s20, s45
	s_addc_u32 s4, s21, s4
	s_ashr_i32 s6, s17, 31
	s_mul_i32 s33, s33, s6
	s_add_i32 s6, s42, s33
	s_add_i32 s6, s6, s7
	s_load_dword s8, s[0:1], 0x8c
	s_add_u32 s0, s5, s19
	s_addc_u32 s1, s4, s6
	s_waitcnt lgkmcnt(0)
	s_load_dword s6, s[30:31], 0x0
	s_mov_b64 s[4:5], 0
	s_and_b32 s7, s8, 0xffff
	s_mov_b32 s8, 0x7f800000
	s_mov_b32 s9, 0x43700000
	v_mov_b32_e32 v2, 0xc3700000
.LBB92_12:                              ; =>This Inner Loop Header: Depth=1
	v_ashrrev_i32_e32 v1, 31, v0
	v_lshl_add_u64 v[4:5], v[0:1], 2, s[2:3]
	global_load_ushort v3, v[4:5], off
	v_mov_b32_e32 v6, 0
	s_waitcnt vmcnt(0)
	v_lshlrev_b32_e32 v3, 16, v3
	s_waitcnt lgkmcnt(0)
	v_div_scale_f32 v4, s[10:11], s6, s6, v3
	v_rcp_f32_e32 v5, v4
	v_div_scale_f32 v7, vcc, v3, s6, v3
	v_fma_f32 v8, -v4, v5, 1.0
	v_fmac_f32_e32 v5, v8, v5
	v_mul_f32_e32 v8, v7, v5
	v_fma_f32 v9, -v4, v8, v7
	v_fmac_f32_e32 v8, v9, v5
	v_fma_f32 v4, -v4, v8, v7
	v_div_fmas_f32 v4, v4, v5, v8
	v_div_fixup_f32 v3, v4, s6, v3
	v_med3_f32 v4, v3, s9, v2
	v_cmp_nlg_f32_e64 vcc, |v3|, s8
	s_nop 1
	v_cndmask_b32_e32 v3, v4, v3, vcc
	v_cvt_pk_fp8_f32 v6, v3, v3
	v_lshl_add_u64 v[4:5], s[0:1], 0, v[0:1]
	v_add_u32_e32 v0, s7, v0
	v_cmp_le_i32_e32 vcc, s18, v0
	s_or_b64 s[4:5], vcc, s[4:5]
	global_store_byte v[4:5], v6, off
	s_andn2_b64 exec, exec, s[4:5]
	s_cbranch_execnz .LBB92_12
.LBB92_13:
	s_endpgm
.LBB92_14:
                                        ; implicit-def: $sgpr6_sgpr7
	s_branch .LBB92_6
	.section	.rodata,"a",@progbits
	.p2align	6, 0x0
	.amdhsa_kernel _ZN4vllm38concat_and_cache_mla_rope_fused_kernelIfN3c104HalfELb1E14__hip_bfloat16hLNS_18Fp8KVCacheDataTypeE1EEEvPKlPT_S8_PKS7_PKT0_illlliPT3_S6_iiiiPKf
		.amdhsa_group_segment_fixed_size 0
		.amdhsa_private_segment_fixed_size 0
		.amdhsa_kernarg_size 384
		.amdhsa_user_sgpr_count 2
		.amdhsa_user_sgpr_dispatch_ptr 0
		.amdhsa_user_sgpr_queue_ptr 0
		.amdhsa_user_sgpr_kernarg_segment_ptr 1
		.amdhsa_user_sgpr_dispatch_id 0
		.amdhsa_user_sgpr_kernarg_preload_length 0
		.amdhsa_user_sgpr_kernarg_preload_offset 0
		.amdhsa_user_sgpr_private_segment_size 0
		.amdhsa_uses_dynamic_stack 0
		.amdhsa_enable_private_segment 0
		.amdhsa_system_sgpr_workgroup_id_x 1
		.amdhsa_system_sgpr_workgroup_id_y 0
		.amdhsa_system_sgpr_workgroup_id_z 0
		.amdhsa_system_sgpr_workgroup_info 0
		.amdhsa_system_vgpr_workitem_id 0
		.amdhsa_next_free_vgpr 28
		.amdhsa_next_free_sgpr 50
		.amdhsa_accum_offset 28
		.amdhsa_reserve_vcc 1
		.amdhsa_float_round_mode_32 0
		.amdhsa_float_round_mode_16_64 0
		.amdhsa_float_denorm_mode_32 3
		.amdhsa_float_denorm_mode_16_64 3
		.amdhsa_dx10_clamp 1
		.amdhsa_ieee_mode 1
		.amdhsa_fp16_overflow 0
		.amdhsa_tg_split 0
		.amdhsa_exception_fp_ieee_invalid_op 0
		.amdhsa_exception_fp_denorm_src 0
		.amdhsa_exception_fp_ieee_div_zero 0
		.amdhsa_exception_fp_ieee_overflow 0
		.amdhsa_exception_fp_ieee_underflow 0
		.amdhsa_exception_fp_ieee_inexact 0
		.amdhsa_exception_int_div_zero 0
	.end_amdhsa_kernel
	.section	.text._ZN4vllm38concat_and_cache_mla_rope_fused_kernelIfN3c104HalfELb1E14__hip_bfloat16hLNS_18Fp8KVCacheDataTypeE1EEEvPKlPT_S8_PKS7_PKT0_illlliPT3_S6_iiiiPKf,"axG",@progbits,_ZN4vllm38concat_and_cache_mla_rope_fused_kernelIfN3c104HalfELb1E14__hip_bfloat16hLNS_18Fp8KVCacheDataTypeE1EEEvPKlPT_S8_PKS7_PKT0_illlliPT3_S6_iiiiPKf,comdat
.Lfunc_end92:
	.size	_ZN4vllm38concat_and_cache_mla_rope_fused_kernelIfN3c104HalfELb1E14__hip_bfloat16hLNS_18Fp8KVCacheDataTypeE1EEEvPKlPT_S8_PKS7_PKT0_illlliPT3_S6_iiiiPKf, .Lfunc_end92-_ZN4vllm38concat_and_cache_mla_rope_fused_kernelIfN3c104HalfELb1E14__hip_bfloat16hLNS_18Fp8KVCacheDataTypeE1EEEvPKlPT_S8_PKS7_PKT0_illlliPT3_S6_iiiiPKf
                                        ; -- End function
	.section	.AMDGPU.csdata,"",@progbits
; Kernel info:
; codeLenInByte = 2372
; NumSgprs: 56
; NumVgprs: 28
; NumAgprs: 0
; TotalNumVgprs: 28
; ScratchSize: 0
; MemoryBound: 0
; FloatMode: 240
; IeeeMode: 1
; LDSByteSize: 0 bytes/workgroup (compile time only)
; SGPRBlocks: 6
; VGPRBlocks: 3
; NumSGPRsForWavesPerEU: 56
; NumVGPRsForWavesPerEU: 28
; AccumOffset: 28
; Occupancy: 8
; WaveLimiterHint : 1
; COMPUTE_PGM_RSRC2:SCRATCH_EN: 0
; COMPUTE_PGM_RSRC2:USER_SGPR: 2
; COMPUTE_PGM_RSRC2:TRAP_HANDLER: 0
; COMPUTE_PGM_RSRC2:TGID_X_EN: 1
; COMPUTE_PGM_RSRC2:TGID_Y_EN: 0
; COMPUTE_PGM_RSRC2:TGID_Z_EN: 0
; COMPUTE_PGM_RSRC2:TIDIG_COMP_CNT: 0
; COMPUTE_PGM_RSRC3_GFX90A:ACCUM_OFFSET: 6
; COMPUTE_PGM_RSRC3_GFX90A:TG_SPLIT: 0
	.section	.text._ZN4vllm38concat_and_cache_mla_rope_fused_kernelIfN3c104HalfELb0E14__hip_bfloat16hLNS_18Fp8KVCacheDataTypeE1EEEvPKlPT_S8_PKS7_PKT0_illlliPT3_S6_iiiiPKf,"axG",@progbits,_ZN4vllm38concat_and_cache_mla_rope_fused_kernelIfN3c104HalfELb0E14__hip_bfloat16hLNS_18Fp8KVCacheDataTypeE1EEEvPKlPT_S8_PKS7_PKT0_illlliPT3_S6_iiiiPKf,comdat
	.protected	_ZN4vllm38concat_and_cache_mla_rope_fused_kernelIfN3c104HalfELb0E14__hip_bfloat16hLNS_18Fp8KVCacheDataTypeE1EEEvPKlPT_S8_PKS7_PKT0_illlliPT3_S6_iiiiPKf ; -- Begin function _ZN4vllm38concat_and_cache_mla_rope_fused_kernelIfN3c104HalfELb0E14__hip_bfloat16hLNS_18Fp8KVCacheDataTypeE1EEEvPKlPT_S8_PKS7_PKT0_illlliPT3_S6_iiiiPKf
	.globl	_ZN4vllm38concat_and_cache_mla_rope_fused_kernelIfN3c104HalfELb0E14__hip_bfloat16hLNS_18Fp8KVCacheDataTypeE1EEEvPKlPT_S8_PKS7_PKT0_illlliPT3_S6_iiiiPKf
	.p2align	8
	.type	_ZN4vllm38concat_and_cache_mla_rope_fused_kernelIfN3c104HalfELb0E14__hip_bfloat16hLNS_18Fp8KVCacheDataTypeE1EEEvPKlPT_S8_PKS7_PKT0_illlliPT3_S6_iiiiPKf,@function
_ZN4vllm38concat_and_cache_mla_rope_fused_kernelIfN3c104HalfELb0E14__hip_bfloat16hLNS_18Fp8KVCacheDataTypeE1EEEvPKlPT_S8_PKS7_PKT0_illlliPT3_S6_iiiiPKf: ; @_ZN4vllm38concat_and_cache_mla_rope_fused_kernelIfN3c104HalfELb0E14__hip_bfloat16hLNS_18Fp8KVCacheDataTypeE1EEEvPKlPT_S8_PKS7_PKT0_illlliPT3_S6_iiiiPKf
; %bb.0:
	s_load_dwordx2 s[6:7], s[0:1], 0x60
	s_mov_b32 s3, 0
	s_lshl_b64 s[4:5], s[2:3], 3
	s_waitcnt lgkmcnt(0)
	s_add_u32 s6, s6, s4
	s_addc_u32 s7, s7, s5
	s_load_dwordx2 s[26:27], s[6:7], 0x0
	s_waitcnt lgkmcnt(0)
	v_cmp_lt_i64_e64 s[6:7], s[26:27], 0
	s_and_b64 vcc, exec, s[6:7]
	s_cbranch_vccnz .LBB93_13
; %bb.1:
	s_load_dword s3, s[0:1], 0x28
	s_load_dwordx2 s[6:7], s[0:1], 0x0
	s_load_dwordx4 s[12:15], s[0:1], 0x10
	v_lshlrev_b32_e32 v2, 1, v0
	s_waitcnt lgkmcnt(0)
	s_ashr_i32 s22, s3, 31
	s_add_u32 s16, s6, s4
	s_addc_u32 s17, s7, s5
	s_load_dwordx2 s[18:19], s[16:17], 0x0
	s_load_dwordx2 s[24:25], s[0:1], 0x20
	s_load_dwordx8 s[4:11], s[0:1], 0x30
	s_load_dwordx2 s[20:21], s[0:1], 0x58
	s_load_dword s23, s[0:1], 0x50
	s_waitcnt lgkmcnt(0)
	s_mul_i32 s16, s18, s22
	s_mul_hi_u32 s17, s18, s3
	s_mul_i32 s19, s19, s3
	s_add_i32 s16, s17, s16
	s_add_i32 s29, s16, s19
	s_lshr_b32 s16, s3, 31
	s_mul_i32 s28, s18, s3
	s_add_i32 s3, s3, s16
	s_ashr_i32 s22, s3, 1
	s_mul_i32 s3, s22, s23
	v_cmp_gt_i32_e32 vcc, s3, v0
	s_and_saveexec_b64 s[16:17], vcc
	s_cbranch_execz .LBB93_4
; %bb.2:
	s_load_dwordx2 s[30:31], s[0:1], 0x8
	s_load_dword s34, s[0:1], 0x8c
	s_lshl_b64 s[18:19], s[28:29], 1
	s_add_u32 s18, s24, s18
	s_mul_i32 s5, s2, s5
	s_mul_hi_u32 s33, s2, s4
	s_addc_u32 s19, s25, s19
	s_add_i32 s5, s33, s5
	s_mul_i32 s4, s2, s4
	s_ashr_i32 s23, s22, 31
	s_lshl_b64 s[4:5], s[4:5], 2
	s_waitcnt lgkmcnt(0)
	s_add_u32 s4, s30, s4
	s_addc_u32 s5, s31, s5
	s_abs_i32 s33, s22
	v_cvt_f32_u32_e32 v1, s33
	s_sub_i32 s30, 0, s33
	s_and_b32 s34, s34, 0xffff
	s_sub_i32 s35, 0, s22
	v_rcp_iflag_f32_e32 v1, v1
	s_lshl_b32 s37, s34, 1
	v_mov_b32_e32 v4, v2
	v_mov_b32_e32 v6, v0
	v_mul_f32_e32 v1, 0x4f7ffffe, v1
	v_cvt_u32_f32_e32 v1, v1
	v_mul_lo_u32 v3, s30, v1
	v_mul_hi_u32 v3, v1, v3
	s_lshl_b32 s30, s22, 1
	v_add_u32_e32 v1, v1, v3
	s_sub_i32 s36, 0, s30
	s_mov_b64 s[30:31], 0
.LBB93_3:                               ; =>This Inner Loop Header: Depth=1
	v_sub_u32_e32 v5, 0, v6
	v_max_i32_e32 v5, v6, v5
	v_mul_hi_u32 v7, v5, v1
	v_mul_lo_u32 v8, v7, s33
	v_sub_u32_e32 v5, v5, v8
	v_add_u32_e32 v9, 1, v7
	v_cmp_le_u32_e32 vcc, s33, v5
	v_subrev_u32_e32 v8, s33, v5
	v_ashrrev_i32_e32 v3, 31, v6
	v_cndmask_b32_e32 v7, v7, v9, vcc
	v_cndmask_b32_e32 v5, v5, v8, vcc
	v_add_u32_e32 v8, 1, v7
	v_cmp_le_u32_e32 vcc, s33, v5
	v_xor_b32_e32 v3, s23, v3
	s_nop 0
	v_cndmask_b32_e32 v5, v7, v8, vcc
	v_xor_b32_e32 v5, v5, v3
	v_sub_u32_e32 v3, v5, v3
	v_mad_u64_u32 v[8:9], s[38:39], s35, v3, v[6:7]
	v_ashrrev_i32_e32 v5, 31, v3
	v_ashrrev_i32_e32 v9, 31, v8
	v_mul_lo_u32 v7, v3, s7
	v_mad_u64_u32 v[10:11], s[38:39], v3, s6, 0
	v_mad_u64_u32 v[12:13], s[38:39], s36, v3, v[4:5]
	v_mul_lo_u32 v3, v5, s6
	v_lshl_add_u64 v[8:9], v[8:9], 1, s[18:19]
	v_add3_u32 v11, v11, v7, v3
	v_lshl_add_u64 v[14:15], s[22:23], 1, v[8:9]
	global_load_ushort v3, v[8:9], off
	global_load_ushort v5, v[14:15], off
	v_ashrrev_i32_e32 v13, 31, v12
	v_lshl_add_u64 v[10:11], v[10:11], 2, s[4:5]
	v_lshl_add_u64 v[8:9], v[12:13], 2, v[10:11]
	global_load_dwordx2 v[10:11], v[8:9], off
	v_add_u32_e32 v6, s34, v6
	v_cmp_le_i32_e32 vcc, s3, v6
	v_add_u32_e32 v4, s37, v4
	s_or_b64 s[30:31], vcc, s[30:31]
	s_waitcnt vmcnt(2)
	v_cvt_f32_f16_e32 v7, v3
	s_waitcnt vmcnt(1)
	v_cvt_f32_f16_e32 v12, v5
	s_waitcnt vmcnt(0)
	v_mul_f32_e32 v7, v11, v7
	v_mul_f32_e32 v12, v11, v12
	v_fma_mix_f32 v11, v10, v5, v7 op_sel_hi:[0,1,0]
	v_fma_mix_f32 v10, v10, v3, -v12 op_sel_hi:[0,1,0]
	global_store_dwordx2 v[8:9], v[10:11], off
	s_andn2_b64 exec, exec, s[30:31]
	s_cbranch_execnz .LBB93_3
.LBB93_4:
	s_or_b64 exec, exec, s[16:17]
	s_load_dwordx4 s[16:19], s[0:1], 0x68
	s_waitcnt lgkmcnt(0)
	s_ashr_i32 s35, s19, 31
	s_mov_b32 s34, s19
	s_or_b64 s[4:5], s[26:27], s[34:35]
	s_mov_b32 s4, 0
	s_cmp_lg_u64 s[4:5], 0
	s_cbranch_scc0 .LBB93_14
; %bb.5:
	s_add_u32 s4, s34, s35
	s_mov_b32 s6, s35
	s_mov_b32 s7, s35
	s_addc_u32 s5, s35, s35
	s_xor_b64 s[36:37], s[4:5], s[6:7]
	v_cvt_f32_u32_e32 v1, s36
	v_cvt_f32_u32_e32 v3, s37
	s_sub_u32 s3, 0, s36
	s_subb_u32 s4, 0, s37
	v_fmamk_f32 v1, v3, 0x4f800000, v1
	v_rcp_f32_e32 v1, v1
	s_nop 0
	v_mul_f32_e32 v1, 0x5f7ffffc, v1
	v_mul_f32_e32 v3, 0x2f800000, v1
	v_trunc_f32_e32 v3, v3
	v_fmamk_f32 v1, v3, 0xcf800000, v1
	v_cvt_u32_f32_e32 v3, v3
	v_cvt_u32_f32_e32 v1, v1
	v_readfirstlane_b32 s5, v3
	v_readfirstlane_b32 s19, v1
	s_mul_i32 s23, s3, s5
	s_mul_hi_u32 s38, s3, s19
	s_mul_i32 s33, s4, s19
	s_add_i32 s23, s38, s23
	s_add_i32 s23, s23, s33
	s_mul_i32 s39, s3, s19
	s_mul_hi_u32 s33, s19, s23
	s_mul_i32 s38, s19, s23
	s_mul_hi_u32 s19, s19, s39
	s_add_u32 s19, s19, s38
	s_addc_u32 s33, 0, s33
	s_mul_hi_u32 s40, s5, s39
	s_mul_i32 s39, s5, s39
	s_add_u32 s19, s19, s39
	s_mul_hi_u32 s38, s5, s23
	s_addc_u32 s19, s33, s40
	s_addc_u32 s33, s38, 0
	s_mul_i32 s23, s5, s23
	s_add_u32 s19, s19, s23
	s_addc_u32 s23, 0, s33
	v_add_co_u32_e32 v1, vcc, s19, v1
	s_cmp_lg_u64 vcc, 0
	s_addc_u32 s5, s5, s23
	v_readfirstlane_b32 s23, v1
	s_mul_i32 s19, s3, s5
	s_mul_hi_u32 s33, s3, s23
	s_add_i32 s19, s33, s19
	s_mul_i32 s4, s4, s23
	s_add_i32 s19, s19, s4
	s_mul_i32 s3, s3, s23
	s_mul_hi_u32 s33, s5, s3
	s_mul_i32 s38, s5, s3
	s_mul_i32 s40, s23, s19
	s_mul_hi_u32 s3, s23, s3
	s_mul_hi_u32 s39, s23, s19
	s_add_u32 s3, s3, s40
	s_addc_u32 s23, 0, s39
	s_add_u32 s3, s3, s38
	s_mul_hi_u32 s4, s5, s19
	s_addc_u32 s3, s23, s33
	s_addc_u32 s4, s4, 0
	s_mul_i32 s19, s5, s19
	s_add_u32 s3, s3, s19
	s_addc_u32 s4, 0, s4
	v_add_co_u32_e32 v1, vcc, s3, v1
	s_cmp_lg_u64 vcc, 0
	s_addc_u32 s3, s5, s4
	s_ashr_i32 s38, s27, 31
	s_add_u32 s4, s26, s38
	s_mov_b32 s39, s38
	s_addc_u32 s5, s27, s38
	s_xor_b64 s[40:41], s[4:5], s[38:39]
	v_readfirstlane_b32 s19, v1
	s_mul_i32 s5, s40, s3
	s_mul_hi_u32 s23, s40, s19
	s_mul_hi_u32 s4, s40, s3
	s_add_u32 s5, s23, s5
	s_addc_u32 s4, 0, s4
	s_mul_hi_u32 s33, s41, s19
	s_mul_i32 s19, s41, s19
	s_add_u32 s5, s5, s19
	s_mul_hi_u32 s23, s41, s3
	s_addc_u32 s4, s4, s33
	s_addc_u32 s5, s23, 0
	s_mul_i32 s3, s41, s3
	s_add_u32 s3, s4, s3
	s_addc_u32 s19, 0, s5
	s_mul_i32 s4, s36, s19
	s_mul_hi_u32 s5, s36, s3
	s_add_i32 s4, s5, s4
	s_mul_i32 s5, s37, s3
	s_add_i32 s23, s4, s5
	s_mul_i32 s5, s36, s3
	v_mov_b32_e32 v1, s5
	s_sub_i32 s4, s41, s23
	v_sub_co_u32_e32 v1, vcc, s40, v1
	s_cmp_lg_u64 vcc, 0
	s_subb_u32 s33, s4, s37
	v_subrev_co_u32_e64 v3, s[4:5], s36, v1
	s_cmp_lg_u64 s[4:5], 0
	s_subb_u32 s4, s33, 0
	s_cmp_ge_u32 s4, s37
	v_readfirstlane_b32 s33, v3
	s_cselect_b32 s5, -1, 0
	s_cmp_ge_u32 s33, s36
	s_cselect_b32 s33, -1, 0
	s_cmp_eq_u32 s4, s37
	s_cselect_b32 s4, s33, s5
	s_add_u32 s5, s3, 1
	s_addc_u32 s33, s19, 0
	s_add_u32 s40, s3, 2
	s_addc_u32 s42, s19, 0
	s_cmp_lg_u32 s4, 0
	s_cselect_b32 s4, s40, s5
	s_cselect_b32 s5, s42, s33
	s_cmp_lg_u64 vcc, 0
	s_subb_u32 s23, s41, s23
	s_cmp_ge_u32 s23, s37
	v_readfirstlane_b32 s40, v1
	s_cselect_b32 s33, -1, 0
	s_cmp_ge_u32 s40, s36
	s_cselect_b32 s36, -1, 0
	s_cmp_eq_u32 s23, s37
	s_cselect_b32 s23, s36, s33
	s_cmp_lg_u32 s23, 0
	s_cselect_b32 s5, s5, s19
	s_cselect_b32 s4, s4, s3
	s_xor_b64 s[6:7], s[38:39], s[6:7]
	s_xor_b64 s[4:5], s[4:5], s[6:7]
	s_sub_u32 s6, s4, s6
	s_subb_u32 s7, s5, s7
	s_cbranch_execnz .LBB93_7
.LBB93_6:
	v_cvt_f32_u32_e32 v1, s34
	s_sub_i32 s3, 0, s34
	s_mov_b32 s7, 0
	v_rcp_iflag_f32_e32 v1, v1
	s_nop 0
	v_mul_f32_e32 v1, 0x4f7ffffe, v1
	v_cvt_u32_f32_e32 v1, v1
	s_nop 0
	v_readfirstlane_b32 s4, v1
	s_mul_i32 s3, s3, s4
	s_mul_hi_u32 s3, s4, s3
	s_add_i32 s4, s4, s3
	s_mul_hi_u32 s3, s26, s4
	s_mul_i32 s5, s3, s34
	s_sub_i32 s5, s26, s5
	s_add_i32 s4, s3, 1
	s_sub_i32 s6, s5, s34
	s_cmp_ge_u32 s5, s34
	s_cselect_b32 s3, s4, s3
	s_cselect_b32 s5, s6, s5
	s_add_i32 s4, s3, 1
	s_cmp_ge_u32 s5, s34
	s_cselect_b32 s6, s4, s3
.LBB93_7:
	s_mul_i32 s3, s6, s35
	s_mul_hi_u32 s4, s6, s34
	s_load_dwordx2 s[30:31], s[0:1], 0x78
	s_add_i32 s3, s4, s3
	s_mul_i32 s4, s7, s34
	s_add_i32 s3, s3, s4
	s_mul_i32 s4, s6, s34
	s_sub_u32 s33, s26, s4
	s_subb_u32 s3, s27, s3
	v_cmp_gt_i32_e32 vcc, s22, v0
	s_mul_hi_u32 s35, s6, s16
	s_mul_i32 s36, s7, s16
	s_mul_i32 s37, s6, s16
	s_mul_hi_u32 s34, s33, s17
	s_mul_i32 s7, s3, s17
	s_mul_i32 s19, s33, s17
	s_and_saveexec_b64 s[26:27], vcc
	s_cbranch_execz .LBB93_10
; %bb.8:
	s_ashr_i32 s3, s16, 31
	s_mul_i32 s3, s6, s3
	s_load_dword s4, s[0:1], 0x8c
	s_add_i32 s3, s35, s3
	s_add_i32 s39, s3, s36
	s_ashr_i32 s3, s17, 31
	s_mul_i32 s3, s33, s3
	s_add_i32 s3, s34, s3
	s_ashr_i32 s23, s22, 31
	s_add_i32 s40, s3, s7
	s_ashr_i32 s41, s18, 31
	s_waitcnt lgkmcnt(0)
	s_and_b32 s38, s4, 0xffff
	s_lshl_b64 s[4:5], s[28:29], 1
	s_add_u32 s4, s24, s4
	v_mov_b32_e32 v3, 0
	s_addc_u32 s5, s25, s5
	s_lshl_b32 s24, s38, 1
	v_lshl_add_u64 v[4:5], s[4:5], 0, v[2:3]
	s_add_u32 s4, s37, s19
	s_addc_u32 s5, s39, s40
	v_lshl_add_u64 v[6:7], s[22:23], 1, v[4:5]
	s_add_u32 s23, s20, s18
	s_addc_u32 s25, s21, s41
	s_add_u32 s4, s23, s4
	s_addc_u32 s5, s25, s5
	v_lshl_add_u64 v[8:9], s[4:5], 0, v[2:3]
	s_mul_i32 s4, s9, s2
	s_mul_hi_u32 s5, s8, s2
	s_add_i32 s5, s5, s4
	s_mul_i32 s4, s8, s2
	s_load_dword s3, s[30:31], 0x0
	s_lshl_b64 s[4:5], s[4:5], 2
	s_add_u32 s4, s12, s4
	v_lshlrev_b32_e32 v2, 3, v0
	s_addc_u32 s5, s13, s5
	v_lshl_add_u64 v[2:3], s[4:5], 0, v[2:3]
	s_mov_b32 s29, 0
	v_lshl_add_u64 v[8:9], v[8:9], 0, 1
	v_lshl_add_u64 v[2:3], v[2:3], 0, 4
	s_lshl_b32 s28, s38, 3
	s_mov_b64 s[8:9], 0
	s_mov_b32 s23, 0x7f800000
	s_mov_b32 s25, 0x43700000
	v_mov_b32_e32 v1, 0xc3700000
	s_mov_b64 s[12:13], 0
	v_mov_b32_e32 v10, v0
.LBB93_9:                               ; =>This Inner Loop Header: Depth=1
	v_lshl_add_u64 v[14:15], v[6:7], 0, s[12:13]
	v_lshl_add_u64 v[12:13], v[4:5], 0, s[12:13]
	global_load_ushort v11, v[14:15], off
	global_load_ushort v18, v[12:13], off
	global_load_dwordx2 v[16:17], v[2:3], off offset:-4
	v_lshl_add_u64 v[12:13], v[8:9], 0, s[12:13]
	v_add_u32_e32 v10, s38, v10
	s_add_u32 s12, s12, s24
	s_addc_u32 s13, s13, 0
	v_cmp_le_i32_e32 vcc, s22, v10
	s_or_b64 s[8:9], vcc, s[8:9]
	v_mov_b32_e32 v20, 0
	v_mov_b32_e32 v19, 0
	s_waitcnt vmcnt(2)
	v_cvt_f32_f16_e32 v14, v11
	s_waitcnt vmcnt(1)
	v_cvt_f32_f16_e32 v15, v18
	s_waitcnt vmcnt(0)
	v_mul_f32_e32 v14, v17, v14
	v_mul_f32_e32 v15, v17, v15
	v_fma_mix_f32 v14, v16, v18, -v14 op_sel_hi:[0,1,0]
	v_fma_mix_f32 v15, v16, v11, v15 op_sel_hi:[0,1,0]
	v_lshlrev_b32_e32 v11, 16, v14
	v_lshlrev_b32_e32 v16, 16, v15
	s_waitcnt lgkmcnt(0)
	v_div_scale_f32 v17, s[4:5], s3, s3, v11
	v_div_scale_f32 v21, s[4:5], s3, s3, v16
	v_rcp_f32_e32 v23, v17
	v_rcp_f32_e32 v24, v21
	v_div_scale_f32 v18, vcc, v11, s3, v11
	v_fma_f32 v25, -v17, v23, 1.0
	v_fma_f32 v26, -v21, v24, 1.0
	v_fmac_f32_e32 v23, v25, v23
	v_div_scale_f32 v22, s[4:5], v16, s3, v16
	v_fmac_f32_e32 v24, v26, v24
	v_mul_f32_e32 v25, v18, v23
	v_mul_f32_e32 v26, v22, v24
	v_fma_f32 v27, -v17, v25, v18
	v_fma_f32 v28, -v21, v26, v22
	v_fmac_f32_e32 v25, v27, v23
	v_fmac_f32_e32 v26, v28, v24
	v_fma_f32 v17, -v17, v25, v18
	v_fma_f32 v18, -v21, v26, v22
	v_div_fmas_f32 v17, v17, v23, v25
	s_mov_b64 vcc, s[4:5]
	v_div_fixup_f32 v11, v17, s3, v11
	v_div_fmas_f32 v17, v18, v24, v26
	v_med3_f32 v18, v11, s25, v1
	v_div_fixup_f32 v16, v17, s3, v16
	v_cmp_nlg_f32_e64 vcc, |v11|, s23
	v_med3_f32 v17, v16, s25, v1
	global_store_dwordx2 v[2:3], v[14:15], off offset:-4
	v_cndmask_b32_e32 v11, v18, v11, vcc
	v_cmp_nlg_f32_e64 vcc, |v16|, s23
	v_cvt_pk_fp8_f32 v19, v11, v11
	v_lshl_add_u64 v[2:3], v[2:3], 0, s[28:29]
	v_cndmask_b32_e32 v16, v17, v16, vcc
	v_cvt_pk_fp8_f32 v20, v16, v16
	v_lshlrev_b16_e32 v11, 8, v20
	v_or_b32_sdwa v11, v19, v11 dst_sel:DWORD dst_unused:UNUSED_PAD src0_sel:BYTE_0 src1_sel:DWORD
	global_store_short v[12:13], v11, off offset:-1
	s_andn2_b64 exec, exec, s[8:9]
	s_cbranch_execnz .LBB93_9
.LBB93_10:
	s_or_b64 exec, exec, s[26:27]
	v_cmp_gt_i32_e32 vcc, s18, v0
	s_and_saveexec_b64 s[4:5], vcc
	s_cbranch_execz .LBB93_13
; %bb.11:
	s_mul_i32 s3, s2, s11
	s_mul_hi_u32 s4, s2, s10
	s_add_i32 s3, s4, s3
	s_mul_i32 s2, s2, s10
	s_lshl_b64 s[2:3], s[2:3], 2
	s_add_u32 s2, s14, s2
	s_addc_u32 s3, s15, s3
	s_ashr_i32 s4, s16, 31
	s_mul_i32 s4, s6, s4
	s_add_i32 s4, s35, s4
	s_add_i32 s4, s4, s36
	s_add_u32 s5, s20, s37
	s_addc_u32 s4, s21, s4
	s_ashr_i32 s6, s17, 31
	s_mul_i32 s33, s33, s6
	s_add_i32 s6, s34, s33
	s_add_i32 s6, s6, s7
	s_load_dword s8, s[0:1], 0x8c
	s_add_u32 s0, s5, s19
	s_addc_u32 s1, s4, s6
	s_waitcnt lgkmcnt(0)
	s_load_dword s6, s[30:31], 0x0
	s_mov_b64 s[4:5], 0
	s_and_b32 s7, s8, 0xffff
	s_mov_b32 s8, 0x7f800000
	s_mov_b32 s9, 0x43700000
	v_mov_b32_e32 v2, 0xc3700000
.LBB93_12:                              ; =>This Inner Loop Header: Depth=1
	v_ashrrev_i32_e32 v1, 31, v0
	v_lshl_add_u64 v[4:5], v[0:1], 2, s[2:3]
	global_load_ushort v3, v[4:5], off
	v_mov_b32_e32 v6, 0
	s_waitcnt vmcnt(0)
	v_lshlrev_b32_e32 v3, 16, v3
	s_waitcnt lgkmcnt(0)
	v_div_scale_f32 v4, s[10:11], s6, s6, v3
	v_rcp_f32_e32 v5, v4
	v_div_scale_f32 v7, vcc, v3, s6, v3
	v_fma_f32 v8, -v4, v5, 1.0
	v_fmac_f32_e32 v5, v8, v5
	v_mul_f32_e32 v8, v7, v5
	v_fma_f32 v9, -v4, v8, v7
	v_fmac_f32_e32 v8, v9, v5
	v_fma_f32 v4, -v4, v8, v7
	v_div_fmas_f32 v4, v4, v5, v8
	v_div_fixup_f32 v3, v4, s6, v3
	v_med3_f32 v4, v3, s9, v2
	v_cmp_nlg_f32_e64 vcc, |v3|, s8
	s_nop 1
	v_cndmask_b32_e32 v3, v4, v3, vcc
	v_cvt_pk_fp8_f32 v6, v3, v3
	v_lshl_add_u64 v[4:5], s[0:1], 0, v[0:1]
	v_add_u32_e32 v0, s7, v0
	v_cmp_le_i32_e32 vcc, s18, v0
	s_or_b64 s[4:5], vcc, s[4:5]
	global_store_byte v[4:5], v6, off
	s_andn2_b64 exec, exec, s[4:5]
	s_cbranch_execnz .LBB93_12
.LBB93_13:
	s_endpgm
.LBB93_14:
                                        ; implicit-def: $sgpr6_sgpr7
	s_branch .LBB93_6
	.section	.rodata,"a",@progbits
	.p2align	6, 0x0
	.amdhsa_kernel _ZN4vllm38concat_and_cache_mla_rope_fused_kernelIfN3c104HalfELb0E14__hip_bfloat16hLNS_18Fp8KVCacheDataTypeE1EEEvPKlPT_S8_PKS7_PKT0_illlliPT3_S6_iiiiPKf
		.amdhsa_group_segment_fixed_size 0
		.amdhsa_private_segment_fixed_size 0
		.amdhsa_kernarg_size 384
		.amdhsa_user_sgpr_count 2
		.amdhsa_user_sgpr_dispatch_ptr 0
		.amdhsa_user_sgpr_queue_ptr 0
		.amdhsa_user_sgpr_kernarg_segment_ptr 1
		.amdhsa_user_sgpr_dispatch_id 0
		.amdhsa_user_sgpr_kernarg_preload_length 0
		.amdhsa_user_sgpr_kernarg_preload_offset 0
		.amdhsa_user_sgpr_private_segment_size 0
		.amdhsa_uses_dynamic_stack 0
		.amdhsa_enable_private_segment 0
		.amdhsa_system_sgpr_workgroup_id_x 1
		.amdhsa_system_sgpr_workgroup_id_y 0
		.amdhsa_system_sgpr_workgroup_id_z 0
		.amdhsa_system_sgpr_workgroup_info 0
		.amdhsa_system_vgpr_workitem_id 0
		.amdhsa_next_free_vgpr 29
		.amdhsa_next_free_sgpr 43
		.amdhsa_accum_offset 32
		.amdhsa_reserve_vcc 1
		.amdhsa_float_round_mode_32 0
		.amdhsa_float_round_mode_16_64 0
		.amdhsa_float_denorm_mode_32 3
		.amdhsa_float_denorm_mode_16_64 3
		.amdhsa_dx10_clamp 1
		.amdhsa_ieee_mode 1
		.amdhsa_fp16_overflow 0
		.amdhsa_tg_split 0
		.amdhsa_exception_fp_ieee_invalid_op 0
		.amdhsa_exception_fp_denorm_src 0
		.amdhsa_exception_fp_ieee_div_zero 0
		.amdhsa_exception_fp_ieee_overflow 0
		.amdhsa_exception_fp_ieee_underflow 0
		.amdhsa_exception_fp_ieee_inexact 0
		.amdhsa_exception_int_div_zero 0
	.end_amdhsa_kernel
	.section	.text._ZN4vllm38concat_and_cache_mla_rope_fused_kernelIfN3c104HalfELb0E14__hip_bfloat16hLNS_18Fp8KVCacheDataTypeE1EEEvPKlPT_S8_PKS7_PKT0_illlliPT3_S6_iiiiPKf,"axG",@progbits,_ZN4vllm38concat_and_cache_mla_rope_fused_kernelIfN3c104HalfELb0E14__hip_bfloat16hLNS_18Fp8KVCacheDataTypeE1EEEvPKlPT_S8_PKS7_PKT0_illlliPT3_S6_iiiiPKf,comdat
.Lfunc_end93:
	.size	_ZN4vllm38concat_and_cache_mla_rope_fused_kernelIfN3c104HalfELb0E14__hip_bfloat16hLNS_18Fp8KVCacheDataTypeE1EEEvPKlPT_S8_PKS7_PKT0_illlliPT3_S6_iiiiPKf, .Lfunc_end93-_ZN4vllm38concat_and_cache_mla_rope_fused_kernelIfN3c104HalfELb0E14__hip_bfloat16hLNS_18Fp8KVCacheDataTypeE1EEEvPKlPT_S8_PKS7_PKT0_illlliPT3_S6_iiiiPKf
                                        ; -- End function
	.section	.AMDGPU.csdata,"",@progbits
; Kernel info:
; codeLenInByte = 2324
; NumSgprs: 49
; NumVgprs: 29
; NumAgprs: 0
; TotalNumVgprs: 29
; ScratchSize: 0
; MemoryBound: 0
; FloatMode: 240
; IeeeMode: 1
; LDSByteSize: 0 bytes/workgroup (compile time only)
; SGPRBlocks: 6
; VGPRBlocks: 3
; NumSGPRsForWavesPerEU: 49
; NumVGPRsForWavesPerEU: 29
; AccumOffset: 32
; Occupancy: 8
; WaveLimiterHint : 1
; COMPUTE_PGM_RSRC2:SCRATCH_EN: 0
; COMPUTE_PGM_RSRC2:USER_SGPR: 2
; COMPUTE_PGM_RSRC2:TRAP_HANDLER: 0
; COMPUTE_PGM_RSRC2:TGID_X_EN: 1
; COMPUTE_PGM_RSRC2:TGID_Y_EN: 0
; COMPUTE_PGM_RSRC2:TGID_Z_EN: 0
; COMPUTE_PGM_RSRC2:TIDIG_COMP_CNT: 0
; COMPUTE_PGM_RSRC3_GFX90A:ACCUM_OFFSET: 7
; COMPUTE_PGM_RSRC3_GFX90A:TG_SPLIT: 0
	.section	.text._ZN4vllm38concat_and_cache_mla_rope_fused_kernelIfN3c108BFloat16ELb1E14__hip_bfloat16hLNS_18Fp8KVCacheDataTypeE1EEEvPKlPT_S8_PKS7_PKT0_illlliPT3_S6_iiiiPKf,"axG",@progbits,_ZN4vllm38concat_and_cache_mla_rope_fused_kernelIfN3c108BFloat16ELb1E14__hip_bfloat16hLNS_18Fp8KVCacheDataTypeE1EEEvPKlPT_S8_PKS7_PKT0_illlliPT3_S6_iiiiPKf,comdat
	.protected	_ZN4vllm38concat_and_cache_mla_rope_fused_kernelIfN3c108BFloat16ELb1E14__hip_bfloat16hLNS_18Fp8KVCacheDataTypeE1EEEvPKlPT_S8_PKS7_PKT0_illlliPT3_S6_iiiiPKf ; -- Begin function _ZN4vllm38concat_and_cache_mla_rope_fused_kernelIfN3c108BFloat16ELb1E14__hip_bfloat16hLNS_18Fp8KVCacheDataTypeE1EEEvPKlPT_S8_PKS7_PKT0_illlliPT3_S6_iiiiPKf
	.globl	_ZN4vllm38concat_and_cache_mla_rope_fused_kernelIfN3c108BFloat16ELb1E14__hip_bfloat16hLNS_18Fp8KVCacheDataTypeE1EEEvPKlPT_S8_PKS7_PKT0_illlliPT3_S6_iiiiPKf
	.p2align	8
	.type	_ZN4vllm38concat_and_cache_mla_rope_fused_kernelIfN3c108BFloat16ELb1E14__hip_bfloat16hLNS_18Fp8KVCacheDataTypeE1EEEvPKlPT_S8_PKS7_PKT0_illlliPT3_S6_iiiiPKf,@function
_ZN4vllm38concat_and_cache_mla_rope_fused_kernelIfN3c108BFloat16ELb1E14__hip_bfloat16hLNS_18Fp8KVCacheDataTypeE1EEEvPKlPT_S8_PKS7_PKT0_illlliPT3_S6_iiiiPKf: ; @_ZN4vllm38concat_and_cache_mla_rope_fused_kernelIfN3c108BFloat16ELb1E14__hip_bfloat16hLNS_18Fp8KVCacheDataTypeE1EEEvPKlPT_S8_PKS7_PKT0_illlliPT3_S6_iiiiPKf
; %bb.0:
	s_load_dwordx2 s[6:7], s[0:1], 0x60
	s_mov_b32 s3, 0
	s_lshl_b64 s[4:5], s[2:3], 3
	s_waitcnt lgkmcnt(0)
	s_add_u32 s6, s6, s4
	s_addc_u32 s7, s7, s5
	s_load_dwordx2 s[28:29], s[6:7], 0x0
	s_waitcnt lgkmcnt(0)
	v_cmp_lt_i64_e64 s[6:7], s[28:29], 0
	s_and_b64 vcc, exec, s[6:7]
	s_cbranch_vccnz .LBB94_13
; %bb.1:
	s_load_dword s3, s[0:1], 0x28
	s_load_dwordx2 s[6:7], s[0:1], 0x0
	s_load_dwordx4 s[12:15], s[0:1], 0x10
	s_waitcnt lgkmcnt(0)
	s_ashr_i32 s22, s3, 31
	s_add_u32 s16, s6, s4
	s_addc_u32 s17, s7, s5
	s_load_dwordx2 s[18:19], s[16:17], 0x0
	s_load_dwordx2 s[24:25], s[0:1], 0x20
	s_load_dwordx8 s[4:11], s[0:1], 0x30
	s_load_dwordx2 s[20:21], s[0:1], 0x58
	s_load_dword s23, s[0:1], 0x50
	s_waitcnt lgkmcnt(0)
	s_mul_i32 s16, s18, s22
	s_mul_hi_u32 s17, s18, s3
	s_mul_i32 s19, s19, s3
	s_add_i32 s16, s17, s16
	s_add_i32 s27, s16, s19
	s_lshr_b32 s16, s3, 31
	s_mul_i32 s26, s18, s3
	s_add_i32 s3, s3, s16
	s_ashr_i32 s22, s3, 1
	s_mul_i32 s3, s22, s23
	v_cmp_gt_i32_e32 vcc, s3, v0
	s_and_saveexec_b64 s[16:17], vcc
	s_cbranch_execz .LBB94_4
; %bb.2:
	s_load_dwordx2 s[30:31], s[0:1], 0x8
	s_load_dword s34, s[0:1], 0x8c
	s_lshl_b64 s[18:19], s[26:27], 1
	s_add_u32 s18, s24, s18
	s_mul_i32 s5, s2, s5
	s_mul_hi_u32 s33, s2, s4
	s_addc_u32 s19, s25, s19
	s_add_i32 s5, s33, s5
	s_mul_i32 s4, s2, s4
	s_ashr_i32 s23, s22, 31
	s_lshl_b64 s[4:5], s[4:5], 2
	s_waitcnt lgkmcnt(0)
	s_add_u32 s4, s30, s4
	s_addc_u32 s5, s31, s5
	s_abs_i32 s33, s22
	v_cvt_f32_u32_e32 v1, s33
	s_sub_i32 s30, 0, s33
	s_and_b32 s34, s34, 0xffff
	s_sub_i32 s35, 0, s22
	v_rcp_iflag_f32_e32 v1, v1
	s_nop 0
	v_mul_f32_e32 v1, 0x4f7ffffe, v1
	v_cvt_u32_f32_e32 v1, v1
	v_mul_lo_u32 v2, s30, v1
	v_mul_hi_u32 v2, v1, v2
	v_add_u32_e32 v1, v1, v2
	s_mov_b64 s[30:31], 0
	v_mov_b32_e32 v2, v0
.LBB94_3:                               ; =>This Inner Loop Header: Depth=1
	v_sub_u32_e32 v4, 0, v2
	v_max_i32_e32 v4, v2, v4
	v_mul_hi_u32 v5, v4, v1
	v_mul_lo_u32 v6, v5, s33
	v_sub_u32_e32 v4, v4, v6
	v_add_u32_e32 v7, 1, v5
	v_cmp_le_u32_e32 vcc, s33, v4
	v_subrev_u32_e32 v6, s33, v4
	v_ashrrev_i32_e32 v3, 31, v2
	v_cndmask_b32_e32 v5, v5, v7, vcc
	v_cndmask_b32_e32 v4, v4, v6, vcc
	v_add_u32_e32 v6, 1, v5
	v_cmp_le_u32_e32 vcc, s33, v4
	v_xor_b32_e32 v3, s23, v3
	s_nop 0
	v_cndmask_b32_e32 v4, v5, v6, vcc
	v_xor_b32_e32 v4, v4, v3
	v_sub_u32_e32 v3, v4, v3
	v_ashrrev_i32_e32 v8, 31, v3
	v_mad_u64_u32 v[4:5], s[36:37], s35, v3, v[2:3]
	v_mul_lo_u32 v10, v3, s7
	v_mad_u64_u32 v[6:7], s[36:37], v3, s6, 0
	v_mul_lo_u32 v3, v8, s6
	v_ashrrev_i32_e32 v5, 31, v4
	v_add3_u32 v7, v7, v10, v3
	v_lshl_add_u64 v[8:9], v[4:5], 1, s[18:19]
	v_lshl_add_u64 v[6:7], v[6:7], 2, s[4:5]
	;; [unrolled: 1-line block ×3, first 2 shown]
	global_load_ushort v3, v[8:9], off
	global_load_ushort v12, v[10:11], off
	v_lshl_add_u64 v[4:5], v[4:5], 2, v[6:7]
	v_lshl_add_u64 v[6:7], s[22:23], 2, v[4:5]
	global_load_dword v8, v[4:5], off
	global_load_dword v9, v[6:7], off
	v_add_u32_e32 v2, s34, v2
	v_cmp_le_i32_e32 vcc, s3, v2
	s_or_b64 s[30:31], vcc, s[30:31]
	s_waitcnt vmcnt(3)
	v_lshlrev_b32_e32 v3, 16, v3
	s_waitcnt vmcnt(2)
	v_lshlrev_b32_e32 v10, 16, v12
	s_waitcnt vmcnt(1)
	v_mul_f32_e32 v11, v8, v10
	s_waitcnt vmcnt(0)
	v_mul_f32_e32 v10, v9, v10
	v_fmac_f32_e32 v11, v9, v3
	v_fma_f32 v3, v8, v3, -v10
	global_store_dword v[4:5], v3, off
	global_store_dword v[6:7], v11, off
	s_andn2_b64 exec, exec, s[30:31]
	s_cbranch_execnz .LBB94_3
.LBB94_4:
	s_or_b64 exec, exec, s[16:17]
	s_load_dwordx4 s[16:19], s[0:1], 0x68
	s_waitcnt lgkmcnt(0)
	s_ashr_i32 s35, s19, 31
	s_mov_b32 s34, s19
	s_or_b64 s[4:5], s[28:29], s[34:35]
	s_mov_b32 s4, 0
	s_cmp_lg_u64 s[4:5], 0
	s_cbranch_scc0 .LBB94_14
; %bb.5:
	s_add_u32 s4, s34, s35
	s_mov_b32 s6, s35
	s_mov_b32 s7, s35
	s_addc_u32 s5, s35, s35
	s_xor_b64 s[36:37], s[4:5], s[6:7]
	v_cvt_f32_u32_e32 v1, s36
	v_cvt_f32_u32_e32 v2, s37
	s_sub_u32 s3, 0, s36
	s_subb_u32 s4, 0, s37
	v_fmamk_f32 v1, v2, 0x4f800000, v1
	v_rcp_f32_e32 v1, v1
	s_nop 0
	v_mul_f32_e32 v1, 0x5f7ffffc, v1
	v_mul_f32_e32 v2, 0x2f800000, v1
	v_trunc_f32_e32 v2, v2
	v_fmamk_f32 v1, v2, 0xcf800000, v1
	v_cvt_u32_f32_e32 v2, v2
	v_cvt_u32_f32_e32 v1, v1
	v_readfirstlane_b32 s5, v2
	v_readfirstlane_b32 s19, v1
	s_mul_i32 s23, s3, s5
	s_mul_hi_u32 s38, s3, s19
	s_mul_i32 s33, s4, s19
	s_add_i32 s23, s38, s23
	s_add_i32 s23, s23, s33
	s_mul_i32 s39, s3, s19
	s_mul_hi_u32 s33, s19, s23
	s_mul_i32 s38, s19, s23
	s_mul_hi_u32 s19, s19, s39
	s_add_u32 s19, s19, s38
	s_addc_u32 s33, 0, s33
	s_mul_hi_u32 s40, s5, s39
	s_mul_i32 s39, s5, s39
	s_add_u32 s19, s19, s39
	s_mul_hi_u32 s38, s5, s23
	s_addc_u32 s19, s33, s40
	s_addc_u32 s33, s38, 0
	s_mul_i32 s23, s5, s23
	s_add_u32 s19, s19, s23
	s_addc_u32 s23, 0, s33
	v_add_co_u32_e32 v1, vcc, s19, v1
	s_cmp_lg_u64 vcc, 0
	s_addc_u32 s5, s5, s23
	v_readfirstlane_b32 s23, v1
	s_mul_i32 s19, s3, s5
	s_mul_hi_u32 s33, s3, s23
	s_add_i32 s19, s33, s19
	s_mul_i32 s4, s4, s23
	s_add_i32 s19, s19, s4
	s_mul_i32 s3, s3, s23
	s_mul_hi_u32 s33, s5, s3
	s_mul_i32 s38, s5, s3
	s_mul_i32 s40, s23, s19
	s_mul_hi_u32 s3, s23, s3
	s_mul_hi_u32 s39, s23, s19
	s_add_u32 s3, s3, s40
	s_addc_u32 s23, 0, s39
	s_add_u32 s3, s3, s38
	s_mul_hi_u32 s4, s5, s19
	s_addc_u32 s3, s23, s33
	s_addc_u32 s4, s4, 0
	s_mul_i32 s19, s5, s19
	s_add_u32 s3, s3, s19
	s_addc_u32 s4, 0, s4
	v_add_co_u32_e32 v1, vcc, s3, v1
	s_cmp_lg_u64 vcc, 0
	s_addc_u32 s3, s5, s4
	s_ashr_i32 s38, s29, 31
	s_add_u32 s4, s28, s38
	s_mov_b32 s39, s38
	s_addc_u32 s5, s29, s38
	s_xor_b64 s[40:41], s[4:5], s[38:39]
	v_readfirstlane_b32 s19, v1
	s_mul_i32 s5, s40, s3
	s_mul_hi_u32 s23, s40, s19
	s_mul_hi_u32 s4, s40, s3
	s_add_u32 s5, s23, s5
	s_addc_u32 s4, 0, s4
	s_mul_hi_u32 s33, s41, s19
	s_mul_i32 s19, s41, s19
	s_add_u32 s5, s5, s19
	s_mul_hi_u32 s23, s41, s3
	s_addc_u32 s4, s4, s33
	s_addc_u32 s5, s23, 0
	s_mul_i32 s3, s41, s3
	s_add_u32 s3, s4, s3
	s_addc_u32 s19, 0, s5
	s_mul_i32 s4, s36, s19
	s_mul_hi_u32 s5, s36, s3
	s_add_i32 s4, s5, s4
	s_mul_i32 s5, s37, s3
	s_add_i32 s23, s4, s5
	s_mul_i32 s5, s36, s3
	v_mov_b32_e32 v1, s5
	s_sub_i32 s4, s41, s23
	v_sub_co_u32_e32 v1, vcc, s40, v1
	s_cmp_lg_u64 vcc, 0
	s_subb_u32 s33, s4, s37
	v_subrev_co_u32_e64 v2, s[4:5], s36, v1
	s_cmp_lg_u64 s[4:5], 0
	s_subb_u32 s4, s33, 0
	s_cmp_ge_u32 s4, s37
	v_readfirstlane_b32 s33, v2
	s_cselect_b32 s5, -1, 0
	s_cmp_ge_u32 s33, s36
	s_cselect_b32 s33, -1, 0
	s_cmp_eq_u32 s4, s37
	s_cselect_b32 s4, s33, s5
	s_add_u32 s5, s3, 1
	s_addc_u32 s33, s19, 0
	s_add_u32 s40, s3, 2
	s_addc_u32 s42, s19, 0
	s_cmp_lg_u32 s4, 0
	s_cselect_b32 s4, s40, s5
	s_cselect_b32 s5, s42, s33
	s_cmp_lg_u64 vcc, 0
	s_subb_u32 s23, s41, s23
	s_cmp_ge_u32 s23, s37
	v_readfirstlane_b32 s40, v1
	s_cselect_b32 s33, -1, 0
	s_cmp_ge_u32 s40, s36
	s_cselect_b32 s36, -1, 0
	s_cmp_eq_u32 s23, s37
	s_cselect_b32 s23, s36, s33
	s_cmp_lg_u32 s23, 0
	s_cselect_b32 s5, s5, s19
	s_cselect_b32 s4, s4, s3
	s_xor_b64 s[6:7], s[38:39], s[6:7]
	s_xor_b64 s[4:5], s[4:5], s[6:7]
	s_sub_u32 s6, s4, s6
	s_subb_u32 s7, s5, s7
	s_cbranch_execnz .LBB94_7
.LBB94_6:
	v_cvt_f32_u32_e32 v1, s34
	s_sub_i32 s3, 0, s34
	s_mov_b32 s7, 0
	v_rcp_iflag_f32_e32 v1, v1
	s_nop 0
	v_mul_f32_e32 v1, 0x4f7ffffe, v1
	v_cvt_u32_f32_e32 v1, v1
	s_nop 0
	v_readfirstlane_b32 s4, v1
	s_mul_i32 s3, s3, s4
	s_mul_hi_u32 s3, s4, s3
	s_add_i32 s4, s4, s3
	s_mul_hi_u32 s3, s28, s4
	s_mul_i32 s5, s3, s34
	s_sub_i32 s5, s28, s5
	s_add_i32 s4, s3, 1
	s_sub_i32 s6, s5, s34
	s_cmp_ge_u32 s5, s34
	s_cselect_b32 s3, s4, s3
	s_cselect_b32 s5, s6, s5
	s_add_i32 s4, s3, 1
	s_cmp_ge_u32 s5, s34
	s_cselect_b32 s6, s4, s3
.LBB94_7:
	s_mul_i32 s3, s6, s35
	s_mul_hi_u32 s4, s6, s34
	s_load_dwordx2 s[30:31], s[0:1], 0x78
	s_add_i32 s3, s4, s3
	s_mul_i32 s4, s7, s34
	s_add_i32 s3, s3, s4
	s_mul_i32 s4, s6, s34
	s_sub_u32 s33, s28, s4
	s_subb_u32 s3, s29, s3
	v_cmp_gt_i32_e32 vcc, s22, v0
	s_mul_hi_u32 s43, s6, s16
	s_mul_i32 s44, s7, s16
	s_mul_i32 s45, s6, s16
	s_mul_hi_u32 s42, s33, s17
	s_mul_i32 s7, s3, s17
	s_mul_i32 s19, s33, s17
	s_and_saveexec_b64 s[28:29], vcc
	s_cbranch_execz .LBB94_10
; %bb.8:
	s_ashr_i32 s3, s16, 31
	s_ashr_i32 s4, s17, 31
	s_mul_i32 s3, s6, s3
	s_mul_i32 s4, s33, s4
	s_add_i32 s3, s43, s3
	s_add_i32 s4, s42, s4
	s_ashr_i32 s23, s22, 31
	s_add_i32 s3, s3, s44
	s_add_i32 s4, s4, s7
	s_add_u32 s38, s45, s19
	s_load_dword s5, s[0:1], 0x8c
	s_addc_u32 s39, s3, s4
	s_add_u32 s3, s38, s20
	s_addc_u32 s4, s39, s21
	s_ashr_i32 s40, s18, 31
	s_add_u32 s34, s3, s18
	s_addc_u32 s35, s4, s40
	s_waitcnt lgkmcnt(0)
	s_and_b32 s46, s5, 0xffff
	s_lshl_b64 s[4:5], s[26:27], 1
	v_mov_b32_e32 v1, 0
	s_add_u32 s4, s24, s4
	v_lshlrev_b32_e32 v2, 1, v0
	v_mov_b32_e32 v3, v1
	s_addc_u32 s5, s25, s5
	v_lshl_add_u64 v[2:3], s[4:5], 0, v[2:3]
	s_mul_i32 s4, s9, s2
	s_mul_hi_u32 s5, s8, s2
	s_add_i32 s5, s5, s4
	s_mul_i32 s4, s8, s2
	s_lshl_b32 s36, s46, 1
	s_lshl_b64 s[24:25], s[22:23], 1
	s_lshl_b64 s[26:27], s[22:23], 2
	;; [unrolled: 1-line block ×3, first 2 shown]
	s_add_u32 s4, s12, s4
	v_lshlrev_b32_e32 v4, 2, v0
	v_mov_b32_e32 v5, v1
	s_addc_u32 s5, s13, s5
	s_lshl_b32 s8, s46, 2
	v_lshl_add_u64 v[4:5], s[4:5], 0, v[4:5]
	s_add_u32 s4, s38, s22
	s_load_dword s3, s[30:31], 0x0
	s_addc_u32 s5, s39, s23
	s_add_u32 s4, s4, s18
	s_addc_u32 s5, s5, s40
	s_mov_b32 s37, 0
	s_add_u32 s12, s20, s4
	s_mov_b32 s9, s37
	s_addc_u32 s13, s21, s5
	s_mov_b64 s[38:39], 0
	s_mov_b32 s23, 0x7f800000
	s_mov_b32 s47, 0x43700000
	v_mov_b32_e32 v6, 0xc3700000
	s_mov_b64 s[40:41], 0
.LBB94_9:                               ; =>This Inner Loop Header: Depth=1
	global_load_ushort v7, v[2:3], off
	v_lshl_add_u64 v[8:9], v[2:3], 0, s[24:25]
	v_lshl_add_u64 v[10:11], v[4:5], 0, s[26:27]
	global_load_dword v14, v[4:5], off
	global_load_ushort v15, v[8:9], off
	global_load_dword v16, v[10:11], off
	s_add_u32 s40, s40, s46
	v_add_u32_e32 v19, s40, v0
	v_cmp_le_i32_e32 vcc, s22, v19
	s_addc_u32 s41, s41, 0
	v_lshl_add_u64 v[12:13], s[12:13], 0, v[0:1]
	s_add_u32 s12, s12, s46
	s_addc_u32 s13, s13, 0
	v_lshl_add_u64 v[8:9], s[34:35], 0, v[0:1]
	s_add_u32 s34, s34, s46
	s_addc_u32 s35, s35, 0
	s_or_b64 s[38:39], vcc, s[38:39]
	v_mov_b32_e32 v17, 0
	v_mov_b32_e32 v18, 0
	v_lshl_add_u64 v[2:3], v[2:3], 0, s[36:37]
	s_waitcnt vmcnt(3)
	v_lshlrev_b32_e32 v7, 16, v7
	s_waitcnt vmcnt(1)
	v_lshlrev_b32_e32 v15, 16, v15
	s_waitcnt vmcnt(0)
	v_mul_f32_e32 v19, v16, v15
	v_mul_f32_e32 v15, v14, v15
	v_fma_f32 v14, v14, v7, -v19
	v_fmac_f32_e32 v15, v16, v7
	v_lshlrev_b32_e32 v7, 16, v14
	global_store_dword v[4:5], v14, off
	v_lshlrev_b32_e32 v14, 16, v15
	s_waitcnt lgkmcnt(0)
	v_div_scale_f32 v16, s[4:5], s3, s3, v7
	v_div_scale_f32 v20, s[4:5], s3, s3, v14
	v_rcp_f32_e32 v22, v16
	v_rcp_f32_e32 v23, v20
	v_div_scale_f32 v19, vcc, v7, s3, v7
	v_fma_f32 v24, -v16, v22, 1.0
	v_fma_f32 v25, -v20, v23, 1.0
	v_fmac_f32_e32 v22, v24, v22
	v_div_scale_f32 v21, s[4:5], v14, s3, v14
	v_fmac_f32_e32 v23, v25, v23
	v_mul_f32_e32 v24, v19, v22
	v_mul_f32_e32 v25, v21, v23
	v_fma_f32 v26, -v16, v24, v19
	v_fma_f32 v27, -v20, v25, v21
	v_fmac_f32_e32 v24, v26, v22
	v_fmac_f32_e32 v25, v27, v23
	v_fma_f32 v16, -v16, v24, v19
	v_fma_f32 v19, -v20, v25, v21
	v_div_fmas_f32 v16, v16, v22, v24
	s_mov_b64 vcc, s[4:5]
	v_div_fixup_f32 v7, v16, s3, v7
	v_div_fmas_f32 v16, v19, v23, v25
	v_med3_f32 v19, v7, s47, v6
	v_div_fixup_f32 v14, v16, s3, v14
	v_cmp_nlg_f32_e64 vcc, |v7|, s23
	v_med3_f32 v16, v14, s47, v6
	v_lshl_add_u64 v[4:5], v[4:5], 0, s[8:9]
	v_cndmask_b32_e32 v7, v19, v7, vcc
	v_cmp_nlg_f32_e64 vcc, |v14|, s23
	v_cvt_pk_fp8_f32 v17, v7, v7
	global_store_dword v[10:11], v15, off
	v_cndmask_b32_e32 v7, v16, v14, vcc
	v_cvt_pk_fp8_f32 v18, v7, v7
	global_store_byte v[8:9], v17, off
	global_store_byte v[12:13], v18, off
	s_andn2_b64 exec, exec, s[38:39]
	s_cbranch_execnz .LBB94_9
.LBB94_10:
	s_or_b64 exec, exec, s[28:29]
	v_cmp_gt_i32_e32 vcc, s18, v0
	s_and_saveexec_b64 s[4:5], vcc
	s_cbranch_execz .LBB94_13
; %bb.11:
	s_mul_i32 s3, s2, s11
	s_mul_hi_u32 s4, s2, s10
	s_add_i32 s3, s4, s3
	s_mul_i32 s2, s2, s10
	s_lshl_b64 s[2:3], s[2:3], 2
	s_add_u32 s2, s14, s2
	s_addc_u32 s3, s15, s3
	s_ashr_i32 s4, s16, 31
	s_mul_i32 s4, s6, s4
	s_add_i32 s4, s43, s4
	s_add_i32 s4, s4, s44
	s_add_u32 s5, s20, s45
	s_addc_u32 s4, s21, s4
	s_ashr_i32 s6, s17, 31
	s_mul_i32 s33, s33, s6
	s_add_i32 s6, s42, s33
	s_add_i32 s6, s6, s7
	s_load_dword s8, s[0:1], 0x8c
	s_add_u32 s0, s5, s19
	s_addc_u32 s1, s4, s6
	s_waitcnt lgkmcnt(0)
	s_load_dword s6, s[30:31], 0x0
	s_mov_b64 s[4:5], 0
	s_and_b32 s7, s8, 0xffff
	s_mov_b32 s8, 0x7f800000
	s_mov_b32 s9, 0x43700000
	v_mov_b32_e32 v2, 0xc3700000
.LBB94_12:                              ; =>This Inner Loop Header: Depth=1
	v_ashrrev_i32_e32 v1, 31, v0
	v_lshl_add_u64 v[4:5], v[0:1], 2, s[2:3]
	global_load_ushort v3, v[4:5], off
	v_mov_b32_e32 v6, 0
	s_waitcnt vmcnt(0)
	v_lshlrev_b32_e32 v3, 16, v3
	s_waitcnt lgkmcnt(0)
	v_div_scale_f32 v4, s[10:11], s6, s6, v3
	v_rcp_f32_e32 v5, v4
	v_div_scale_f32 v7, vcc, v3, s6, v3
	v_fma_f32 v8, -v4, v5, 1.0
	v_fmac_f32_e32 v5, v8, v5
	v_mul_f32_e32 v8, v7, v5
	v_fma_f32 v9, -v4, v8, v7
	v_fmac_f32_e32 v8, v9, v5
	v_fma_f32 v4, -v4, v8, v7
	v_div_fmas_f32 v4, v4, v5, v8
	v_div_fixup_f32 v3, v4, s6, v3
	v_med3_f32 v4, v3, s9, v2
	v_cmp_nlg_f32_e64 vcc, |v3|, s8
	s_nop 1
	v_cndmask_b32_e32 v3, v4, v3, vcc
	v_cvt_pk_fp8_f32 v6, v3, v3
	v_lshl_add_u64 v[4:5], s[0:1], 0, v[0:1]
	v_add_u32_e32 v0, s7, v0
	v_cmp_le_i32_e32 vcc, s18, v0
	s_or_b64 s[4:5], vcc, s[4:5]
	global_store_byte v[4:5], v6, off
	s_andn2_b64 exec, exec, s[4:5]
	s_cbranch_execnz .LBB94_12
.LBB94_13:
	s_endpgm
.LBB94_14:
                                        ; implicit-def: $sgpr6_sgpr7
	s_branch .LBB94_6
	.section	.rodata,"a",@progbits
	.p2align	6, 0x0
	.amdhsa_kernel _ZN4vllm38concat_and_cache_mla_rope_fused_kernelIfN3c108BFloat16ELb1E14__hip_bfloat16hLNS_18Fp8KVCacheDataTypeE1EEEvPKlPT_S8_PKS7_PKT0_illlliPT3_S6_iiiiPKf
		.amdhsa_group_segment_fixed_size 0
		.amdhsa_private_segment_fixed_size 0
		.amdhsa_kernarg_size 384
		.amdhsa_user_sgpr_count 2
		.amdhsa_user_sgpr_dispatch_ptr 0
		.amdhsa_user_sgpr_queue_ptr 0
		.amdhsa_user_sgpr_kernarg_segment_ptr 1
		.amdhsa_user_sgpr_dispatch_id 0
		.amdhsa_user_sgpr_kernarg_preload_length 0
		.amdhsa_user_sgpr_kernarg_preload_offset 0
		.amdhsa_user_sgpr_private_segment_size 0
		.amdhsa_uses_dynamic_stack 0
		.amdhsa_enable_private_segment 0
		.amdhsa_system_sgpr_workgroup_id_x 1
		.amdhsa_system_sgpr_workgroup_id_y 0
		.amdhsa_system_sgpr_workgroup_id_z 0
		.amdhsa_system_sgpr_workgroup_info 0
		.amdhsa_system_vgpr_workitem_id 0
		.amdhsa_next_free_vgpr 28
		.amdhsa_next_free_sgpr 48
		.amdhsa_accum_offset 28
		.amdhsa_reserve_vcc 1
		.amdhsa_float_round_mode_32 0
		.amdhsa_float_round_mode_16_64 0
		.amdhsa_float_denorm_mode_32 3
		.amdhsa_float_denorm_mode_16_64 3
		.amdhsa_dx10_clamp 1
		.amdhsa_ieee_mode 1
		.amdhsa_fp16_overflow 0
		.amdhsa_tg_split 0
		.amdhsa_exception_fp_ieee_invalid_op 0
		.amdhsa_exception_fp_denorm_src 0
		.amdhsa_exception_fp_ieee_div_zero 0
		.amdhsa_exception_fp_ieee_overflow 0
		.amdhsa_exception_fp_ieee_underflow 0
		.amdhsa_exception_fp_ieee_inexact 0
		.amdhsa_exception_int_div_zero 0
	.end_amdhsa_kernel
	.section	.text._ZN4vllm38concat_and_cache_mla_rope_fused_kernelIfN3c108BFloat16ELb1E14__hip_bfloat16hLNS_18Fp8KVCacheDataTypeE1EEEvPKlPT_S8_PKS7_PKT0_illlliPT3_S6_iiiiPKf,"axG",@progbits,_ZN4vllm38concat_and_cache_mla_rope_fused_kernelIfN3c108BFloat16ELb1E14__hip_bfloat16hLNS_18Fp8KVCacheDataTypeE1EEEvPKlPT_S8_PKS7_PKT0_illlliPT3_S6_iiiiPKf,comdat
.Lfunc_end94:
	.size	_ZN4vllm38concat_and_cache_mla_rope_fused_kernelIfN3c108BFloat16ELb1E14__hip_bfloat16hLNS_18Fp8KVCacheDataTypeE1EEEvPKlPT_S8_PKS7_PKT0_illlliPT3_S6_iiiiPKf, .Lfunc_end94-_ZN4vllm38concat_and_cache_mla_rope_fused_kernelIfN3c108BFloat16ELb1E14__hip_bfloat16hLNS_18Fp8KVCacheDataTypeE1EEEvPKlPT_S8_PKS7_PKT0_illlliPT3_S6_iiiiPKf
                                        ; -- End function
	.section	.AMDGPU.csdata,"",@progbits
; Kernel info:
; codeLenInByte = 2368
; NumSgprs: 54
; NumVgprs: 28
; NumAgprs: 0
; TotalNumVgprs: 28
; ScratchSize: 0
; MemoryBound: 0
; FloatMode: 240
; IeeeMode: 1
; LDSByteSize: 0 bytes/workgroup (compile time only)
; SGPRBlocks: 6
; VGPRBlocks: 3
; NumSGPRsForWavesPerEU: 54
; NumVGPRsForWavesPerEU: 28
; AccumOffset: 28
; Occupancy: 8
; WaveLimiterHint : 1
; COMPUTE_PGM_RSRC2:SCRATCH_EN: 0
; COMPUTE_PGM_RSRC2:USER_SGPR: 2
; COMPUTE_PGM_RSRC2:TRAP_HANDLER: 0
; COMPUTE_PGM_RSRC2:TGID_X_EN: 1
; COMPUTE_PGM_RSRC2:TGID_Y_EN: 0
; COMPUTE_PGM_RSRC2:TGID_Z_EN: 0
; COMPUTE_PGM_RSRC2:TIDIG_COMP_CNT: 0
; COMPUTE_PGM_RSRC3_GFX90A:ACCUM_OFFSET: 6
; COMPUTE_PGM_RSRC3_GFX90A:TG_SPLIT: 0
	.section	.text._ZN4vllm38concat_and_cache_mla_rope_fused_kernelIfN3c108BFloat16ELb0E14__hip_bfloat16hLNS_18Fp8KVCacheDataTypeE1EEEvPKlPT_S8_PKS7_PKT0_illlliPT3_S6_iiiiPKf,"axG",@progbits,_ZN4vllm38concat_and_cache_mla_rope_fused_kernelIfN3c108BFloat16ELb0E14__hip_bfloat16hLNS_18Fp8KVCacheDataTypeE1EEEvPKlPT_S8_PKS7_PKT0_illlliPT3_S6_iiiiPKf,comdat
	.protected	_ZN4vllm38concat_and_cache_mla_rope_fused_kernelIfN3c108BFloat16ELb0E14__hip_bfloat16hLNS_18Fp8KVCacheDataTypeE1EEEvPKlPT_S8_PKS7_PKT0_illlliPT3_S6_iiiiPKf ; -- Begin function _ZN4vllm38concat_and_cache_mla_rope_fused_kernelIfN3c108BFloat16ELb0E14__hip_bfloat16hLNS_18Fp8KVCacheDataTypeE1EEEvPKlPT_S8_PKS7_PKT0_illlliPT3_S6_iiiiPKf
	.globl	_ZN4vllm38concat_and_cache_mla_rope_fused_kernelIfN3c108BFloat16ELb0E14__hip_bfloat16hLNS_18Fp8KVCacheDataTypeE1EEEvPKlPT_S8_PKS7_PKT0_illlliPT3_S6_iiiiPKf
	.p2align	8
	.type	_ZN4vllm38concat_and_cache_mla_rope_fused_kernelIfN3c108BFloat16ELb0E14__hip_bfloat16hLNS_18Fp8KVCacheDataTypeE1EEEvPKlPT_S8_PKS7_PKT0_illlliPT3_S6_iiiiPKf,@function
_ZN4vllm38concat_and_cache_mla_rope_fused_kernelIfN3c108BFloat16ELb0E14__hip_bfloat16hLNS_18Fp8KVCacheDataTypeE1EEEvPKlPT_S8_PKS7_PKT0_illlliPT3_S6_iiiiPKf: ; @_ZN4vllm38concat_and_cache_mla_rope_fused_kernelIfN3c108BFloat16ELb0E14__hip_bfloat16hLNS_18Fp8KVCacheDataTypeE1EEEvPKlPT_S8_PKS7_PKT0_illlliPT3_S6_iiiiPKf
; %bb.0:
	s_load_dwordx2 s[6:7], s[0:1], 0x60
	s_mov_b32 s3, 0
	s_lshl_b64 s[4:5], s[2:3], 3
	s_waitcnt lgkmcnt(0)
	s_add_u32 s6, s6, s4
	s_addc_u32 s7, s7, s5
	s_load_dwordx2 s[26:27], s[6:7], 0x0
	s_waitcnt lgkmcnt(0)
	v_cmp_lt_i64_e64 s[6:7], s[26:27], 0
	s_and_b64 vcc, exec, s[6:7]
	s_cbranch_vccnz .LBB95_13
; %bb.1:
	s_load_dword s3, s[0:1], 0x28
	s_load_dwordx2 s[6:7], s[0:1], 0x0
	s_load_dwordx4 s[12:15], s[0:1], 0x10
	v_lshlrev_b32_e32 v2, 1, v0
	s_waitcnt lgkmcnt(0)
	s_ashr_i32 s22, s3, 31
	s_add_u32 s16, s6, s4
	s_addc_u32 s17, s7, s5
	s_load_dwordx2 s[18:19], s[16:17], 0x0
	s_load_dwordx2 s[24:25], s[0:1], 0x20
	s_load_dwordx8 s[4:11], s[0:1], 0x30
	s_load_dwordx2 s[20:21], s[0:1], 0x58
	s_load_dword s23, s[0:1], 0x50
	s_waitcnt lgkmcnt(0)
	s_mul_i32 s16, s18, s22
	s_mul_hi_u32 s17, s18, s3
	s_mul_i32 s19, s19, s3
	s_add_i32 s16, s17, s16
	s_add_i32 s29, s16, s19
	s_lshr_b32 s16, s3, 31
	s_mul_i32 s28, s18, s3
	s_add_i32 s3, s3, s16
	s_ashr_i32 s22, s3, 1
	s_mul_i32 s3, s22, s23
	v_cmp_gt_i32_e32 vcc, s3, v0
	s_and_saveexec_b64 s[16:17], vcc
	s_cbranch_execz .LBB95_4
; %bb.2:
	s_load_dwordx2 s[30:31], s[0:1], 0x8
	s_load_dword s34, s[0:1], 0x8c
	s_lshl_b64 s[18:19], s[28:29], 1
	s_add_u32 s18, s24, s18
	s_mul_i32 s5, s2, s5
	s_mul_hi_u32 s33, s2, s4
	s_addc_u32 s19, s25, s19
	s_add_i32 s5, s33, s5
	s_mul_i32 s4, s2, s4
	s_ashr_i32 s23, s22, 31
	s_lshl_b64 s[4:5], s[4:5], 2
	s_waitcnt lgkmcnt(0)
	s_add_u32 s4, s30, s4
	s_addc_u32 s5, s31, s5
	s_abs_i32 s33, s22
	v_cvt_f32_u32_e32 v1, s33
	s_sub_i32 s30, 0, s33
	s_and_b32 s34, s34, 0xffff
	s_sub_i32 s35, 0, s22
	v_rcp_iflag_f32_e32 v1, v1
	s_lshl_b32 s37, s34, 1
	v_mov_b32_e32 v4, v2
	v_mov_b32_e32 v6, v0
	v_mul_f32_e32 v1, 0x4f7ffffe, v1
	v_cvt_u32_f32_e32 v1, v1
	v_mul_lo_u32 v3, s30, v1
	v_mul_hi_u32 v3, v1, v3
	s_lshl_b32 s30, s22, 1
	v_add_u32_e32 v1, v1, v3
	s_sub_i32 s36, 0, s30
	s_mov_b64 s[30:31], 0
.LBB95_3:                               ; =>This Inner Loop Header: Depth=1
	v_sub_u32_e32 v5, 0, v6
	v_max_i32_e32 v5, v6, v5
	v_mul_hi_u32 v7, v5, v1
	v_mul_lo_u32 v8, v7, s33
	v_sub_u32_e32 v5, v5, v8
	v_add_u32_e32 v9, 1, v7
	v_cmp_le_u32_e32 vcc, s33, v5
	v_subrev_u32_e32 v8, s33, v5
	v_ashrrev_i32_e32 v3, 31, v6
	v_cndmask_b32_e32 v7, v7, v9, vcc
	v_cndmask_b32_e32 v5, v5, v8, vcc
	v_add_u32_e32 v8, 1, v7
	v_cmp_le_u32_e32 vcc, s33, v5
	v_xor_b32_e32 v3, s23, v3
	s_nop 0
	v_cndmask_b32_e32 v5, v7, v8, vcc
	v_xor_b32_e32 v5, v5, v3
	v_sub_u32_e32 v3, v5, v3
	v_ashrrev_i32_e32 v5, 31, v3
	v_mad_u64_u32 v[8:9], s[38:39], s35, v3, v[6:7]
	v_mul_lo_u32 v7, v3, s7
	v_mad_u64_u32 v[10:11], s[38:39], v3, s6, 0
	v_mad_u64_u32 v[12:13], s[38:39], s36, v3, v[4:5]
	v_mul_lo_u32 v3, v5, s6
	v_ashrrev_i32_e32 v9, 31, v8
	v_add3_u32 v11, v11, v7, v3
	v_ashrrev_i32_e32 v13, 31, v12
	v_lshl_add_u64 v[8:9], v[8:9], 1, s[18:19]
	v_lshl_add_u64 v[10:11], v[10:11], 2, s[4:5]
	v_lshl_add_u64 v[14:15], s[22:23], 1, v[8:9]
	global_load_ushort v3, v[8:9], off
	global_load_ushort v5, v[14:15], off
	v_lshl_add_u64 v[8:9], v[12:13], 2, v[10:11]
	global_load_dwordx2 v[10:11], v[8:9], off
	v_add_u32_e32 v6, s34, v6
	v_cmp_le_i32_e32 vcc, s3, v6
	v_add_u32_e32 v4, s37, v4
	s_or_b64 s[30:31], vcc, s[30:31]
	s_waitcnt vmcnt(2)
	v_lshlrev_b32_e32 v3, 16, v3
	s_waitcnt vmcnt(1)
	v_lshlrev_b32_e32 v5, 16, v5
	s_waitcnt vmcnt(0)
	v_mul_f32_e32 v7, v11, v5
	v_mul_f32_e32 v13, v10, v5
	v_fma_f32 v12, v10, v3, -v7
	v_fmac_f32_e32 v13, v11, v3
	global_store_dwordx2 v[8:9], v[12:13], off
	s_andn2_b64 exec, exec, s[30:31]
	s_cbranch_execnz .LBB95_3
.LBB95_4:
	s_or_b64 exec, exec, s[16:17]
	s_load_dwordx4 s[16:19], s[0:1], 0x68
	s_waitcnt lgkmcnt(0)
	s_ashr_i32 s35, s19, 31
	s_mov_b32 s34, s19
	s_or_b64 s[4:5], s[26:27], s[34:35]
	s_mov_b32 s4, 0
	s_cmp_lg_u64 s[4:5], 0
	s_cbranch_scc0 .LBB95_14
; %bb.5:
	s_add_u32 s4, s34, s35
	s_mov_b32 s6, s35
	s_mov_b32 s7, s35
	s_addc_u32 s5, s35, s35
	s_xor_b64 s[36:37], s[4:5], s[6:7]
	v_cvt_f32_u32_e32 v1, s36
	v_cvt_f32_u32_e32 v3, s37
	s_sub_u32 s3, 0, s36
	s_subb_u32 s4, 0, s37
	v_fmamk_f32 v1, v3, 0x4f800000, v1
	v_rcp_f32_e32 v1, v1
	s_nop 0
	v_mul_f32_e32 v1, 0x5f7ffffc, v1
	v_mul_f32_e32 v3, 0x2f800000, v1
	v_trunc_f32_e32 v3, v3
	v_fmamk_f32 v1, v3, 0xcf800000, v1
	v_cvt_u32_f32_e32 v3, v3
	v_cvt_u32_f32_e32 v1, v1
	v_readfirstlane_b32 s5, v3
	v_readfirstlane_b32 s19, v1
	s_mul_i32 s23, s3, s5
	s_mul_hi_u32 s38, s3, s19
	s_mul_i32 s33, s4, s19
	s_add_i32 s23, s38, s23
	s_add_i32 s23, s23, s33
	s_mul_i32 s39, s3, s19
	s_mul_hi_u32 s33, s19, s23
	s_mul_i32 s38, s19, s23
	s_mul_hi_u32 s19, s19, s39
	s_add_u32 s19, s19, s38
	s_addc_u32 s33, 0, s33
	s_mul_hi_u32 s40, s5, s39
	s_mul_i32 s39, s5, s39
	s_add_u32 s19, s19, s39
	s_mul_hi_u32 s38, s5, s23
	s_addc_u32 s19, s33, s40
	s_addc_u32 s33, s38, 0
	s_mul_i32 s23, s5, s23
	s_add_u32 s19, s19, s23
	s_addc_u32 s23, 0, s33
	v_add_co_u32_e32 v1, vcc, s19, v1
	s_cmp_lg_u64 vcc, 0
	s_addc_u32 s5, s5, s23
	v_readfirstlane_b32 s23, v1
	s_mul_i32 s19, s3, s5
	s_mul_hi_u32 s33, s3, s23
	s_add_i32 s19, s33, s19
	s_mul_i32 s4, s4, s23
	s_add_i32 s19, s19, s4
	s_mul_i32 s3, s3, s23
	s_mul_hi_u32 s33, s5, s3
	s_mul_i32 s38, s5, s3
	s_mul_i32 s40, s23, s19
	s_mul_hi_u32 s3, s23, s3
	s_mul_hi_u32 s39, s23, s19
	s_add_u32 s3, s3, s40
	s_addc_u32 s23, 0, s39
	s_add_u32 s3, s3, s38
	s_mul_hi_u32 s4, s5, s19
	s_addc_u32 s3, s23, s33
	s_addc_u32 s4, s4, 0
	s_mul_i32 s19, s5, s19
	s_add_u32 s3, s3, s19
	s_addc_u32 s4, 0, s4
	v_add_co_u32_e32 v1, vcc, s3, v1
	s_cmp_lg_u64 vcc, 0
	s_addc_u32 s3, s5, s4
	s_ashr_i32 s38, s27, 31
	s_add_u32 s4, s26, s38
	s_mov_b32 s39, s38
	s_addc_u32 s5, s27, s38
	s_xor_b64 s[40:41], s[4:5], s[38:39]
	v_readfirstlane_b32 s19, v1
	s_mul_i32 s5, s40, s3
	s_mul_hi_u32 s23, s40, s19
	s_mul_hi_u32 s4, s40, s3
	s_add_u32 s5, s23, s5
	s_addc_u32 s4, 0, s4
	s_mul_hi_u32 s33, s41, s19
	s_mul_i32 s19, s41, s19
	s_add_u32 s5, s5, s19
	s_mul_hi_u32 s23, s41, s3
	s_addc_u32 s4, s4, s33
	s_addc_u32 s5, s23, 0
	s_mul_i32 s3, s41, s3
	s_add_u32 s3, s4, s3
	s_addc_u32 s19, 0, s5
	s_mul_i32 s4, s36, s19
	s_mul_hi_u32 s5, s36, s3
	s_add_i32 s4, s5, s4
	s_mul_i32 s5, s37, s3
	s_add_i32 s23, s4, s5
	s_mul_i32 s5, s36, s3
	v_mov_b32_e32 v1, s5
	s_sub_i32 s4, s41, s23
	v_sub_co_u32_e32 v1, vcc, s40, v1
	s_cmp_lg_u64 vcc, 0
	s_subb_u32 s33, s4, s37
	v_subrev_co_u32_e64 v3, s[4:5], s36, v1
	s_cmp_lg_u64 s[4:5], 0
	s_subb_u32 s4, s33, 0
	s_cmp_ge_u32 s4, s37
	v_readfirstlane_b32 s33, v3
	s_cselect_b32 s5, -1, 0
	s_cmp_ge_u32 s33, s36
	s_cselect_b32 s33, -1, 0
	s_cmp_eq_u32 s4, s37
	s_cselect_b32 s4, s33, s5
	s_add_u32 s5, s3, 1
	s_addc_u32 s33, s19, 0
	s_add_u32 s40, s3, 2
	s_addc_u32 s42, s19, 0
	s_cmp_lg_u32 s4, 0
	s_cselect_b32 s4, s40, s5
	s_cselect_b32 s5, s42, s33
	s_cmp_lg_u64 vcc, 0
	s_subb_u32 s23, s41, s23
	s_cmp_ge_u32 s23, s37
	v_readfirstlane_b32 s40, v1
	s_cselect_b32 s33, -1, 0
	s_cmp_ge_u32 s40, s36
	s_cselect_b32 s36, -1, 0
	s_cmp_eq_u32 s23, s37
	s_cselect_b32 s23, s36, s33
	s_cmp_lg_u32 s23, 0
	s_cselect_b32 s5, s5, s19
	s_cselect_b32 s4, s4, s3
	s_xor_b64 s[6:7], s[38:39], s[6:7]
	s_xor_b64 s[4:5], s[4:5], s[6:7]
	s_sub_u32 s6, s4, s6
	s_subb_u32 s7, s5, s7
	s_cbranch_execnz .LBB95_7
.LBB95_6:
	v_cvt_f32_u32_e32 v1, s34
	s_sub_i32 s3, 0, s34
	s_mov_b32 s7, 0
	v_rcp_iflag_f32_e32 v1, v1
	s_nop 0
	v_mul_f32_e32 v1, 0x4f7ffffe, v1
	v_cvt_u32_f32_e32 v1, v1
	s_nop 0
	v_readfirstlane_b32 s4, v1
	s_mul_i32 s3, s3, s4
	s_mul_hi_u32 s3, s4, s3
	s_add_i32 s4, s4, s3
	s_mul_hi_u32 s3, s26, s4
	s_mul_i32 s5, s3, s34
	s_sub_i32 s5, s26, s5
	s_add_i32 s4, s3, 1
	s_sub_i32 s6, s5, s34
	s_cmp_ge_u32 s5, s34
	s_cselect_b32 s3, s4, s3
	s_cselect_b32 s5, s6, s5
	s_add_i32 s4, s3, 1
	s_cmp_ge_u32 s5, s34
	s_cselect_b32 s6, s4, s3
.LBB95_7:
	s_mul_i32 s3, s6, s35
	s_mul_hi_u32 s4, s6, s34
	s_load_dwordx2 s[30:31], s[0:1], 0x78
	s_add_i32 s3, s4, s3
	s_mul_i32 s4, s7, s34
	s_add_i32 s3, s3, s4
	s_mul_i32 s4, s6, s34
	s_sub_u32 s33, s26, s4
	s_subb_u32 s3, s27, s3
	v_cmp_gt_i32_e32 vcc, s22, v0
	s_mul_hi_u32 s35, s6, s16
	s_mul_i32 s36, s7, s16
	s_mul_i32 s37, s6, s16
	s_mul_hi_u32 s34, s33, s17
	s_mul_i32 s7, s3, s17
	s_mul_i32 s19, s33, s17
	s_and_saveexec_b64 s[26:27], vcc
	s_cbranch_execz .LBB95_10
; %bb.8:
	s_ashr_i32 s3, s16, 31
	s_mul_i32 s3, s6, s3
	s_load_dword s4, s[0:1], 0x8c
	s_add_i32 s3, s35, s3
	s_add_i32 s39, s3, s36
	s_ashr_i32 s3, s17, 31
	s_mul_i32 s3, s33, s3
	s_add_i32 s3, s34, s3
	s_ashr_i32 s23, s22, 31
	s_add_i32 s40, s3, s7
	s_ashr_i32 s41, s18, 31
	s_waitcnt lgkmcnt(0)
	s_and_b32 s38, s4, 0xffff
	s_lshl_b64 s[4:5], s[28:29], 1
	s_add_u32 s4, s24, s4
	v_mov_b32_e32 v3, 0
	s_addc_u32 s5, s25, s5
	v_lshl_add_u64 v[4:5], s[4:5], 0, v[2:3]
	s_mul_i32 s4, s9, s2
	s_mul_hi_u32 s5, s8, s2
	s_add_i32 s5, s5, s4
	s_mul_i32 s4, s8, s2
	s_lshl_b32 s28, s38, 1
	s_lshl_b64 s[24:25], s[22:23], 1
	s_lshl_b64 s[4:5], s[4:5], 2
	s_add_u32 s4, s12, s4
	v_lshlrev_b32_e32 v6, 3, v0
	v_mov_b32_e32 v7, v3
	s_addc_u32 s5, s13, s5
	s_lshl_b32 s8, s38, 3
	v_lshl_add_u64 v[6:7], s[4:5], 0, v[6:7]
	s_add_u32 s4, s37, s19
	s_addc_u32 s5, s39, s40
	s_add_u32 s12, s20, s18
	s_load_dword s3, s[30:31], 0x0
	s_addc_u32 s13, s21, s41
	s_add_u32 s4, s12, s4
	s_addc_u32 s5, s13, s5
	s_mov_b32 s29, 0
	v_lshl_add_u64 v[2:3], s[4:5], 0, v[2:3]
	v_lshl_add_u64 v[6:7], v[6:7], 0, 4
	s_mov_b32 s9, s29
	v_lshl_add_u64 v[2:3], v[2:3], 0, 1
	s_mov_b64 s[12:13], 0
	s_mov_b32 s23, 0x7f800000
	s_mov_b32 s39, 0x43700000
	v_mov_b32_e32 v1, 0xc3700000
	v_mov_b32_e32 v8, v0
.LBB95_9:                               ; =>This Inner Loop Header: Depth=1
	v_lshl_add_u64 v[10:11], v[4:5], 0, s[24:25]
	global_load_ushort v9, v[4:5], off
	global_load_dwordx2 v[12:13], v[6:7], off offset:-4
	global_load_ushort v15, v[10:11], off
	v_mov_b32_e32 v17, 0
	v_add_u32_e32 v8, s38, v8
	v_cmp_le_i32_e32 vcc, s22, v8
	s_or_b64 s[12:13], vcc, s[12:13]
	v_mov_b32_e32 v20, 0
	v_lshl_add_u64 v[4:5], v[4:5], 0, s[28:29]
	s_waitcnt vmcnt(2)
	v_lshlrev_b32_e32 v11, 16, v9
	s_waitcnt vmcnt(1)
	v_mov_b32_e32 v14, v13
	s_waitcnt vmcnt(0)
	v_lshlrev_b32_e32 v10, 16, v15
	v_mov_b32_e32 v16, v11
	v_pk_mul_f32 v[14:15], v[14:15], v[10:11]
	v_pk_mul_f32 v[18:19], v[12:13], v[10:11]
	v_pk_fma_f32 v[14:15], v[12:13], v[16:17], v[14:15] op_sel_hi:[1,0,1] neg_lo:[0,0,1] neg_hi:[0,0,1]
	v_mov_b32_e32 v16, v19
	v_pk_fma_f32 v[10:11], v[12:13], v[10:11], v[16:17]
	v_lshlrev_b32_e32 v9, 16, v14
	v_mov_b32_e32 v15, v10
	s_waitcnt lgkmcnt(0)
	v_div_scale_f32 v11, s[4:5], s3, s3, v9
	v_lshlrev_b32_e32 v10, 16, v10
	global_store_dwordx2 v[6:7], v[14:15], off offset:-4
	v_rcp_f32_e32 v13, v11
	v_div_scale_f32 v14, s[4:5], s3, s3, v10
	v_rcp_f32_e32 v16, v14
	v_fma_f32 v18, -v11, v13, 1.0
	v_div_scale_f32 v12, vcc, v9, s3, v9
	v_fmac_f32_e32 v13, v18, v13
	v_fma_f32 v18, -v14, v16, 1.0
	v_div_scale_f32 v15, s[4:5], v10, s3, v10
	v_mul_f32_e32 v19, v12, v13
	v_fmac_f32_e32 v16, v18, v16
	v_fma_f32 v18, -v11, v19, v12
	v_mul_f32_e32 v21, v15, v16
	v_fmac_f32_e32 v19, v18, v13
	v_fma_f32 v18, -v14, v21, v15
	v_fma_f32 v11, -v11, v19, v12
	v_fmac_f32_e32 v21, v18, v16
	v_div_fmas_f32 v11, v11, v13, v19
	v_fma_f32 v12, -v14, v21, v15
	s_mov_b64 vcc, s[4:5]
	v_div_fixup_f32 v9, v11, s3, v9
	v_div_fmas_f32 v11, v12, v16, v21
	v_med3_f32 v12, v9, s39, v1
	v_div_fixup_f32 v10, v11, s3, v10
	v_cmp_nlg_f32_e64 vcc, |v9|, s23
	v_med3_f32 v11, v10, s39, v1
	v_lshl_add_u64 v[6:7], v[6:7], 0, s[8:9]
	v_cndmask_b32_e32 v9, v12, v9, vcc
	v_cmp_nlg_f32_e64 vcc, |v10|, s23
	v_cvt_pk_fp8_f32 v17, v9, v9
	s_nop 0
	v_cndmask_b32_e32 v10, v11, v10, vcc
	v_cvt_pk_fp8_f32 v20, v10, v10
	v_lshlrev_b16_e32 v9, 8, v20
	v_or_b32_sdwa v9, v17, v9 dst_sel:DWORD dst_unused:UNUSED_PAD src0_sel:BYTE_0 src1_sel:DWORD
	global_store_short v[2:3], v9, off offset:-1
	v_lshl_add_u64 v[2:3], v[2:3], 0, s[28:29]
	s_andn2_b64 exec, exec, s[12:13]
	s_cbranch_execnz .LBB95_9
.LBB95_10:
	s_or_b64 exec, exec, s[26:27]
	v_cmp_gt_i32_e32 vcc, s18, v0
	s_and_saveexec_b64 s[4:5], vcc
	s_cbranch_execz .LBB95_13
; %bb.11:
	s_mul_i32 s3, s2, s11
	s_mul_hi_u32 s4, s2, s10
	s_add_i32 s3, s4, s3
	s_mul_i32 s2, s2, s10
	s_lshl_b64 s[2:3], s[2:3], 2
	s_add_u32 s2, s14, s2
	s_addc_u32 s3, s15, s3
	s_ashr_i32 s4, s16, 31
	s_mul_i32 s4, s6, s4
	s_add_i32 s4, s35, s4
	s_add_i32 s4, s4, s36
	s_add_u32 s5, s20, s37
	s_addc_u32 s4, s21, s4
	s_ashr_i32 s6, s17, 31
	s_mul_i32 s33, s33, s6
	s_add_i32 s6, s34, s33
	s_add_i32 s6, s6, s7
	s_load_dword s8, s[0:1], 0x8c
	s_add_u32 s0, s5, s19
	s_addc_u32 s1, s4, s6
	s_waitcnt lgkmcnt(0)
	s_load_dword s6, s[30:31], 0x0
	s_mov_b64 s[4:5], 0
	s_and_b32 s7, s8, 0xffff
	s_mov_b32 s8, 0x7f800000
	s_mov_b32 s9, 0x43700000
	v_mov_b32_e32 v2, 0xc3700000
.LBB95_12:                              ; =>This Inner Loop Header: Depth=1
	v_ashrrev_i32_e32 v1, 31, v0
	v_lshl_add_u64 v[4:5], v[0:1], 2, s[2:3]
	global_load_ushort v3, v[4:5], off
	v_mov_b32_e32 v6, 0
	s_waitcnt vmcnt(0)
	v_lshlrev_b32_e32 v3, 16, v3
	s_waitcnt lgkmcnt(0)
	v_div_scale_f32 v4, s[10:11], s6, s6, v3
	v_rcp_f32_e32 v5, v4
	v_div_scale_f32 v7, vcc, v3, s6, v3
	v_fma_f32 v8, -v4, v5, 1.0
	v_fmac_f32_e32 v5, v8, v5
	v_mul_f32_e32 v8, v7, v5
	v_fma_f32 v9, -v4, v8, v7
	v_fmac_f32_e32 v8, v9, v5
	v_fma_f32 v4, -v4, v8, v7
	v_div_fmas_f32 v4, v4, v5, v8
	v_div_fixup_f32 v3, v4, s6, v3
	v_med3_f32 v4, v3, s9, v2
	v_cmp_nlg_f32_e64 vcc, |v3|, s8
	s_nop 1
	v_cndmask_b32_e32 v3, v4, v3, vcc
	v_cvt_pk_fp8_f32 v6, v3, v3
	v_lshl_add_u64 v[4:5], s[0:1], 0, v[0:1]
	v_add_u32_e32 v0, s7, v0
	v_cmp_le_i32_e32 vcc, s18, v0
	s_or_b64 s[4:5], vcc, s[4:5]
	global_store_byte v[4:5], v6, off
	s_andn2_b64 exec, exec, s[4:5]
	s_cbranch_execnz .LBB95_12
.LBB95_13:
	s_endpgm
.LBB95_14:
                                        ; implicit-def: $sgpr6_sgpr7
	s_branch .LBB95_6
	.section	.rodata,"a",@progbits
	.p2align	6, 0x0
	.amdhsa_kernel _ZN4vllm38concat_and_cache_mla_rope_fused_kernelIfN3c108BFloat16ELb0E14__hip_bfloat16hLNS_18Fp8KVCacheDataTypeE1EEEvPKlPT_S8_PKS7_PKT0_illlliPT3_S6_iiiiPKf
		.amdhsa_group_segment_fixed_size 0
		.amdhsa_private_segment_fixed_size 0
		.amdhsa_kernarg_size 384
		.amdhsa_user_sgpr_count 2
		.amdhsa_user_sgpr_dispatch_ptr 0
		.amdhsa_user_sgpr_queue_ptr 0
		.amdhsa_user_sgpr_kernarg_segment_ptr 1
		.amdhsa_user_sgpr_dispatch_id 0
		.amdhsa_user_sgpr_kernarg_preload_length 0
		.amdhsa_user_sgpr_kernarg_preload_offset 0
		.amdhsa_user_sgpr_private_segment_size 0
		.amdhsa_uses_dynamic_stack 0
		.amdhsa_enable_private_segment 0
		.amdhsa_system_sgpr_workgroup_id_x 1
		.amdhsa_system_sgpr_workgroup_id_y 0
		.amdhsa_system_sgpr_workgroup_id_z 0
		.amdhsa_system_sgpr_workgroup_info 0
		.amdhsa_system_vgpr_workitem_id 0
		.amdhsa_next_free_vgpr 22
		.amdhsa_next_free_sgpr 43
		.amdhsa_accum_offset 24
		.amdhsa_reserve_vcc 1
		.amdhsa_float_round_mode_32 0
		.amdhsa_float_round_mode_16_64 0
		.amdhsa_float_denorm_mode_32 3
		.amdhsa_float_denorm_mode_16_64 3
		.amdhsa_dx10_clamp 1
		.amdhsa_ieee_mode 1
		.amdhsa_fp16_overflow 0
		.amdhsa_tg_split 0
		.amdhsa_exception_fp_ieee_invalid_op 0
		.amdhsa_exception_fp_denorm_src 0
		.amdhsa_exception_fp_ieee_div_zero 0
		.amdhsa_exception_fp_ieee_overflow 0
		.amdhsa_exception_fp_ieee_underflow 0
		.amdhsa_exception_fp_ieee_inexact 0
		.amdhsa_exception_int_div_zero 0
	.end_amdhsa_kernel
	.section	.text._ZN4vllm38concat_and_cache_mla_rope_fused_kernelIfN3c108BFloat16ELb0E14__hip_bfloat16hLNS_18Fp8KVCacheDataTypeE1EEEvPKlPT_S8_PKS7_PKT0_illlliPT3_S6_iiiiPKf,"axG",@progbits,_ZN4vllm38concat_and_cache_mla_rope_fused_kernelIfN3c108BFloat16ELb0E14__hip_bfloat16hLNS_18Fp8KVCacheDataTypeE1EEEvPKlPT_S8_PKS7_PKT0_illlliPT3_S6_iiiiPKf,comdat
.Lfunc_end95:
	.size	_ZN4vllm38concat_and_cache_mla_rope_fused_kernelIfN3c108BFloat16ELb0E14__hip_bfloat16hLNS_18Fp8KVCacheDataTypeE1EEEvPKlPT_S8_PKS7_PKT0_illlliPT3_S6_iiiiPKf, .Lfunc_end95-_ZN4vllm38concat_and_cache_mla_rope_fused_kernelIfN3c108BFloat16ELb0E14__hip_bfloat16hLNS_18Fp8KVCacheDataTypeE1EEEvPKlPT_S8_PKS7_PKT0_illlliPT3_S6_iiiiPKf
                                        ; -- End function
	.section	.AMDGPU.csdata,"",@progbits
; Kernel info:
; codeLenInByte = 2340
; NumSgprs: 49
; NumVgprs: 22
; NumAgprs: 0
; TotalNumVgprs: 22
; ScratchSize: 0
; MemoryBound: 0
; FloatMode: 240
; IeeeMode: 1
; LDSByteSize: 0 bytes/workgroup (compile time only)
; SGPRBlocks: 6
; VGPRBlocks: 2
; NumSGPRsForWavesPerEU: 49
; NumVGPRsForWavesPerEU: 22
; AccumOffset: 24
; Occupancy: 8
; WaveLimiterHint : 1
; COMPUTE_PGM_RSRC2:SCRATCH_EN: 0
; COMPUTE_PGM_RSRC2:USER_SGPR: 2
; COMPUTE_PGM_RSRC2:TRAP_HANDLER: 0
; COMPUTE_PGM_RSRC2:TGID_X_EN: 1
; COMPUTE_PGM_RSRC2:TGID_Y_EN: 0
; COMPUTE_PGM_RSRC2:TGID_Z_EN: 0
; COMPUTE_PGM_RSRC2:TIDIG_COMP_CNT: 0
; COMPUTE_PGM_RSRC3_GFX90A:ACCUM_OFFSET: 5
; COMPUTE_PGM_RSRC3_GFX90A:TG_SPLIT: 0
	.section	.text._ZN4vllm38concat_and_cache_mla_rope_fused_kernelIN3c104HalfEfLb1E14__hip_bfloat16hLNS_18Fp8KVCacheDataTypeE1EEEvPKlPT_S8_PKS7_PKT0_illlliPT3_S6_iiiiPKf,"axG",@progbits,_ZN4vllm38concat_and_cache_mla_rope_fused_kernelIN3c104HalfEfLb1E14__hip_bfloat16hLNS_18Fp8KVCacheDataTypeE1EEEvPKlPT_S8_PKS7_PKT0_illlliPT3_S6_iiiiPKf,comdat
	.protected	_ZN4vllm38concat_and_cache_mla_rope_fused_kernelIN3c104HalfEfLb1E14__hip_bfloat16hLNS_18Fp8KVCacheDataTypeE1EEEvPKlPT_S8_PKS7_PKT0_illlliPT3_S6_iiiiPKf ; -- Begin function _ZN4vllm38concat_and_cache_mla_rope_fused_kernelIN3c104HalfEfLb1E14__hip_bfloat16hLNS_18Fp8KVCacheDataTypeE1EEEvPKlPT_S8_PKS7_PKT0_illlliPT3_S6_iiiiPKf
	.globl	_ZN4vllm38concat_and_cache_mla_rope_fused_kernelIN3c104HalfEfLb1E14__hip_bfloat16hLNS_18Fp8KVCacheDataTypeE1EEEvPKlPT_S8_PKS7_PKT0_illlliPT3_S6_iiiiPKf
	.p2align	8
	.type	_ZN4vllm38concat_and_cache_mla_rope_fused_kernelIN3c104HalfEfLb1E14__hip_bfloat16hLNS_18Fp8KVCacheDataTypeE1EEEvPKlPT_S8_PKS7_PKT0_illlliPT3_S6_iiiiPKf,@function
_ZN4vllm38concat_and_cache_mla_rope_fused_kernelIN3c104HalfEfLb1E14__hip_bfloat16hLNS_18Fp8KVCacheDataTypeE1EEEvPKlPT_S8_PKS7_PKT0_illlliPT3_S6_iiiiPKf: ; @_ZN4vllm38concat_and_cache_mla_rope_fused_kernelIN3c104HalfEfLb1E14__hip_bfloat16hLNS_18Fp8KVCacheDataTypeE1EEEvPKlPT_S8_PKS7_PKT0_illlliPT3_S6_iiiiPKf
; %bb.0:
	s_load_dwordx2 s[6:7], s[0:1], 0x60
	s_mov_b32 s3, 0
	s_lshl_b64 s[4:5], s[2:3], 3
	s_waitcnt lgkmcnt(0)
	s_add_u32 s6, s6, s4
	s_addc_u32 s7, s7, s5
	s_load_dwordx2 s[28:29], s[6:7], 0x0
	s_waitcnt lgkmcnt(0)
	v_cmp_lt_i64_e64 s[6:7], s[28:29], 0
	s_and_b64 vcc, exec, s[6:7]
	s_cbranch_vccnz .LBB96_13
; %bb.1:
	s_load_dword s3, s[0:1], 0x28
	s_load_dwordx2 s[6:7], s[0:1], 0x0
	s_load_dwordx4 s[12:15], s[0:1], 0x10
	s_waitcnt lgkmcnt(0)
	s_ashr_i32 s22, s3, 31
	s_add_u32 s16, s6, s4
	s_addc_u32 s17, s7, s5
	s_load_dwordx2 s[18:19], s[16:17], 0x0
	s_load_dwordx2 s[24:25], s[0:1], 0x20
	s_load_dwordx8 s[4:11], s[0:1], 0x30
	s_load_dwordx2 s[20:21], s[0:1], 0x58
	s_load_dword s23, s[0:1], 0x50
	s_waitcnt lgkmcnt(0)
	s_mul_i32 s16, s18, s22
	s_mul_hi_u32 s17, s18, s3
	s_mul_i32 s19, s19, s3
	s_add_i32 s16, s17, s16
	s_add_i32 s27, s16, s19
	s_lshr_b32 s16, s3, 31
	s_mul_i32 s26, s18, s3
	s_add_i32 s3, s3, s16
	s_ashr_i32 s22, s3, 1
	s_mul_i32 s3, s22, s23
	v_cmp_gt_i32_e32 vcc, s3, v0
	s_and_saveexec_b64 s[16:17], vcc
	s_cbranch_execz .LBB96_4
; %bb.2:
	s_load_dwordx2 s[30:31], s[0:1], 0x8
	s_load_dword s34, s[0:1], 0x8c
	s_lshl_b64 s[18:19], s[26:27], 2
	s_add_u32 s18, s24, s18
	s_mul_i32 s5, s2, s5
	s_mul_hi_u32 s33, s2, s4
	s_addc_u32 s19, s25, s19
	s_add_i32 s5, s33, s5
	s_mul_i32 s4, s2, s4
	s_ashr_i32 s23, s22, 31
	s_lshl_b64 s[4:5], s[4:5], 1
	s_waitcnt lgkmcnt(0)
	s_add_u32 s4, s30, s4
	s_addc_u32 s5, s31, s5
	s_abs_i32 s33, s22
	v_cvt_f32_u32_e32 v1, s33
	s_sub_i32 s30, 0, s33
	s_and_b32 s34, s34, 0xffff
	s_sub_i32 s35, 0, s22
	v_rcp_iflag_f32_e32 v1, v1
	s_nop 0
	v_mul_f32_e32 v1, 0x4f7ffffe, v1
	v_cvt_u32_f32_e32 v1, v1
	v_mul_lo_u32 v2, s30, v1
	v_mul_hi_u32 v2, v1, v2
	v_add_u32_e32 v1, v1, v2
	s_mov_b64 s[30:31], 0
	v_mov_b32_e32 v2, v0
.LBB96_3:                               ; =>This Inner Loop Header: Depth=1
	v_sub_u32_e32 v4, 0, v2
	v_max_i32_e32 v4, v2, v4
	v_mul_hi_u32 v5, v4, v1
	v_mul_lo_u32 v6, v5, s33
	v_sub_u32_e32 v4, v4, v6
	v_add_u32_e32 v7, 1, v5
	v_cmp_le_u32_e32 vcc, s33, v4
	v_subrev_u32_e32 v6, s33, v4
	v_ashrrev_i32_e32 v3, 31, v2
	v_cndmask_b32_e32 v5, v5, v7, vcc
	v_cndmask_b32_e32 v4, v4, v6, vcc
	v_add_u32_e32 v6, 1, v5
	v_cmp_le_u32_e32 vcc, s33, v4
	v_xor_b32_e32 v3, s23, v3
	s_nop 0
	v_cndmask_b32_e32 v4, v5, v6, vcc
	v_xor_b32_e32 v4, v4, v3
	v_sub_u32_e32 v3, v4, v3
	v_mad_u64_u32 v[4:5], s[36:37], s35, v3, v[2:3]
	v_ashrrev_i32_e32 v8, 31, v3
	v_ashrrev_i32_e32 v5, 31, v4
	v_mul_lo_u32 v10, v3, s7
	v_mad_u64_u32 v[6:7], s[36:37], v3, s6, 0
	v_mul_lo_u32 v3, v8, s6
	v_lshl_add_u64 v[8:9], v[4:5], 2, s[18:19]
	v_add3_u32 v7, v7, v10, v3
	v_lshl_add_u64 v[10:11], s[22:23], 2, v[8:9]
	global_load_dword v3, v[8:9], off
	global_load_dword v12, v[10:11], off
	v_lshl_add_u64 v[6:7], v[6:7], 1, s[4:5]
	v_lshl_add_u64 v[4:5], v[4:5], 1, v[6:7]
	;; [unrolled: 1-line block ×3, first 2 shown]
	global_load_ushort v8, v[4:5], off
	global_load_ushort v9, v[6:7], off
	v_add_u32_e32 v2, s34, v2
	v_cmp_le_i32_e32 vcc, s3, v2
	s_or_b64 s[30:31], vcc, s[30:31]
	s_waitcnt vmcnt(3)
	v_cvt_f16_f32_e32 v3, v3
	s_waitcnt vmcnt(2)
	v_cvt_f16_f32_e32 v10, v12
	s_waitcnt vmcnt(0)
	v_mul_f16_e32 v11, v9, v3
	v_mul_f16_e32 v9, v9, v10
	v_fma_f16 v3, v8, v3, -v9
	v_fma_f16 v10, v8, v10, v11
	global_store_short v[4:5], v3, off
	global_store_short v[6:7], v10, off
	s_andn2_b64 exec, exec, s[30:31]
	s_cbranch_execnz .LBB96_3
.LBB96_4:
	s_or_b64 exec, exec, s[16:17]
	s_load_dwordx4 s[16:19], s[0:1], 0x68
	s_waitcnt lgkmcnt(0)
	s_ashr_i32 s35, s19, 31
	s_mov_b32 s34, s19
	s_or_b64 s[4:5], s[28:29], s[34:35]
	s_mov_b32 s4, 0
	s_cmp_lg_u64 s[4:5], 0
	s_cbranch_scc0 .LBB96_14
; %bb.5:
	s_add_u32 s4, s34, s35
	s_mov_b32 s6, s35
	s_mov_b32 s7, s35
	s_addc_u32 s5, s35, s35
	s_xor_b64 s[36:37], s[4:5], s[6:7]
	v_cvt_f32_u32_e32 v1, s36
	v_cvt_f32_u32_e32 v2, s37
	s_sub_u32 s3, 0, s36
	s_subb_u32 s4, 0, s37
	v_fmamk_f32 v1, v2, 0x4f800000, v1
	v_rcp_f32_e32 v1, v1
	s_nop 0
	v_mul_f32_e32 v1, 0x5f7ffffc, v1
	v_mul_f32_e32 v2, 0x2f800000, v1
	v_trunc_f32_e32 v2, v2
	v_fmamk_f32 v1, v2, 0xcf800000, v1
	v_cvt_u32_f32_e32 v2, v2
	v_cvt_u32_f32_e32 v1, v1
	v_readfirstlane_b32 s5, v2
	v_readfirstlane_b32 s19, v1
	s_mul_i32 s23, s3, s5
	s_mul_hi_u32 s38, s3, s19
	s_mul_i32 s33, s4, s19
	s_add_i32 s23, s38, s23
	s_add_i32 s23, s23, s33
	s_mul_i32 s39, s3, s19
	s_mul_hi_u32 s33, s19, s23
	s_mul_i32 s38, s19, s23
	s_mul_hi_u32 s19, s19, s39
	s_add_u32 s19, s19, s38
	s_addc_u32 s33, 0, s33
	s_mul_hi_u32 s40, s5, s39
	s_mul_i32 s39, s5, s39
	s_add_u32 s19, s19, s39
	s_mul_hi_u32 s38, s5, s23
	s_addc_u32 s19, s33, s40
	s_addc_u32 s33, s38, 0
	s_mul_i32 s23, s5, s23
	s_add_u32 s19, s19, s23
	s_addc_u32 s23, 0, s33
	v_add_co_u32_e32 v1, vcc, s19, v1
	s_cmp_lg_u64 vcc, 0
	s_addc_u32 s5, s5, s23
	v_readfirstlane_b32 s23, v1
	s_mul_i32 s19, s3, s5
	s_mul_hi_u32 s33, s3, s23
	s_add_i32 s19, s33, s19
	s_mul_i32 s4, s4, s23
	s_add_i32 s19, s19, s4
	s_mul_i32 s3, s3, s23
	s_mul_hi_u32 s33, s5, s3
	s_mul_i32 s38, s5, s3
	s_mul_i32 s40, s23, s19
	s_mul_hi_u32 s3, s23, s3
	s_mul_hi_u32 s39, s23, s19
	s_add_u32 s3, s3, s40
	s_addc_u32 s23, 0, s39
	s_add_u32 s3, s3, s38
	s_mul_hi_u32 s4, s5, s19
	s_addc_u32 s3, s23, s33
	s_addc_u32 s4, s4, 0
	s_mul_i32 s19, s5, s19
	s_add_u32 s3, s3, s19
	s_addc_u32 s4, 0, s4
	v_add_co_u32_e32 v1, vcc, s3, v1
	s_cmp_lg_u64 vcc, 0
	s_addc_u32 s3, s5, s4
	s_ashr_i32 s38, s29, 31
	s_add_u32 s4, s28, s38
	s_mov_b32 s39, s38
	s_addc_u32 s5, s29, s38
	s_xor_b64 s[40:41], s[4:5], s[38:39]
	v_readfirstlane_b32 s19, v1
	s_mul_i32 s5, s40, s3
	s_mul_hi_u32 s23, s40, s19
	s_mul_hi_u32 s4, s40, s3
	s_add_u32 s5, s23, s5
	s_addc_u32 s4, 0, s4
	s_mul_hi_u32 s33, s41, s19
	s_mul_i32 s19, s41, s19
	s_add_u32 s5, s5, s19
	s_mul_hi_u32 s23, s41, s3
	s_addc_u32 s4, s4, s33
	s_addc_u32 s5, s23, 0
	s_mul_i32 s3, s41, s3
	s_add_u32 s3, s4, s3
	s_addc_u32 s19, 0, s5
	s_mul_i32 s4, s36, s19
	s_mul_hi_u32 s5, s36, s3
	s_add_i32 s4, s5, s4
	s_mul_i32 s5, s37, s3
	s_add_i32 s23, s4, s5
	s_mul_i32 s5, s36, s3
	v_mov_b32_e32 v1, s5
	s_sub_i32 s4, s41, s23
	v_sub_co_u32_e32 v1, vcc, s40, v1
	s_cmp_lg_u64 vcc, 0
	s_subb_u32 s33, s4, s37
	v_subrev_co_u32_e64 v2, s[4:5], s36, v1
	s_cmp_lg_u64 s[4:5], 0
	s_subb_u32 s4, s33, 0
	s_cmp_ge_u32 s4, s37
	v_readfirstlane_b32 s33, v2
	s_cselect_b32 s5, -1, 0
	s_cmp_ge_u32 s33, s36
	s_cselect_b32 s33, -1, 0
	s_cmp_eq_u32 s4, s37
	s_cselect_b32 s4, s33, s5
	s_add_u32 s5, s3, 1
	s_addc_u32 s33, s19, 0
	s_add_u32 s40, s3, 2
	s_addc_u32 s42, s19, 0
	s_cmp_lg_u32 s4, 0
	s_cselect_b32 s4, s40, s5
	s_cselect_b32 s5, s42, s33
	s_cmp_lg_u64 vcc, 0
	s_subb_u32 s23, s41, s23
	s_cmp_ge_u32 s23, s37
	v_readfirstlane_b32 s40, v1
	s_cselect_b32 s33, -1, 0
	s_cmp_ge_u32 s40, s36
	s_cselect_b32 s36, -1, 0
	s_cmp_eq_u32 s23, s37
	s_cselect_b32 s23, s36, s33
	s_cmp_lg_u32 s23, 0
	s_cselect_b32 s5, s5, s19
	s_cselect_b32 s4, s4, s3
	s_xor_b64 s[6:7], s[38:39], s[6:7]
	s_xor_b64 s[4:5], s[4:5], s[6:7]
	s_sub_u32 s6, s4, s6
	s_subb_u32 s7, s5, s7
	s_cbranch_execnz .LBB96_7
.LBB96_6:
	v_cvt_f32_u32_e32 v1, s34
	s_sub_i32 s3, 0, s34
	s_mov_b32 s7, 0
	v_rcp_iflag_f32_e32 v1, v1
	s_nop 0
	v_mul_f32_e32 v1, 0x4f7ffffe, v1
	v_cvt_u32_f32_e32 v1, v1
	s_nop 0
	v_readfirstlane_b32 s4, v1
	s_mul_i32 s3, s3, s4
	s_mul_hi_u32 s3, s4, s3
	s_add_i32 s4, s4, s3
	s_mul_hi_u32 s3, s28, s4
	s_mul_i32 s5, s3, s34
	s_sub_i32 s5, s28, s5
	s_add_i32 s4, s3, 1
	s_sub_i32 s6, s5, s34
	s_cmp_ge_u32 s5, s34
	s_cselect_b32 s3, s4, s3
	s_cselect_b32 s5, s6, s5
	s_add_i32 s4, s3, 1
	s_cmp_ge_u32 s5, s34
	s_cselect_b32 s6, s4, s3
.LBB96_7:
	s_mul_i32 s3, s6, s35
	s_mul_hi_u32 s4, s6, s34
	s_load_dwordx2 s[30:31], s[0:1], 0x78
	s_add_i32 s3, s4, s3
	s_mul_i32 s4, s7, s34
	s_add_i32 s3, s3, s4
	s_mul_i32 s4, s6, s34
	s_sub_u32 s33, s28, s4
	s_subb_u32 s3, s29, s3
	v_cmp_gt_i32_e32 vcc, s22, v0
	s_mul_hi_u32 s43, s6, s16
	s_mul_i32 s44, s7, s16
	s_mul_i32 s45, s6, s16
	s_mul_hi_u32 s42, s33, s17
	s_mul_i32 s7, s3, s17
	s_mul_i32 s19, s33, s17
	s_and_saveexec_b64 s[28:29], vcc
	s_cbranch_execz .LBB96_10
; %bb.8:
	s_ashr_i32 s3, s16, 31
	s_ashr_i32 s4, s17, 31
	s_mul_i32 s3, s6, s3
	s_mul_i32 s4, s33, s4
	s_add_i32 s3, s43, s3
	s_add_i32 s4, s42, s4
	s_ashr_i32 s23, s22, 31
	s_add_i32 s3, s3, s44
	s_add_i32 s4, s4, s7
	s_add_u32 s38, s45, s19
	s_load_dword s5, s[0:1], 0x8c
	s_addc_u32 s39, s3, s4
	s_add_u32 s3, s38, s20
	s_addc_u32 s4, s39, s21
	s_ashr_i32 s40, s18, 31
	s_add_u32 s34, s3, s18
	s_addc_u32 s35, s4, s40
	s_waitcnt lgkmcnt(0)
	s_and_b32 s46, s5, 0xffff
	s_lshl_b64 s[4:5], s[26:27], 2
	v_mov_b32_e32 v1, 0
	s_add_u32 s4, s24, s4
	v_lshlrev_b32_e32 v2, 2, v0
	v_mov_b32_e32 v3, v1
	s_addc_u32 s5, s25, s5
	v_lshl_add_u64 v[2:3], s[4:5], 0, v[2:3]
	s_mul_i32 s4, s9, s2
	s_mul_hi_u32 s5, s8, s2
	s_add_i32 s5, s5, s4
	s_mul_i32 s4, s8, s2
	s_lshl_b32 s36, s46, 2
	s_lshl_b64 s[24:25], s[22:23], 2
	s_lshl_b64 s[26:27], s[22:23], 1
	;; [unrolled: 1-line block ×3, first 2 shown]
	s_add_u32 s4, s12, s4
	v_lshlrev_b32_e32 v4, 1, v0
	v_mov_b32_e32 v5, v1
	s_addc_u32 s5, s13, s5
	s_lshl_b32 s8, s46, 1
	v_lshl_add_u64 v[4:5], s[4:5], 0, v[4:5]
	s_add_u32 s4, s38, s22
	s_load_dword s3, s[30:31], 0x0
	s_addc_u32 s5, s39, s23
	s_add_u32 s4, s4, s18
	s_addc_u32 s5, s5, s40
	s_mov_b32 s37, 0
	s_add_u32 s12, s20, s4
	s_mov_b32 s9, s37
	s_addc_u32 s13, s21, s5
	s_mov_b64 s[38:39], 0
	s_mov_b32 s23, 0x7f800000
	s_mov_b32 s47, 0x43700000
	v_mov_b32_e32 v6, 0xc3700000
	s_mov_b64 s[40:41], 0
.LBB96_9:                               ; =>This Inner Loop Header: Depth=1
	global_load_dword v7, v[2:3], off
	v_lshl_add_u64 v[8:9], v[2:3], 0, s[24:25]
	v_lshl_add_u64 v[10:11], v[4:5], 0, s[26:27]
	global_load_ushort v14, v[4:5], off
	global_load_dword v15, v[8:9], off
	global_load_ushort v16, v[10:11], off
	s_add_u32 s40, s40, s46
	v_add_u32_e32 v19, s40, v0
	v_cmp_le_i32_e32 vcc, s22, v19
	s_addc_u32 s41, s41, 0
	v_lshl_add_u64 v[12:13], s[12:13], 0, v[0:1]
	s_add_u32 s12, s12, s46
	s_addc_u32 s13, s13, 0
	v_lshl_add_u64 v[8:9], s[34:35], 0, v[0:1]
	s_add_u32 s34, s34, s46
	s_addc_u32 s35, s35, 0
	s_or_b64 s[38:39], vcc, s[38:39]
	v_mov_b32_e32 v17, 0
	v_mov_b32_e32 v18, 0
	v_lshl_add_u64 v[2:3], v[2:3], 0, s[36:37]
	s_waitcnt vmcnt(3)
	v_cvt_f16_f32_e32 v7, v7
	s_waitcnt vmcnt(1)
	v_cvt_f16_f32_e32 v15, v15
	s_waitcnt vmcnt(0)
	v_mul_f16_e32 v19, v16, v7
	v_mul_f16_e32 v16, v16, v15
	v_fma_f16 v15, v14, v15, v19
	v_fma_f16 v7, v14, v7, -v16
	v_lshlrev_b32_e32 v14, 16, v15
	global_store_short v[4:5], v7, off
	v_lshlrev_b32_e32 v7, 16, v7
	s_waitcnt lgkmcnt(0)
	v_div_scale_f32 v16, s[4:5], s3, s3, v14
	v_div_scale_f32 v20, s[48:49], s3, s3, v7
	v_rcp_f32_e32 v22, v16
	v_rcp_f32_e32 v23, v20
	v_div_scale_f32 v19, s[4:5], v14, s3, v14
	v_fma_f32 v24, -v16, v22, 1.0
	v_fma_f32 v25, -v20, v23, 1.0
	v_div_scale_f32 v21, vcc, v7, s3, v7
	v_fmac_f32_e32 v22, v24, v22
	v_fmac_f32_e32 v23, v25, v23
	v_mul_f32_e32 v24, v19, v22
	v_mul_f32_e32 v25, v21, v23
	v_fma_f32 v26, -v16, v24, v19
	v_fma_f32 v27, -v20, v25, v21
	v_fmac_f32_e32 v24, v26, v22
	v_fmac_f32_e32 v25, v27, v23
	v_fma_f32 v16, -v16, v24, v19
	v_fma_f32 v19, -v20, v25, v21
	v_div_fmas_f32 v19, v19, v23, v25
	s_mov_b64 vcc, s[4:5]
	v_div_fixup_f32 v7, v19, s3, v7
	v_div_fmas_f32 v16, v16, v22, v24
	v_med3_f32 v19, v7, s47, v6
	v_div_fixup_f32 v14, v16, s3, v14
	v_cmp_nlg_f32_e64 vcc, |v7|, s23
	v_med3_f32 v16, v14, s47, v6
	v_lshl_add_u64 v[4:5], v[4:5], 0, s[8:9]
	v_cndmask_b32_e32 v7, v19, v7, vcc
	v_cmp_nlg_f32_e64 vcc, |v14|, s23
	v_cvt_pk_fp8_f32 v17, v7, v7
	global_store_short v[10:11], v15, off
	v_cndmask_b32_e32 v7, v16, v14, vcc
	v_cvt_pk_fp8_f32 v18, v7, v7
	global_store_byte v[8:9], v17, off
	global_store_byte v[12:13], v18, off
	s_andn2_b64 exec, exec, s[38:39]
	s_cbranch_execnz .LBB96_9
.LBB96_10:
	s_or_b64 exec, exec, s[28:29]
	v_cmp_gt_i32_e32 vcc, s18, v0
	s_and_saveexec_b64 s[4:5], vcc
	s_cbranch_execz .LBB96_13
; %bb.11:
	s_mul_i32 s3, s2, s11
	s_mul_hi_u32 s4, s2, s10
	s_add_i32 s3, s4, s3
	s_mul_i32 s2, s2, s10
	s_lshl_b64 s[2:3], s[2:3], 1
	s_add_u32 s2, s14, s2
	s_addc_u32 s3, s15, s3
	s_ashr_i32 s4, s16, 31
	s_mul_i32 s4, s6, s4
	s_add_i32 s4, s43, s4
	s_add_i32 s4, s4, s44
	s_add_u32 s5, s20, s45
	s_addc_u32 s4, s21, s4
	s_ashr_i32 s6, s17, 31
	s_mul_i32 s33, s33, s6
	s_add_i32 s6, s42, s33
	s_add_i32 s6, s6, s7
	s_load_dword s8, s[0:1], 0x8c
	s_add_u32 s0, s5, s19
	s_addc_u32 s1, s4, s6
	s_waitcnt lgkmcnt(0)
	s_load_dword s6, s[30:31], 0x0
	s_mov_b64 s[4:5], 0
	s_and_b32 s7, s8, 0xffff
	s_mov_b32 s8, 0x7f800000
	s_mov_b32 s9, 0x43700000
	v_mov_b32_e32 v2, 0xc3700000
.LBB96_12:                              ; =>This Inner Loop Header: Depth=1
	v_ashrrev_i32_e32 v1, 31, v0
	v_lshl_add_u64 v[4:5], v[0:1], 1, s[2:3]
	global_load_ushort v3, v[4:5], off
	v_mov_b32_e32 v6, 0
	s_waitcnt vmcnt(0)
	v_lshlrev_b32_e32 v3, 16, v3
	s_waitcnt lgkmcnt(0)
	v_div_scale_f32 v4, s[10:11], s6, s6, v3
	v_rcp_f32_e32 v5, v4
	v_div_scale_f32 v7, vcc, v3, s6, v3
	v_fma_f32 v8, -v4, v5, 1.0
	v_fmac_f32_e32 v5, v8, v5
	v_mul_f32_e32 v8, v7, v5
	v_fma_f32 v9, -v4, v8, v7
	v_fmac_f32_e32 v8, v9, v5
	v_fma_f32 v4, -v4, v8, v7
	v_div_fmas_f32 v4, v4, v5, v8
	v_div_fixup_f32 v3, v4, s6, v3
	v_med3_f32 v4, v3, s9, v2
	v_cmp_nlg_f32_e64 vcc, |v3|, s8
	s_nop 1
	v_cndmask_b32_e32 v3, v4, v3, vcc
	v_cvt_pk_fp8_f32 v6, v3, v3
	v_lshl_add_u64 v[4:5], s[0:1], 0, v[0:1]
	v_add_u32_e32 v0, s7, v0
	v_cmp_le_i32_e32 vcc, s18, v0
	s_or_b64 s[4:5], vcc, s[4:5]
	global_store_byte v[4:5], v6, off
	s_andn2_b64 exec, exec, s[4:5]
	s_cbranch_execnz .LBB96_12
.LBB96_13:
	s_endpgm
.LBB96_14:
                                        ; implicit-def: $sgpr6_sgpr7
	s_branch .LBB96_6
	.section	.rodata,"a",@progbits
	.p2align	6, 0x0
	.amdhsa_kernel _ZN4vllm38concat_and_cache_mla_rope_fused_kernelIN3c104HalfEfLb1E14__hip_bfloat16hLNS_18Fp8KVCacheDataTypeE1EEEvPKlPT_S8_PKS7_PKT0_illlliPT3_S6_iiiiPKf
		.amdhsa_group_segment_fixed_size 0
		.amdhsa_private_segment_fixed_size 0
		.amdhsa_kernarg_size 384
		.amdhsa_user_sgpr_count 2
		.amdhsa_user_sgpr_dispatch_ptr 0
		.amdhsa_user_sgpr_queue_ptr 0
		.amdhsa_user_sgpr_kernarg_segment_ptr 1
		.amdhsa_user_sgpr_dispatch_id 0
		.amdhsa_user_sgpr_kernarg_preload_length 0
		.amdhsa_user_sgpr_kernarg_preload_offset 0
		.amdhsa_user_sgpr_private_segment_size 0
		.amdhsa_uses_dynamic_stack 0
		.amdhsa_enable_private_segment 0
		.amdhsa_system_sgpr_workgroup_id_x 1
		.amdhsa_system_sgpr_workgroup_id_y 0
		.amdhsa_system_sgpr_workgroup_id_z 0
		.amdhsa_system_sgpr_workgroup_info 0
		.amdhsa_system_vgpr_workitem_id 0
		.amdhsa_next_free_vgpr 28
		.amdhsa_next_free_sgpr 50
		.amdhsa_accum_offset 28
		.amdhsa_reserve_vcc 1
		.amdhsa_float_round_mode_32 0
		.amdhsa_float_round_mode_16_64 0
		.amdhsa_float_denorm_mode_32 3
		.amdhsa_float_denorm_mode_16_64 3
		.amdhsa_dx10_clamp 1
		.amdhsa_ieee_mode 1
		.amdhsa_fp16_overflow 0
		.amdhsa_tg_split 0
		.amdhsa_exception_fp_ieee_invalid_op 0
		.amdhsa_exception_fp_denorm_src 0
		.amdhsa_exception_fp_ieee_div_zero 0
		.amdhsa_exception_fp_ieee_overflow 0
		.amdhsa_exception_fp_ieee_underflow 0
		.amdhsa_exception_fp_ieee_inexact 0
		.amdhsa_exception_int_div_zero 0
	.end_amdhsa_kernel
	.section	.text._ZN4vllm38concat_and_cache_mla_rope_fused_kernelIN3c104HalfEfLb1E14__hip_bfloat16hLNS_18Fp8KVCacheDataTypeE1EEEvPKlPT_S8_PKS7_PKT0_illlliPT3_S6_iiiiPKf,"axG",@progbits,_ZN4vllm38concat_and_cache_mla_rope_fused_kernelIN3c104HalfEfLb1E14__hip_bfloat16hLNS_18Fp8KVCacheDataTypeE1EEEvPKlPT_S8_PKS7_PKT0_illlliPT3_S6_iiiiPKf,comdat
.Lfunc_end96:
	.size	_ZN4vllm38concat_and_cache_mla_rope_fused_kernelIN3c104HalfEfLb1E14__hip_bfloat16hLNS_18Fp8KVCacheDataTypeE1EEEvPKlPT_S8_PKS7_PKT0_illlliPT3_S6_iiiiPKf, .Lfunc_end96-_ZN4vllm38concat_and_cache_mla_rope_fused_kernelIN3c104HalfEfLb1E14__hip_bfloat16hLNS_18Fp8KVCacheDataTypeE1EEEvPKlPT_S8_PKS7_PKT0_illlliPT3_S6_iiiiPKf
                                        ; -- End function
	.section	.AMDGPU.csdata,"",@progbits
; Kernel info:
; codeLenInByte = 2372
; NumSgprs: 56
; NumVgprs: 28
; NumAgprs: 0
; TotalNumVgprs: 28
; ScratchSize: 0
; MemoryBound: 0
; FloatMode: 240
; IeeeMode: 1
; LDSByteSize: 0 bytes/workgroup (compile time only)
; SGPRBlocks: 6
; VGPRBlocks: 3
; NumSGPRsForWavesPerEU: 56
; NumVGPRsForWavesPerEU: 28
; AccumOffset: 28
; Occupancy: 8
; WaveLimiterHint : 1
; COMPUTE_PGM_RSRC2:SCRATCH_EN: 0
; COMPUTE_PGM_RSRC2:USER_SGPR: 2
; COMPUTE_PGM_RSRC2:TRAP_HANDLER: 0
; COMPUTE_PGM_RSRC2:TGID_X_EN: 1
; COMPUTE_PGM_RSRC2:TGID_Y_EN: 0
; COMPUTE_PGM_RSRC2:TGID_Z_EN: 0
; COMPUTE_PGM_RSRC2:TIDIG_COMP_CNT: 0
; COMPUTE_PGM_RSRC3_GFX90A:ACCUM_OFFSET: 6
; COMPUTE_PGM_RSRC3_GFX90A:TG_SPLIT: 0
	.section	.text._ZN4vllm38concat_and_cache_mla_rope_fused_kernelIN3c104HalfEfLb0E14__hip_bfloat16hLNS_18Fp8KVCacheDataTypeE1EEEvPKlPT_S8_PKS7_PKT0_illlliPT3_S6_iiiiPKf,"axG",@progbits,_ZN4vllm38concat_and_cache_mla_rope_fused_kernelIN3c104HalfEfLb0E14__hip_bfloat16hLNS_18Fp8KVCacheDataTypeE1EEEvPKlPT_S8_PKS7_PKT0_illlliPT3_S6_iiiiPKf,comdat
	.protected	_ZN4vllm38concat_and_cache_mla_rope_fused_kernelIN3c104HalfEfLb0E14__hip_bfloat16hLNS_18Fp8KVCacheDataTypeE1EEEvPKlPT_S8_PKS7_PKT0_illlliPT3_S6_iiiiPKf ; -- Begin function _ZN4vllm38concat_and_cache_mla_rope_fused_kernelIN3c104HalfEfLb0E14__hip_bfloat16hLNS_18Fp8KVCacheDataTypeE1EEEvPKlPT_S8_PKS7_PKT0_illlliPT3_S6_iiiiPKf
	.globl	_ZN4vllm38concat_and_cache_mla_rope_fused_kernelIN3c104HalfEfLb0E14__hip_bfloat16hLNS_18Fp8KVCacheDataTypeE1EEEvPKlPT_S8_PKS7_PKT0_illlliPT3_S6_iiiiPKf
	.p2align	8
	.type	_ZN4vllm38concat_and_cache_mla_rope_fused_kernelIN3c104HalfEfLb0E14__hip_bfloat16hLNS_18Fp8KVCacheDataTypeE1EEEvPKlPT_S8_PKS7_PKT0_illlliPT3_S6_iiiiPKf,@function
_ZN4vllm38concat_and_cache_mla_rope_fused_kernelIN3c104HalfEfLb0E14__hip_bfloat16hLNS_18Fp8KVCacheDataTypeE1EEEvPKlPT_S8_PKS7_PKT0_illlliPT3_S6_iiiiPKf: ; @_ZN4vllm38concat_and_cache_mla_rope_fused_kernelIN3c104HalfEfLb0E14__hip_bfloat16hLNS_18Fp8KVCacheDataTypeE1EEEvPKlPT_S8_PKS7_PKT0_illlliPT3_S6_iiiiPKf
; %bb.0:
	s_load_dwordx2 s[6:7], s[0:1], 0x60
	s_mov_b32 s3, 0
	s_lshl_b64 s[4:5], s[2:3], 3
	s_waitcnt lgkmcnt(0)
	s_add_u32 s6, s6, s4
	s_addc_u32 s7, s7, s5
	s_load_dwordx2 s[26:27], s[6:7], 0x0
	s_waitcnt lgkmcnt(0)
	v_cmp_lt_i64_e64 s[6:7], s[26:27], 0
	s_and_b64 vcc, exec, s[6:7]
	s_cbranch_vccnz .LBB97_13
; %bb.1:
	s_load_dword s3, s[0:1], 0x28
	s_load_dwordx2 s[6:7], s[0:1], 0x0
	s_load_dwordx4 s[12:15], s[0:1], 0x10
	v_lshlrev_b32_e32 v2, 1, v0
	s_waitcnt lgkmcnt(0)
	s_ashr_i32 s22, s3, 31
	s_add_u32 s16, s6, s4
	s_addc_u32 s17, s7, s5
	s_load_dwordx2 s[18:19], s[16:17], 0x0
	s_load_dwordx2 s[24:25], s[0:1], 0x20
	s_load_dwordx8 s[4:11], s[0:1], 0x30
	s_load_dwordx2 s[20:21], s[0:1], 0x58
	s_load_dword s23, s[0:1], 0x50
	s_waitcnt lgkmcnt(0)
	s_mul_i32 s16, s18, s22
	s_mul_hi_u32 s17, s18, s3
	s_mul_i32 s19, s19, s3
	s_add_i32 s16, s17, s16
	s_add_i32 s29, s16, s19
	s_lshr_b32 s16, s3, 31
	s_mul_i32 s28, s18, s3
	s_add_i32 s3, s3, s16
	s_ashr_i32 s22, s3, 1
	s_mul_i32 s3, s22, s23
	v_cmp_gt_i32_e32 vcc, s3, v0
	s_and_saveexec_b64 s[16:17], vcc
	s_cbranch_execz .LBB97_4
; %bb.2:
	s_load_dwordx2 s[30:31], s[0:1], 0x8
	s_load_dword s34, s[0:1], 0x8c
	s_lshl_b64 s[18:19], s[28:29], 2
	s_add_u32 s18, s24, s18
	s_mul_i32 s5, s2, s5
	s_mul_hi_u32 s33, s2, s4
	s_addc_u32 s19, s25, s19
	s_add_i32 s5, s33, s5
	s_mul_i32 s4, s2, s4
	s_ashr_i32 s23, s22, 31
	s_lshl_b64 s[4:5], s[4:5], 1
	s_waitcnt lgkmcnt(0)
	s_add_u32 s4, s30, s4
	s_addc_u32 s5, s31, s5
	s_abs_i32 s33, s22
	v_cvt_f32_u32_e32 v1, s33
	s_sub_i32 s30, 0, s33
	s_and_b32 s34, s34, 0xffff
	s_sub_i32 s35, 0, s22
	v_rcp_iflag_f32_e32 v1, v1
	s_lshl_b32 s37, s34, 1
	v_mov_b32_e32 v4, v2
	v_mov_b32_e32 v6, v0
	v_mul_f32_e32 v1, 0x4f7ffffe, v1
	v_cvt_u32_f32_e32 v1, v1
	v_mul_lo_u32 v3, s30, v1
	v_mul_hi_u32 v3, v1, v3
	s_lshl_b32 s30, s22, 1
	v_add_u32_e32 v1, v1, v3
	s_sub_i32 s36, 0, s30
	s_mov_b64 s[30:31], 0
.LBB97_3:                               ; =>This Inner Loop Header: Depth=1
	v_sub_u32_e32 v5, 0, v6
	v_max_i32_e32 v5, v6, v5
	v_mul_hi_u32 v7, v5, v1
	v_mul_lo_u32 v8, v7, s33
	v_sub_u32_e32 v5, v5, v8
	v_add_u32_e32 v9, 1, v7
	v_cmp_le_u32_e32 vcc, s33, v5
	v_subrev_u32_e32 v8, s33, v5
	v_ashrrev_i32_e32 v3, 31, v6
	v_cndmask_b32_e32 v7, v7, v9, vcc
	v_cndmask_b32_e32 v5, v5, v8, vcc
	v_add_u32_e32 v8, 1, v7
	v_cmp_le_u32_e32 vcc, s33, v5
	v_xor_b32_e32 v3, s23, v3
	s_nop 0
	v_cndmask_b32_e32 v5, v7, v8, vcc
	v_xor_b32_e32 v5, v5, v3
	v_sub_u32_e32 v3, v5, v3
	v_mad_u64_u32 v[8:9], s[38:39], s35, v3, v[6:7]
	v_ashrrev_i32_e32 v5, 31, v3
	v_ashrrev_i32_e32 v9, 31, v8
	v_mul_lo_u32 v7, v3, s7
	v_mad_u64_u32 v[10:11], s[38:39], v3, s6, 0
	v_mad_u64_u32 v[12:13], s[38:39], s36, v3, v[4:5]
	v_mul_lo_u32 v3, v5, s6
	v_lshl_add_u64 v[8:9], v[8:9], 2, s[18:19]
	v_add3_u32 v11, v11, v7, v3
	v_lshl_add_u64 v[14:15], s[22:23], 2, v[8:9]
	global_load_dword v3, v[8:9], off
	global_load_dword v5, v[14:15], off
	v_ashrrev_i32_e32 v13, 31, v12
	v_lshl_add_u64 v[10:11], v[10:11], 1, s[4:5]
	v_lshl_add_u64 v[8:9], v[12:13], 1, v[10:11]
	global_load_dword v7, v[8:9], off
	v_add_u32_e32 v6, s34, v6
	v_cmp_le_i32_e32 vcc, s3, v6
	v_add_u32_e32 v4, s37, v4
	s_or_b64 s[30:31], vcc, s[30:31]
	s_waitcnt vmcnt(2)
	v_cvt_f16_f32_e32 v3, v3
	s_waitcnt vmcnt(1)
	v_cvt_f16_f32_e32 v5, v5
	s_waitcnt vmcnt(0)
	v_mul_f16_sdwa v10, v7, v3 dst_sel:DWORD dst_unused:UNUSED_PAD src0_sel:WORD_1 src1_sel:DWORD
	v_mul_f16_sdwa v11, v7, v5 dst_sel:DWORD dst_unused:UNUSED_PAD src0_sel:WORD_1 src1_sel:DWORD
	v_fma_f16 v5, v7, v5, v10
	v_fma_f16 v3, v7, v3, -v11
	v_pack_b32_f16 v3, v3, v5
	global_store_dword v[8:9], v3, off
	s_andn2_b64 exec, exec, s[30:31]
	s_cbranch_execnz .LBB97_3
.LBB97_4:
	s_or_b64 exec, exec, s[16:17]
	s_load_dwordx4 s[16:19], s[0:1], 0x68
	s_waitcnt lgkmcnt(0)
	s_ashr_i32 s35, s19, 31
	s_mov_b32 s34, s19
	s_or_b64 s[4:5], s[26:27], s[34:35]
	s_mov_b32 s4, 0
	s_cmp_lg_u64 s[4:5], 0
	s_cbranch_scc0 .LBB97_14
; %bb.5:
	s_add_u32 s4, s34, s35
	s_mov_b32 s6, s35
	s_mov_b32 s7, s35
	s_addc_u32 s5, s35, s35
	s_xor_b64 s[36:37], s[4:5], s[6:7]
	v_cvt_f32_u32_e32 v1, s36
	v_cvt_f32_u32_e32 v3, s37
	s_sub_u32 s3, 0, s36
	s_subb_u32 s4, 0, s37
	v_fmamk_f32 v1, v3, 0x4f800000, v1
	v_rcp_f32_e32 v1, v1
	s_nop 0
	v_mul_f32_e32 v1, 0x5f7ffffc, v1
	v_mul_f32_e32 v3, 0x2f800000, v1
	v_trunc_f32_e32 v3, v3
	v_fmamk_f32 v1, v3, 0xcf800000, v1
	v_cvt_u32_f32_e32 v3, v3
	v_cvt_u32_f32_e32 v1, v1
	v_readfirstlane_b32 s5, v3
	v_readfirstlane_b32 s19, v1
	s_mul_i32 s23, s3, s5
	s_mul_hi_u32 s38, s3, s19
	s_mul_i32 s33, s4, s19
	s_add_i32 s23, s38, s23
	s_add_i32 s23, s23, s33
	s_mul_i32 s39, s3, s19
	s_mul_hi_u32 s33, s19, s23
	s_mul_i32 s38, s19, s23
	s_mul_hi_u32 s19, s19, s39
	s_add_u32 s19, s19, s38
	s_addc_u32 s33, 0, s33
	s_mul_hi_u32 s40, s5, s39
	s_mul_i32 s39, s5, s39
	s_add_u32 s19, s19, s39
	s_mul_hi_u32 s38, s5, s23
	s_addc_u32 s19, s33, s40
	s_addc_u32 s33, s38, 0
	s_mul_i32 s23, s5, s23
	s_add_u32 s19, s19, s23
	s_addc_u32 s23, 0, s33
	v_add_co_u32_e32 v1, vcc, s19, v1
	s_cmp_lg_u64 vcc, 0
	s_addc_u32 s5, s5, s23
	v_readfirstlane_b32 s23, v1
	s_mul_i32 s19, s3, s5
	s_mul_hi_u32 s33, s3, s23
	s_add_i32 s19, s33, s19
	s_mul_i32 s4, s4, s23
	s_add_i32 s19, s19, s4
	s_mul_i32 s3, s3, s23
	s_mul_hi_u32 s33, s5, s3
	s_mul_i32 s38, s5, s3
	s_mul_i32 s40, s23, s19
	s_mul_hi_u32 s3, s23, s3
	s_mul_hi_u32 s39, s23, s19
	s_add_u32 s3, s3, s40
	s_addc_u32 s23, 0, s39
	s_add_u32 s3, s3, s38
	s_mul_hi_u32 s4, s5, s19
	s_addc_u32 s3, s23, s33
	s_addc_u32 s4, s4, 0
	s_mul_i32 s19, s5, s19
	s_add_u32 s3, s3, s19
	s_addc_u32 s4, 0, s4
	v_add_co_u32_e32 v1, vcc, s3, v1
	s_cmp_lg_u64 vcc, 0
	s_addc_u32 s3, s5, s4
	s_ashr_i32 s38, s27, 31
	s_add_u32 s4, s26, s38
	s_mov_b32 s39, s38
	s_addc_u32 s5, s27, s38
	s_xor_b64 s[40:41], s[4:5], s[38:39]
	v_readfirstlane_b32 s19, v1
	s_mul_i32 s5, s40, s3
	s_mul_hi_u32 s23, s40, s19
	s_mul_hi_u32 s4, s40, s3
	s_add_u32 s5, s23, s5
	s_addc_u32 s4, 0, s4
	s_mul_hi_u32 s33, s41, s19
	s_mul_i32 s19, s41, s19
	s_add_u32 s5, s5, s19
	s_mul_hi_u32 s23, s41, s3
	s_addc_u32 s4, s4, s33
	s_addc_u32 s5, s23, 0
	s_mul_i32 s3, s41, s3
	s_add_u32 s3, s4, s3
	s_addc_u32 s19, 0, s5
	s_mul_i32 s4, s36, s19
	s_mul_hi_u32 s5, s36, s3
	s_add_i32 s4, s5, s4
	s_mul_i32 s5, s37, s3
	s_add_i32 s23, s4, s5
	s_mul_i32 s5, s36, s3
	v_mov_b32_e32 v1, s5
	s_sub_i32 s4, s41, s23
	v_sub_co_u32_e32 v1, vcc, s40, v1
	s_cmp_lg_u64 vcc, 0
	s_subb_u32 s33, s4, s37
	v_subrev_co_u32_e64 v3, s[4:5], s36, v1
	s_cmp_lg_u64 s[4:5], 0
	s_subb_u32 s4, s33, 0
	s_cmp_ge_u32 s4, s37
	v_readfirstlane_b32 s33, v3
	s_cselect_b32 s5, -1, 0
	s_cmp_ge_u32 s33, s36
	s_cselect_b32 s33, -1, 0
	s_cmp_eq_u32 s4, s37
	s_cselect_b32 s4, s33, s5
	s_add_u32 s5, s3, 1
	s_addc_u32 s33, s19, 0
	s_add_u32 s40, s3, 2
	s_addc_u32 s42, s19, 0
	s_cmp_lg_u32 s4, 0
	s_cselect_b32 s4, s40, s5
	s_cselect_b32 s5, s42, s33
	s_cmp_lg_u64 vcc, 0
	s_subb_u32 s23, s41, s23
	s_cmp_ge_u32 s23, s37
	v_readfirstlane_b32 s40, v1
	s_cselect_b32 s33, -1, 0
	s_cmp_ge_u32 s40, s36
	s_cselect_b32 s36, -1, 0
	s_cmp_eq_u32 s23, s37
	s_cselect_b32 s23, s36, s33
	s_cmp_lg_u32 s23, 0
	s_cselect_b32 s5, s5, s19
	s_cselect_b32 s4, s4, s3
	s_xor_b64 s[6:7], s[38:39], s[6:7]
	s_xor_b64 s[4:5], s[4:5], s[6:7]
	s_sub_u32 s6, s4, s6
	s_subb_u32 s7, s5, s7
	s_cbranch_execnz .LBB97_7
.LBB97_6:
	v_cvt_f32_u32_e32 v1, s34
	s_sub_i32 s3, 0, s34
	s_mov_b32 s7, 0
	v_rcp_iflag_f32_e32 v1, v1
	s_nop 0
	v_mul_f32_e32 v1, 0x4f7ffffe, v1
	v_cvt_u32_f32_e32 v1, v1
	s_nop 0
	v_readfirstlane_b32 s4, v1
	s_mul_i32 s3, s3, s4
	s_mul_hi_u32 s3, s4, s3
	s_add_i32 s4, s4, s3
	s_mul_hi_u32 s3, s26, s4
	s_mul_i32 s5, s3, s34
	s_sub_i32 s5, s26, s5
	s_add_i32 s4, s3, 1
	s_sub_i32 s6, s5, s34
	s_cmp_ge_u32 s5, s34
	s_cselect_b32 s3, s4, s3
	s_cselect_b32 s5, s6, s5
	s_add_i32 s4, s3, 1
	s_cmp_ge_u32 s5, s34
	s_cselect_b32 s6, s4, s3
.LBB97_7:
	s_mul_i32 s3, s6, s35
	s_mul_hi_u32 s4, s6, s34
	s_load_dwordx2 s[30:31], s[0:1], 0x78
	s_add_i32 s3, s4, s3
	s_mul_i32 s4, s7, s34
	s_add_i32 s3, s3, s4
	s_mul_i32 s4, s6, s34
	s_sub_u32 s33, s26, s4
	s_subb_u32 s3, s27, s3
	v_cmp_gt_i32_e32 vcc, s22, v0
	s_mul_hi_u32 s35, s6, s16
	s_mul_i32 s36, s7, s16
	s_mul_i32 s37, s6, s16
	s_mul_hi_u32 s34, s33, s17
	s_mul_i32 s7, s3, s17
	s_mul_i32 s19, s33, s17
	s_and_saveexec_b64 s[26:27], vcc
	s_cbranch_execz .LBB97_10
; %bb.8:
	s_ashr_i32 s3, s16, 31
	s_mul_i32 s3, s6, s3
	s_load_dword s4, s[0:1], 0x8c
	s_add_i32 s3, s35, s3
	s_add_i32 s39, s3, s36
	s_ashr_i32 s3, s17, 31
	s_mul_i32 s3, s33, s3
	s_add_i32 s3, s34, s3
	s_ashr_i32 s23, s22, 31
	s_add_i32 s40, s3, s7
	s_ashr_i32 s41, s18, 31
	s_waitcnt lgkmcnt(0)
	s_and_b32 s38, s4, 0xffff
	s_lshl_b64 s[4:5], s[28:29], 2
	s_add_u32 s4, s24, s4
	v_lshlrev_b32_e32 v8, 2, v0
	v_mov_b32_e32 v9, 0
	s_addc_u32 s5, s25, s5
	s_lshl_b32 s24, s38, 2
	v_lshl_add_u64 v[4:5], s[4:5], 0, v[8:9]
	s_add_u32 s4, s37, s19
	s_addc_u32 s5, s39, s40
	v_lshl_add_u64 v[6:7], s[22:23], 2, v[4:5]
	s_add_u32 s23, s20, s18
	s_addc_u32 s25, s21, s41
	s_add_u32 s4, s23, s4
	v_mov_b32_e32 v3, v9
	s_addc_u32 s5, s25, s5
	v_lshl_add_u64 v[2:3], s[4:5], 0, v[2:3]
	s_mul_i32 s4, s9, s2
	s_mul_hi_u32 s5, s8, s2
	s_load_dword s3, s[30:31], 0x0
	s_add_i32 s5, s5, s4
	s_mul_i32 s4, s8, s2
	s_lshl_b32 s28, s38, 1
	s_lshl_b64 s[4:5], s[4:5], 1
	s_add_u32 s4, s12, s4
	s_addc_u32 s5, s13, s5
	s_mov_b32 s29, 0
	v_lshl_add_u64 v[2:3], v[2:3], 0, 1
	v_lshl_add_u64 v[8:9], s[4:5], 0, v[8:9]
	s_mov_b64 s[8:9], 0
	s_mov_b32 s23, 0x7f800000
	s_mov_b32 s25, 0x43700000
	v_mov_b32_e32 v1, 0xc3700000
	s_mov_b64 s[12:13], 0
	v_mov_b32_e32 v10, v0
.LBB97_9:                               ; =>This Inner Loop Header: Depth=1
	v_lshl_add_u64 v[14:15], v[6:7], 0, s[12:13]
	v_lshl_add_u64 v[12:13], v[4:5], 0, s[12:13]
	;; [unrolled: 1-line block ×3, first 2 shown]
	global_load_dword v11, v[14:15], off
	global_load_dword v18, v[12:13], off
	;; [unrolled: 1-line block ×3, first 2 shown]
	v_add_u32_e32 v10, s38, v10
	s_add_u32 s12, s12, s24
	s_addc_u32 s13, s13, 0
	v_cmp_le_i32_e32 vcc, s22, v10
	s_or_b64 s[8:9], vcc, s[8:9]
	v_mov_b32_e32 v13, 0
	v_mov_b32_e32 v12, 0
	s_waitcnt vmcnt(2)
	v_cvt_f16_f32_e32 v11, v11
	s_waitcnt vmcnt(1)
	v_cvt_f16_f32_e32 v14, v18
	s_waitcnt vmcnt(0)
	v_mul_f16_sdwa v15, v19, v11 dst_sel:DWORD dst_unused:UNUSED_PAD src0_sel:WORD_1 src1_sel:DWORD
	v_mul_f16_sdwa v18, v19, v14 dst_sel:DWORD dst_unused:UNUSED_PAD src0_sel:WORD_1 src1_sel:DWORD
	v_fma_f16 v14, v19, v14, -v15
	v_fma_f16 v11, v19, v11, v18
	v_pack_b32_f16 v15, v14, v11
	v_lshlrev_b32_e32 v14, 16, v14
	v_lshlrev_b32_e32 v11, 16, v11
	s_waitcnt lgkmcnt(0)
	v_div_scale_f32 v18, s[4:5], s3, s3, v14
	v_div_scale_f32 v20, s[4:5], s3, s3, v11
	v_rcp_f32_e32 v22, v18
	v_rcp_f32_e32 v23, v20
	v_div_scale_f32 v19, vcc, v14, s3, v14
	v_fma_f32 v24, -v18, v22, 1.0
	v_fma_f32 v25, -v20, v23, 1.0
	v_fmac_f32_e32 v22, v24, v22
	v_div_scale_f32 v21, s[4:5], v11, s3, v11
	v_fmac_f32_e32 v23, v25, v23
	v_mul_f32_e32 v24, v19, v22
	v_mul_f32_e32 v25, v21, v23
	v_fma_f32 v26, -v18, v24, v19
	v_fma_f32 v27, -v20, v25, v21
	v_fmac_f32_e32 v24, v26, v22
	v_fmac_f32_e32 v25, v27, v23
	v_fma_f32 v18, -v18, v24, v19
	v_fma_f32 v19, -v20, v25, v21
	v_div_fmas_f32 v18, v18, v22, v24
	s_mov_b64 vcc, s[4:5]
	v_div_fixup_f32 v14, v18, s3, v14
	v_div_fmas_f32 v18, v19, v23, v25
	v_med3_f32 v19, v14, s25, v1
	v_div_fixup_f32 v11, v18, s3, v11
	v_cmp_nlg_f32_e64 vcc, |v14|, s23
	v_med3_f32 v18, v11, s25, v1
	global_store_dword v[16:17], v15, off
	v_cndmask_b32_e32 v14, v19, v14, vcc
	v_cmp_nlg_f32_e64 vcc, |v11|, s23
	v_cvt_pk_fp8_f32 v12, v14, v14
	s_nop 0
	v_cndmask_b32_e32 v11, v18, v11, vcc
	v_cvt_pk_fp8_f32 v13, v11, v11
	v_lshlrev_b16_e32 v11, 8, v13
	v_or_b32_sdwa v11, v12, v11 dst_sel:DWORD dst_unused:UNUSED_PAD src0_sel:BYTE_0 src1_sel:DWORD
	global_store_short v[2:3], v11, off offset:-1
	v_lshl_add_u64 v[2:3], v[2:3], 0, s[28:29]
	s_andn2_b64 exec, exec, s[8:9]
	s_cbranch_execnz .LBB97_9
.LBB97_10:
	s_or_b64 exec, exec, s[26:27]
	v_cmp_gt_i32_e32 vcc, s18, v0
	s_and_saveexec_b64 s[4:5], vcc
	s_cbranch_execz .LBB97_13
; %bb.11:
	s_mul_i32 s3, s2, s11
	s_mul_hi_u32 s4, s2, s10
	s_add_i32 s3, s4, s3
	s_mul_i32 s2, s2, s10
	s_lshl_b64 s[2:3], s[2:3], 1
	s_add_u32 s2, s14, s2
	s_addc_u32 s3, s15, s3
	s_ashr_i32 s4, s16, 31
	s_mul_i32 s4, s6, s4
	s_add_i32 s4, s35, s4
	s_add_i32 s4, s4, s36
	s_add_u32 s5, s20, s37
	s_addc_u32 s4, s21, s4
	s_ashr_i32 s6, s17, 31
	s_mul_i32 s33, s33, s6
	s_add_i32 s6, s34, s33
	s_add_i32 s6, s6, s7
	s_load_dword s8, s[0:1], 0x8c
	s_add_u32 s0, s5, s19
	s_addc_u32 s1, s4, s6
	s_waitcnt lgkmcnt(0)
	s_load_dword s6, s[30:31], 0x0
	s_mov_b64 s[4:5], 0
	s_and_b32 s7, s8, 0xffff
	s_mov_b32 s8, 0x7f800000
	s_mov_b32 s9, 0x43700000
	v_mov_b32_e32 v2, 0xc3700000
.LBB97_12:                              ; =>This Inner Loop Header: Depth=1
	v_ashrrev_i32_e32 v1, 31, v0
	v_lshl_add_u64 v[4:5], v[0:1], 1, s[2:3]
	global_load_ushort v3, v[4:5], off
	v_mov_b32_e32 v6, 0
	s_waitcnt vmcnt(0)
	v_lshlrev_b32_e32 v3, 16, v3
	s_waitcnt lgkmcnt(0)
	v_div_scale_f32 v4, s[10:11], s6, s6, v3
	v_rcp_f32_e32 v5, v4
	v_div_scale_f32 v7, vcc, v3, s6, v3
	v_fma_f32 v8, -v4, v5, 1.0
	v_fmac_f32_e32 v5, v8, v5
	v_mul_f32_e32 v8, v7, v5
	v_fma_f32 v9, -v4, v8, v7
	v_fmac_f32_e32 v8, v9, v5
	v_fma_f32 v4, -v4, v8, v7
	v_div_fmas_f32 v4, v4, v5, v8
	v_div_fixup_f32 v3, v4, s6, v3
	v_med3_f32 v4, v3, s9, v2
	v_cmp_nlg_f32_e64 vcc, |v3|, s8
	s_nop 1
	v_cndmask_b32_e32 v3, v4, v3, vcc
	v_cvt_pk_fp8_f32 v6, v3, v3
	v_lshl_add_u64 v[4:5], s[0:1], 0, v[0:1]
	v_add_u32_e32 v0, s7, v0
	v_cmp_le_i32_e32 vcc, s18, v0
	s_or_b64 s[4:5], vcc, s[4:5]
	global_store_byte v[4:5], v6, off
	s_andn2_b64 exec, exec, s[4:5]
	s_cbranch_execnz .LBB97_12
.LBB97_13:
	s_endpgm
.LBB97_14:
                                        ; implicit-def: $sgpr6_sgpr7
	s_branch .LBB97_6
	.section	.rodata,"a",@progbits
	.p2align	6, 0x0
	.amdhsa_kernel _ZN4vllm38concat_and_cache_mla_rope_fused_kernelIN3c104HalfEfLb0E14__hip_bfloat16hLNS_18Fp8KVCacheDataTypeE1EEEvPKlPT_S8_PKS7_PKT0_illlliPT3_S6_iiiiPKf
		.amdhsa_group_segment_fixed_size 0
		.amdhsa_private_segment_fixed_size 0
		.amdhsa_kernarg_size 384
		.amdhsa_user_sgpr_count 2
		.amdhsa_user_sgpr_dispatch_ptr 0
		.amdhsa_user_sgpr_queue_ptr 0
		.amdhsa_user_sgpr_kernarg_segment_ptr 1
		.amdhsa_user_sgpr_dispatch_id 0
		.amdhsa_user_sgpr_kernarg_preload_length 0
		.amdhsa_user_sgpr_kernarg_preload_offset 0
		.amdhsa_user_sgpr_private_segment_size 0
		.amdhsa_uses_dynamic_stack 0
		.amdhsa_enable_private_segment 0
		.amdhsa_system_sgpr_workgroup_id_x 1
		.amdhsa_system_sgpr_workgroup_id_y 0
		.amdhsa_system_sgpr_workgroup_id_z 0
		.amdhsa_system_sgpr_workgroup_info 0
		.amdhsa_system_vgpr_workitem_id 0
		.amdhsa_next_free_vgpr 28
		.amdhsa_next_free_sgpr 43
		.amdhsa_accum_offset 28
		.amdhsa_reserve_vcc 1
		.amdhsa_float_round_mode_32 0
		.amdhsa_float_round_mode_16_64 0
		.amdhsa_float_denorm_mode_32 3
		.amdhsa_float_denorm_mode_16_64 3
		.amdhsa_dx10_clamp 1
		.amdhsa_ieee_mode 1
		.amdhsa_fp16_overflow 0
		.amdhsa_tg_split 0
		.amdhsa_exception_fp_ieee_invalid_op 0
		.amdhsa_exception_fp_denorm_src 0
		.amdhsa_exception_fp_ieee_div_zero 0
		.amdhsa_exception_fp_ieee_overflow 0
		.amdhsa_exception_fp_ieee_underflow 0
		.amdhsa_exception_fp_ieee_inexact 0
		.amdhsa_exception_int_div_zero 0
	.end_amdhsa_kernel
	.section	.text._ZN4vllm38concat_and_cache_mla_rope_fused_kernelIN3c104HalfEfLb0E14__hip_bfloat16hLNS_18Fp8KVCacheDataTypeE1EEEvPKlPT_S8_PKS7_PKT0_illlliPT3_S6_iiiiPKf,"axG",@progbits,_ZN4vllm38concat_and_cache_mla_rope_fused_kernelIN3c104HalfEfLb0E14__hip_bfloat16hLNS_18Fp8KVCacheDataTypeE1EEEvPKlPT_S8_PKS7_PKT0_illlliPT3_S6_iiiiPKf,comdat
.Lfunc_end97:
	.size	_ZN4vllm38concat_and_cache_mla_rope_fused_kernelIN3c104HalfEfLb0E14__hip_bfloat16hLNS_18Fp8KVCacheDataTypeE1EEEvPKlPT_S8_PKS7_PKT0_illlliPT3_S6_iiiiPKf, .Lfunc_end97-_ZN4vllm38concat_and_cache_mla_rope_fused_kernelIN3c104HalfEfLb0E14__hip_bfloat16hLNS_18Fp8KVCacheDataTypeE1EEEvPKlPT_S8_PKS7_PKT0_illlliPT3_S6_iiiiPKf
                                        ; -- End function
	.section	.AMDGPU.csdata,"",@progbits
; Kernel info:
; codeLenInByte = 2356
; NumSgprs: 49
; NumVgprs: 28
; NumAgprs: 0
; TotalNumVgprs: 28
; ScratchSize: 0
; MemoryBound: 0
; FloatMode: 240
; IeeeMode: 1
; LDSByteSize: 0 bytes/workgroup (compile time only)
; SGPRBlocks: 6
; VGPRBlocks: 3
; NumSGPRsForWavesPerEU: 49
; NumVGPRsForWavesPerEU: 28
; AccumOffset: 28
; Occupancy: 8
; WaveLimiterHint : 1
; COMPUTE_PGM_RSRC2:SCRATCH_EN: 0
; COMPUTE_PGM_RSRC2:USER_SGPR: 2
; COMPUTE_PGM_RSRC2:TRAP_HANDLER: 0
; COMPUTE_PGM_RSRC2:TGID_X_EN: 1
; COMPUTE_PGM_RSRC2:TGID_Y_EN: 0
; COMPUTE_PGM_RSRC2:TGID_Z_EN: 0
; COMPUTE_PGM_RSRC2:TIDIG_COMP_CNT: 0
; COMPUTE_PGM_RSRC3_GFX90A:ACCUM_OFFSET: 6
; COMPUTE_PGM_RSRC3_GFX90A:TG_SPLIT: 0
	.section	.text._ZN4vllm38concat_and_cache_mla_rope_fused_kernelIN3c104HalfES2_Lb1E14__hip_bfloat16hLNS_18Fp8KVCacheDataTypeE1EEEvPKlPT_S8_PKS7_PKT0_illlliPT3_S6_iiiiPKf,"axG",@progbits,_ZN4vllm38concat_and_cache_mla_rope_fused_kernelIN3c104HalfES2_Lb1E14__hip_bfloat16hLNS_18Fp8KVCacheDataTypeE1EEEvPKlPT_S8_PKS7_PKT0_illlliPT3_S6_iiiiPKf,comdat
	.protected	_ZN4vllm38concat_and_cache_mla_rope_fused_kernelIN3c104HalfES2_Lb1E14__hip_bfloat16hLNS_18Fp8KVCacheDataTypeE1EEEvPKlPT_S8_PKS7_PKT0_illlliPT3_S6_iiiiPKf ; -- Begin function _ZN4vllm38concat_and_cache_mla_rope_fused_kernelIN3c104HalfES2_Lb1E14__hip_bfloat16hLNS_18Fp8KVCacheDataTypeE1EEEvPKlPT_S8_PKS7_PKT0_illlliPT3_S6_iiiiPKf
	.globl	_ZN4vllm38concat_and_cache_mla_rope_fused_kernelIN3c104HalfES2_Lb1E14__hip_bfloat16hLNS_18Fp8KVCacheDataTypeE1EEEvPKlPT_S8_PKS7_PKT0_illlliPT3_S6_iiiiPKf
	.p2align	8
	.type	_ZN4vllm38concat_and_cache_mla_rope_fused_kernelIN3c104HalfES2_Lb1E14__hip_bfloat16hLNS_18Fp8KVCacheDataTypeE1EEEvPKlPT_S8_PKS7_PKT0_illlliPT3_S6_iiiiPKf,@function
_ZN4vllm38concat_and_cache_mla_rope_fused_kernelIN3c104HalfES2_Lb1E14__hip_bfloat16hLNS_18Fp8KVCacheDataTypeE1EEEvPKlPT_S8_PKS7_PKT0_illlliPT3_S6_iiiiPKf: ; @_ZN4vllm38concat_and_cache_mla_rope_fused_kernelIN3c104HalfES2_Lb1E14__hip_bfloat16hLNS_18Fp8KVCacheDataTypeE1EEEvPKlPT_S8_PKS7_PKT0_illlliPT3_S6_iiiiPKf
; %bb.0:
	s_load_dwordx2 s[6:7], s[0:1], 0x60
	s_mov_b32 s3, 0
	s_lshl_b64 s[4:5], s[2:3], 3
	s_waitcnt lgkmcnt(0)
	s_add_u32 s6, s6, s4
	s_addc_u32 s7, s7, s5
	s_load_dwordx2 s[30:31], s[6:7], 0x0
	s_waitcnt lgkmcnt(0)
	v_cmp_lt_i64_e64 s[6:7], s[30:31], 0
	s_and_b64 vcc, exec, s[6:7]
	s_cbranch_vccnz .LBB98_13
; %bb.1:
	s_load_dword s3, s[0:1], 0x28
	s_load_dwordx2 s[6:7], s[0:1], 0x0
	s_load_dwordx4 s[12:15], s[0:1], 0x10
	s_waitcnt lgkmcnt(0)
	s_ashr_i32 s22, s3, 31
	s_add_u32 s16, s6, s4
	s_addc_u32 s17, s7, s5
	s_load_dwordx2 s[18:19], s[16:17], 0x0
	s_load_dwordx2 s[26:27], s[0:1], 0x20
	s_load_dwordx8 s[4:11], s[0:1], 0x30
	s_load_dwordx2 s[20:21], s[0:1], 0x58
	s_load_dword s25, s[0:1], 0x50
	s_waitcnt lgkmcnt(0)
	s_mul_i32 s16, s18, s22
	s_mul_hi_u32 s17, s18, s3
	s_mul_i32 s19, s19, s3
	s_add_i32 s16, s17, s16
	s_add_i32 s17, s16, s19
	s_mul_i32 s16, s18, s3
	s_lshl_b64 s[28:29], s[16:17], 1
	s_add_u32 s22, s26, s28
	s_addc_u32 s23, s27, s29
	s_lshr_b32 s16, s3, 31
	s_add_i32 s3, s3, s16
	s_ashr_i32 s24, s3, 1
	s_mul_i32 s3, s24, s25
	v_cmp_gt_i32_e32 vcc, s3, v0
	s_and_saveexec_b64 s[16:17], vcc
	s_cbranch_execz .LBB98_4
; %bb.2:
	s_load_dwordx2 s[18:19], s[0:1], 0x8
	s_load_dword s34, s[0:1], 0x8c
	s_mul_i32 s5, s2, s5
	s_mul_hi_u32 s33, s2, s4
	s_add_i32 s5, s33, s5
	s_mul_i32 s4, s2, s4
	s_ashr_i32 s25, s24, 31
	s_lshl_b64 s[4:5], s[4:5], 1
	s_waitcnt lgkmcnt(0)
	s_add_u32 s4, s18, s4
	s_addc_u32 s5, s19, s5
	s_abs_i32 s33, s24
	v_cvt_f32_u32_e32 v1, s33
	s_sub_i32 s38, 0, s33
	s_mov_b64 s[18:19], 0
	s_and_b32 s36, s34, 0xffff
	v_rcp_iflag_f32_e32 v1, v1
	s_sub_i32 s37, 0, s24
	s_lshl_b64 s[34:35], s[24:25], 1
	v_mul_f32_e32 v1, 0x4f7ffffe, v1
	v_cvt_u32_f32_e32 v1, v1
	v_mul_lo_u32 v2, s38, v1
	v_mul_hi_u32 v2, v1, v2
	v_add_u32_e32 v1, v1, v2
	v_mov_b32_e32 v2, v0
.LBB98_3:                               ; =>This Inner Loop Header: Depth=1
	v_sub_u32_e32 v4, 0, v2
	v_max_i32_e32 v4, v2, v4
	v_mul_hi_u32 v5, v4, v1
	v_mul_lo_u32 v6, v5, s33
	v_sub_u32_e32 v4, v4, v6
	v_add_u32_e32 v7, 1, v5
	v_cmp_le_u32_e32 vcc, s33, v4
	v_subrev_u32_e32 v6, s33, v4
	v_ashrrev_i32_e32 v3, 31, v2
	v_cndmask_b32_e32 v5, v5, v7, vcc
	v_cndmask_b32_e32 v4, v4, v6, vcc
	v_add_u32_e32 v6, 1, v5
	v_cmp_le_u32_e32 vcc, s33, v4
	v_xor_b32_e32 v3, s25, v3
	s_nop 0
	v_cndmask_b32_e32 v4, v5, v6, vcc
	v_xor_b32_e32 v4, v4, v3
	v_sub_u32_e32 v3, v4, v3
	v_ashrrev_i32_e32 v8, 31, v3
	v_mad_u64_u32 v[4:5], s[38:39], s37, v3, v[2:3]
	v_mul_lo_u32 v9, v3, s7
	v_mad_u64_u32 v[6:7], s[38:39], v3, s6, 0
	v_mul_lo_u32 v3, v8, s6
	v_ashrrev_i32_e32 v5, 31, v4
	v_add3_u32 v7, v7, v9, v3
	v_lshlrev_b64 v[4:5], 1, v[4:5]
	v_lshl_add_u64 v[6:7], v[6:7], 1, s[4:5]
	v_lshl_add_u64 v[8:9], s[22:23], 0, v[4:5]
	;; [unrolled: 1-line block ×4, first 2 shown]
	global_load_ushort v3, v[8:9], off
	global_load_ushort v12, v[10:11], off
	v_lshl_add_u64 v[6:7], v[4:5], 0, s[34:35]
	global_load_ushort v8, v[4:5], off
	global_load_ushort v9, v[6:7], off
	v_add_u32_e32 v2, s36, v2
	v_cmp_le_i32_e32 vcc, s3, v2
	s_or_b64 s[18:19], vcc, s[18:19]
	s_waitcnt vmcnt(0)
	v_mul_f16_e32 v10, v12, v9
	v_mul_f16_e32 v9, v3, v9
	v_fma_f16 v3, v3, v8, -v10
	v_fma_f16 v8, v12, v8, v9
	global_store_short v[4:5], v3, off
	global_store_short v[6:7], v8, off
	s_andn2_b64 exec, exec, s[18:19]
	s_cbranch_execnz .LBB98_3
.LBB98_4:
	s_or_b64 exec, exec, s[16:17]
	s_load_dwordx4 s[16:19], s[0:1], 0x68
	s_waitcnt lgkmcnt(0)
	s_ashr_i32 s37, s19, 31
	s_mov_b32 s36, s19
	s_or_b64 s[4:5], s[30:31], s[36:37]
	s_mov_b32 s4, 0
	s_cmp_lg_u64 s[4:5], 0
	s_cbranch_scc0 .LBB98_14
; %bb.5:
	s_add_u32 s4, s36, s37
	s_mov_b32 s6, s37
	s_mov_b32 s7, s37
	s_addc_u32 s5, s37, s37
	s_xor_b64 s[38:39], s[4:5], s[6:7]
	v_cvt_f32_u32_e32 v1, s38
	v_cvt_f32_u32_e32 v2, s39
	s_sub_u32 s3, 0, s38
	s_subb_u32 s4, 0, s39
	v_fmamk_f32 v1, v2, 0x4f800000, v1
	v_rcp_f32_e32 v1, v1
	s_nop 0
	v_mul_f32_e32 v1, 0x5f7ffffc, v1
	v_mul_f32_e32 v2, 0x2f800000, v1
	v_trunc_f32_e32 v2, v2
	v_fmamk_f32 v1, v2, 0xcf800000, v1
	v_cvt_u32_f32_e32 v2, v2
	v_cvt_u32_f32_e32 v1, v1
	v_readfirstlane_b32 s5, v2
	v_readfirstlane_b32 s19, v1
	s_mul_i32 s25, s3, s5
	s_mul_hi_u32 s40, s3, s19
	s_mul_i32 s33, s4, s19
	s_add_i32 s25, s40, s25
	s_add_i32 s25, s25, s33
	s_mul_i32 s41, s3, s19
	s_mul_hi_u32 s33, s19, s25
	s_mul_i32 s40, s19, s25
	s_mul_hi_u32 s19, s19, s41
	s_add_u32 s19, s19, s40
	s_addc_u32 s33, 0, s33
	s_mul_hi_u32 s42, s5, s41
	s_mul_i32 s41, s5, s41
	s_add_u32 s19, s19, s41
	s_mul_hi_u32 s40, s5, s25
	s_addc_u32 s19, s33, s42
	s_addc_u32 s33, s40, 0
	s_mul_i32 s25, s5, s25
	s_add_u32 s19, s19, s25
	s_addc_u32 s25, 0, s33
	v_add_co_u32_e32 v1, vcc, s19, v1
	s_cmp_lg_u64 vcc, 0
	s_addc_u32 s5, s5, s25
	v_readfirstlane_b32 s25, v1
	s_mul_i32 s19, s3, s5
	s_mul_hi_u32 s33, s3, s25
	s_add_i32 s19, s33, s19
	s_mul_i32 s4, s4, s25
	s_add_i32 s19, s19, s4
	s_mul_i32 s3, s3, s25
	s_mul_hi_u32 s33, s5, s3
	s_mul_i32 s40, s5, s3
	s_mul_i32 s42, s25, s19
	s_mul_hi_u32 s3, s25, s3
	s_mul_hi_u32 s41, s25, s19
	s_add_u32 s3, s3, s42
	s_addc_u32 s25, 0, s41
	s_add_u32 s3, s3, s40
	s_mul_hi_u32 s4, s5, s19
	s_addc_u32 s3, s25, s33
	s_addc_u32 s4, s4, 0
	s_mul_i32 s19, s5, s19
	s_add_u32 s3, s3, s19
	s_addc_u32 s4, 0, s4
	v_add_co_u32_e32 v1, vcc, s3, v1
	s_cmp_lg_u64 vcc, 0
	s_addc_u32 s3, s5, s4
	s_ashr_i32 s40, s31, 31
	s_add_u32 s4, s30, s40
	s_mov_b32 s41, s40
	s_addc_u32 s5, s31, s40
	s_xor_b64 s[42:43], s[4:5], s[40:41]
	v_readfirstlane_b32 s19, v1
	s_mul_i32 s5, s42, s3
	s_mul_hi_u32 s25, s42, s19
	s_mul_hi_u32 s4, s42, s3
	s_add_u32 s5, s25, s5
	s_addc_u32 s4, 0, s4
	s_mul_hi_u32 s33, s43, s19
	s_mul_i32 s19, s43, s19
	s_add_u32 s5, s5, s19
	s_mul_hi_u32 s25, s43, s3
	s_addc_u32 s4, s4, s33
	s_addc_u32 s5, s25, 0
	s_mul_i32 s3, s43, s3
	s_add_u32 s3, s4, s3
	s_addc_u32 s19, 0, s5
	s_mul_i32 s4, s38, s19
	s_mul_hi_u32 s5, s38, s3
	s_add_i32 s4, s5, s4
	s_mul_i32 s5, s39, s3
	s_add_i32 s25, s4, s5
	s_mul_i32 s5, s38, s3
	v_mov_b32_e32 v1, s5
	s_sub_i32 s4, s43, s25
	v_sub_co_u32_e32 v1, vcc, s42, v1
	s_cmp_lg_u64 vcc, 0
	s_subb_u32 s33, s4, s39
	v_subrev_co_u32_e64 v2, s[4:5], s38, v1
	s_cmp_lg_u64 s[4:5], 0
	s_subb_u32 s4, s33, 0
	s_cmp_ge_u32 s4, s39
	v_readfirstlane_b32 s33, v2
	s_cselect_b32 s5, -1, 0
	s_cmp_ge_u32 s33, s38
	s_cselect_b32 s33, -1, 0
	s_cmp_eq_u32 s4, s39
	s_cselect_b32 s4, s33, s5
	s_add_u32 s5, s3, 1
	s_addc_u32 s33, s19, 0
	s_add_u32 s42, s3, 2
	s_addc_u32 s44, s19, 0
	s_cmp_lg_u32 s4, 0
	s_cselect_b32 s4, s42, s5
	s_cselect_b32 s5, s44, s33
	s_cmp_lg_u64 vcc, 0
	s_subb_u32 s25, s43, s25
	s_cmp_ge_u32 s25, s39
	v_readfirstlane_b32 s42, v1
	s_cselect_b32 s33, -1, 0
	s_cmp_ge_u32 s42, s38
	s_cselect_b32 s38, -1, 0
	s_cmp_eq_u32 s25, s39
	s_cselect_b32 s25, s38, s33
	s_cmp_lg_u32 s25, 0
	s_cselect_b32 s5, s5, s19
	s_cselect_b32 s4, s4, s3
	s_xor_b64 s[6:7], s[40:41], s[6:7]
	s_xor_b64 s[4:5], s[4:5], s[6:7]
	s_sub_u32 s6, s4, s6
	s_subb_u32 s7, s5, s7
	s_cbranch_execnz .LBB98_7
.LBB98_6:
	v_cvt_f32_u32_e32 v1, s36
	s_sub_i32 s3, 0, s36
	s_mov_b32 s7, 0
	v_rcp_iflag_f32_e32 v1, v1
	s_nop 0
	v_mul_f32_e32 v1, 0x4f7ffffe, v1
	v_cvt_u32_f32_e32 v1, v1
	s_nop 0
	v_readfirstlane_b32 s4, v1
	s_mul_i32 s3, s3, s4
	s_mul_hi_u32 s3, s4, s3
	s_add_i32 s4, s4, s3
	s_mul_hi_u32 s3, s30, s4
	s_mul_i32 s5, s3, s36
	s_sub_i32 s5, s30, s5
	s_add_i32 s4, s3, 1
	s_sub_i32 s6, s5, s36
	s_cmp_ge_u32 s5, s36
	s_cselect_b32 s3, s4, s3
	s_cselect_b32 s5, s6, s5
	s_add_i32 s4, s3, 1
	s_cmp_ge_u32 s5, s36
	s_cselect_b32 s6, s4, s3
.LBB98_7:
	s_mul_i32 s3, s6, s37
	s_mul_hi_u32 s4, s6, s36
	s_load_dwordx2 s[34:35], s[0:1], 0x78
	s_add_i32 s3, s4, s3
	s_mul_i32 s4, s7, s36
	s_add_i32 s3, s3, s4
	s_mul_i32 s4, s6, s36
	s_sub_u32 s33, s30, s4
	s_subb_u32 s3, s31, s3
	v_cmp_gt_i32_e32 vcc, s24, v0
	s_mul_hi_u32 s39, s6, s16
	s_mul_i32 s40, s7, s16
	s_mul_i32 s41, s6, s16
	s_mul_hi_u32 s38, s33, s17
	s_mul_i32 s7, s3, s17
	s_mul_i32 s19, s33, s17
	s_and_saveexec_b64 s[30:31], vcc
	s_cbranch_execz .LBB98_10
; %bb.8:
	s_mul_i32 s3, s2, s9
	s_mul_hi_u32 s4, s2, s8
	s_add_i32 s5, s4, s3
	s_mul_i32 s4, s2, s8
	s_ashr_i32 s25, s24, 31
	s_lshl_b64 s[4:5], s[4:5], 1
	s_add_u32 s8, s12, s4
	s_addc_u32 s9, s13, s5
	s_ashr_i32 s3, s16, 31
	s_load_dword s36, s[0:1], 0x8c
	s_mul_i32 s3, s6, s3
	s_add_i32 s3, s39, s3
	s_add_i32 s43, s3, s40
	s_ashr_i32 s3, s17, 31
	s_mul_i32 s3, s33, s3
	s_add_i32 s3, s38, s3
	s_waitcnt lgkmcnt(0)
	s_and_b32 s36, s36, 0xffff
	s_add_i32 s46, s3, s7
	s_ashr_i32 s47, s18, 31
	s_lshl_b32 s42, s36, 1
	s_lshl_b64 s[44:45], s[24:25], 1
	s_add_u32 s28, s28, s44
	s_addc_u32 s29, s29, s45
	s_add_u32 s26, s26, s28
	s_addc_u32 s27, s27, s29
	;; [unrolled: 2-line block ×5, first 2 shown]
	s_load_dword s3, s[34:35], 0x0
	s_add_u32 s4, s4, s18
	s_addc_u32 s5, s5, s47
	s_add_u32 s4, s20, s4
	v_mov_b32_e32 v1, 0
	s_addc_u32 s5, s21, s5
	s_mov_b32 s37, 0
	v_lshlrev_b32_e32 v2, 1, v0
	v_mov_b32_e32 v3, v1
	v_lshl_add_u64 v[4:5], s[4:5], 0, v[0:1]
	s_mov_b64 s[28:29], 0
	s_mov_b32 s43, 0x7f800000
	s_mov_b32 s44, 0x43700000
	v_mov_b32_e32 v1, 0xc3700000
	v_mov_b32_e32 v6, v0
.LBB98_9:                               ; =>This Inner Loop Header: Depth=1
	v_lshl_add_u64 v[10:11], s[26:27], 0, v[2:3]
	v_lshl_add_u64 v[8:9], s[22:23], 0, v[2:3]
	;; [unrolled: 1-line block ×4, first 2 shown]
	global_load_ushort v7, v[10:11], off
	global_load_ushort v16, v[14:15], off
	;; [unrolled: 1-line block ×4, first 2 shown]
	s_add_u32 s22, s22, s42
	s_addc_u32 s23, s23, 0
	s_add_u32 s26, s26, s42
	s_addc_u32 s27, s27, 0
	s_add_u32 s12, s12, s42
	s_addc_u32 s13, s13, 0
	v_add_u32_e32 v6, s36, v6
	s_add_u32 s8, s8, s42
	v_cmp_le_i32_e32 vcc, s24, v6
	s_addc_u32 s9, s9, 0
	s_or_b64 s[28:29], vcc, s[28:29]
	v_mov_b32_e32 v10, 0
	v_mov_b32_e32 v11, 0
	v_lshl_add_u64 v[8:9], v[4:5], 0, s[24:25]
	s_waitcnt vmcnt(2)
	v_mul_f16_e32 v19, v7, v16
	s_waitcnt vmcnt(1)
	v_mul_f16_e32 v16, v17, v16
	s_waitcnt vmcnt(0)
	v_fma_f16 v17, v17, v18, -v19
	v_fma_f16 v7, v7, v18, v16
	global_store_short v[12:13], v17, off
	v_lshlrev_b32_e32 v12, 16, v17
	v_lshlrev_b32_e32 v13, 16, v7
	s_waitcnt lgkmcnt(0)
	v_div_scale_f32 v16, s[4:5], s3, s3, v12
	v_div_scale_f32 v18, s[4:5], s3, s3, v13
	v_rcp_f32_e32 v20, v16
	v_rcp_f32_e32 v21, v18
	v_div_scale_f32 v17, vcc, v12, s3, v12
	v_fma_f32 v22, -v16, v20, 1.0
	v_fma_f32 v23, -v18, v21, 1.0
	v_fmac_f32_e32 v20, v22, v20
	v_div_scale_f32 v19, s[4:5], v13, s3, v13
	v_fmac_f32_e32 v21, v23, v21
	v_mul_f32_e32 v22, v17, v20
	v_mul_f32_e32 v23, v19, v21
	v_fma_f32 v24, -v16, v22, v17
	v_fma_f32 v25, -v18, v23, v19
	v_fmac_f32_e32 v22, v24, v20
	v_fmac_f32_e32 v23, v25, v21
	v_fma_f32 v16, -v16, v22, v17
	v_fma_f32 v17, -v18, v23, v19
	v_div_fmas_f32 v16, v16, v20, v22
	s_mov_b64 vcc, s[4:5]
	v_div_fixup_f32 v12, v16, s3, v12
	v_div_fmas_f32 v16, v17, v21, v23
	v_med3_f32 v17, v12, s44, v1
	v_div_fixup_f32 v13, v16, s3, v13
	v_cmp_nlg_f32_e64 vcc, |v12|, s43
	v_med3_f32 v16, v13, s44, v1
	s_nop 0
	v_cndmask_b32_e32 v12, v17, v12, vcc
	v_cmp_nlg_f32_e64 vcc, |v13|, s43
	v_cvt_pk_fp8_f32 v10, v12, v12
	global_store_short v[14:15], v7, off
	global_store_byte v[4:5], v10, off
	v_cndmask_b32_e32 v12, v16, v13, vcc
	v_cvt_pk_fp8_f32 v11, v12, v12
	v_lshl_add_u64 v[4:5], v[4:5], 0, s[36:37]
	global_store_byte v[8:9], v11, off
	s_andn2_b64 exec, exec, s[28:29]
	s_cbranch_execnz .LBB98_9
.LBB98_10:
	s_or_b64 exec, exec, s[30:31]
	v_cmp_gt_i32_e32 vcc, s18, v0
	s_and_saveexec_b64 s[4:5], vcc
	s_cbranch_execz .LBB98_13
; %bb.11:
	s_mul_i32 s3, s2, s11
	s_mul_hi_u32 s4, s2, s10
	s_add_i32 s3, s4, s3
	s_mul_i32 s2, s2, s10
	s_lshl_b64 s[2:3], s[2:3], 1
	s_add_u32 s2, s14, s2
	s_addc_u32 s3, s15, s3
	s_ashr_i32 s4, s16, 31
	s_mul_i32 s4, s6, s4
	s_add_i32 s4, s39, s4
	s_add_i32 s4, s4, s40
	s_add_u32 s5, s20, s41
	s_addc_u32 s4, s21, s4
	s_ashr_i32 s6, s17, 31
	s_mul_i32 s33, s33, s6
	s_add_i32 s6, s38, s33
	s_add_i32 s6, s6, s7
	s_load_dword s8, s[0:1], 0x8c
	s_add_u32 s0, s5, s19
	s_addc_u32 s1, s4, s6
	s_waitcnt lgkmcnt(0)
	s_load_dword s6, s[34:35], 0x0
	s_mov_b64 s[4:5], 0
	s_and_b32 s7, s8, 0xffff
	s_mov_b32 s8, 0x7f800000
	s_mov_b32 s9, 0x43700000
	v_mov_b32_e32 v2, 0xc3700000
.LBB98_12:                              ; =>This Inner Loop Header: Depth=1
	v_ashrrev_i32_e32 v1, 31, v0
	v_lshl_add_u64 v[4:5], v[0:1], 1, s[2:3]
	global_load_ushort v3, v[4:5], off
	v_mov_b32_e32 v6, 0
	s_waitcnt vmcnt(0)
	v_lshlrev_b32_e32 v3, 16, v3
	s_waitcnt lgkmcnt(0)
	v_div_scale_f32 v4, s[10:11], s6, s6, v3
	v_rcp_f32_e32 v5, v4
	v_div_scale_f32 v7, vcc, v3, s6, v3
	v_fma_f32 v8, -v4, v5, 1.0
	v_fmac_f32_e32 v5, v8, v5
	v_mul_f32_e32 v8, v7, v5
	v_fma_f32 v9, -v4, v8, v7
	v_fmac_f32_e32 v8, v9, v5
	v_fma_f32 v4, -v4, v8, v7
	v_div_fmas_f32 v4, v4, v5, v8
	v_div_fixup_f32 v3, v4, s6, v3
	v_med3_f32 v4, v3, s9, v2
	v_cmp_nlg_f32_e64 vcc, |v3|, s8
	s_nop 1
	v_cndmask_b32_e32 v3, v4, v3, vcc
	v_cvt_pk_fp8_f32 v6, v3, v3
	v_lshl_add_u64 v[4:5], s[0:1], 0, v[0:1]
	v_add_u32_e32 v0, s7, v0
	v_cmp_le_i32_e32 vcc, s18, v0
	s_or_b64 s[4:5], vcc, s[4:5]
	global_store_byte v[4:5], v6, off
	s_andn2_b64 exec, exec, s[4:5]
	s_cbranch_execnz .LBB98_12
.LBB98_13:
	s_endpgm
.LBB98_14:
                                        ; implicit-def: $sgpr6_sgpr7
	s_branch .LBB98_6
	.section	.rodata,"a",@progbits
	.p2align	6, 0x0
	.amdhsa_kernel _ZN4vllm38concat_and_cache_mla_rope_fused_kernelIN3c104HalfES2_Lb1E14__hip_bfloat16hLNS_18Fp8KVCacheDataTypeE1EEEvPKlPT_S8_PKS7_PKT0_illlliPT3_S6_iiiiPKf
		.amdhsa_group_segment_fixed_size 0
		.amdhsa_private_segment_fixed_size 0
		.amdhsa_kernarg_size 384
		.amdhsa_user_sgpr_count 2
		.amdhsa_user_sgpr_dispatch_ptr 0
		.amdhsa_user_sgpr_queue_ptr 0
		.amdhsa_user_sgpr_kernarg_segment_ptr 1
		.amdhsa_user_sgpr_dispatch_id 0
		.amdhsa_user_sgpr_kernarg_preload_length 0
		.amdhsa_user_sgpr_kernarg_preload_offset 0
		.amdhsa_user_sgpr_private_segment_size 0
		.amdhsa_uses_dynamic_stack 0
		.amdhsa_enable_private_segment 0
		.amdhsa_system_sgpr_workgroup_id_x 1
		.amdhsa_system_sgpr_workgroup_id_y 0
		.amdhsa_system_sgpr_workgroup_id_z 0
		.amdhsa_system_sgpr_workgroup_info 0
		.amdhsa_system_vgpr_workitem_id 0
		.amdhsa_next_free_vgpr 26
		.amdhsa_next_free_sgpr 48
		.amdhsa_accum_offset 28
		.amdhsa_reserve_vcc 1
		.amdhsa_float_round_mode_32 0
		.amdhsa_float_round_mode_16_64 0
		.amdhsa_float_denorm_mode_32 3
		.amdhsa_float_denorm_mode_16_64 3
		.amdhsa_dx10_clamp 1
		.amdhsa_ieee_mode 1
		.amdhsa_fp16_overflow 0
		.amdhsa_tg_split 0
		.amdhsa_exception_fp_ieee_invalid_op 0
		.amdhsa_exception_fp_denorm_src 0
		.amdhsa_exception_fp_ieee_div_zero 0
		.amdhsa_exception_fp_ieee_overflow 0
		.amdhsa_exception_fp_ieee_underflow 0
		.amdhsa_exception_fp_ieee_inexact 0
		.amdhsa_exception_int_div_zero 0
	.end_amdhsa_kernel
	.section	.text._ZN4vllm38concat_and_cache_mla_rope_fused_kernelIN3c104HalfES2_Lb1E14__hip_bfloat16hLNS_18Fp8KVCacheDataTypeE1EEEvPKlPT_S8_PKS7_PKT0_illlliPT3_S6_iiiiPKf,"axG",@progbits,_ZN4vllm38concat_and_cache_mla_rope_fused_kernelIN3c104HalfES2_Lb1E14__hip_bfloat16hLNS_18Fp8KVCacheDataTypeE1EEEvPKlPT_S8_PKS7_PKT0_illlliPT3_S6_iiiiPKf,comdat
.Lfunc_end98:
	.size	_ZN4vllm38concat_and_cache_mla_rope_fused_kernelIN3c104HalfES2_Lb1E14__hip_bfloat16hLNS_18Fp8KVCacheDataTypeE1EEEvPKlPT_S8_PKS7_PKT0_illlliPT3_S6_iiiiPKf, .Lfunc_end98-_ZN4vllm38concat_and_cache_mla_rope_fused_kernelIN3c104HalfES2_Lb1E14__hip_bfloat16hLNS_18Fp8KVCacheDataTypeE1EEEvPKlPT_S8_PKS7_PKT0_illlliPT3_S6_iiiiPKf
                                        ; -- End function
	.section	.AMDGPU.csdata,"",@progbits
; Kernel info:
; codeLenInByte = 2336
; NumSgprs: 54
; NumVgprs: 26
; NumAgprs: 0
; TotalNumVgprs: 26
; ScratchSize: 0
; MemoryBound: 0
; FloatMode: 240
; IeeeMode: 1
; LDSByteSize: 0 bytes/workgroup (compile time only)
; SGPRBlocks: 6
; VGPRBlocks: 3
; NumSGPRsForWavesPerEU: 54
; NumVGPRsForWavesPerEU: 26
; AccumOffset: 28
; Occupancy: 8
; WaveLimiterHint : 1
; COMPUTE_PGM_RSRC2:SCRATCH_EN: 0
; COMPUTE_PGM_RSRC2:USER_SGPR: 2
; COMPUTE_PGM_RSRC2:TRAP_HANDLER: 0
; COMPUTE_PGM_RSRC2:TGID_X_EN: 1
; COMPUTE_PGM_RSRC2:TGID_Y_EN: 0
; COMPUTE_PGM_RSRC2:TGID_Z_EN: 0
; COMPUTE_PGM_RSRC2:TIDIG_COMP_CNT: 0
; COMPUTE_PGM_RSRC3_GFX90A:ACCUM_OFFSET: 6
; COMPUTE_PGM_RSRC3_GFX90A:TG_SPLIT: 0
	.section	.text._ZN4vllm38concat_and_cache_mla_rope_fused_kernelIN3c104HalfES2_Lb0E14__hip_bfloat16hLNS_18Fp8KVCacheDataTypeE1EEEvPKlPT_S8_PKS7_PKT0_illlliPT3_S6_iiiiPKf,"axG",@progbits,_ZN4vllm38concat_and_cache_mla_rope_fused_kernelIN3c104HalfES2_Lb0E14__hip_bfloat16hLNS_18Fp8KVCacheDataTypeE1EEEvPKlPT_S8_PKS7_PKT0_illlliPT3_S6_iiiiPKf,comdat
	.protected	_ZN4vllm38concat_and_cache_mla_rope_fused_kernelIN3c104HalfES2_Lb0E14__hip_bfloat16hLNS_18Fp8KVCacheDataTypeE1EEEvPKlPT_S8_PKS7_PKT0_illlliPT3_S6_iiiiPKf ; -- Begin function _ZN4vllm38concat_and_cache_mla_rope_fused_kernelIN3c104HalfES2_Lb0E14__hip_bfloat16hLNS_18Fp8KVCacheDataTypeE1EEEvPKlPT_S8_PKS7_PKT0_illlliPT3_S6_iiiiPKf
	.globl	_ZN4vllm38concat_and_cache_mla_rope_fused_kernelIN3c104HalfES2_Lb0E14__hip_bfloat16hLNS_18Fp8KVCacheDataTypeE1EEEvPKlPT_S8_PKS7_PKT0_illlliPT3_S6_iiiiPKf
	.p2align	8
	.type	_ZN4vllm38concat_and_cache_mla_rope_fused_kernelIN3c104HalfES2_Lb0E14__hip_bfloat16hLNS_18Fp8KVCacheDataTypeE1EEEvPKlPT_S8_PKS7_PKT0_illlliPT3_S6_iiiiPKf,@function
_ZN4vllm38concat_and_cache_mla_rope_fused_kernelIN3c104HalfES2_Lb0E14__hip_bfloat16hLNS_18Fp8KVCacheDataTypeE1EEEvPKlPT_S8_PKS7_PKT0_illlliPT3_S6_iiiiPKf: ; @_ZN4vllm38concat_and_cache_mla_rope_fused_kernelIN3c104HalfES2_Lb0E14__hip_bfloat16hLNS_18Fp8KVCacheDataTypeE1EEEvPKlPT_S8_PKS7_PKT0_illlliPT3_S6_iiiiPKf
; %bb.0:
	s_load_dwordx2 s[6:7], s[0:1], 0x60
	s_mov_b32 s3, 0
	s_lshl_b64 s[4:5], s[2:3], 3
	s_waitcnt lgkmcnt(0)
	s_add_u32 s6, s6, s4
	s_addc_u32 s7, s7, s5
	s_load_dwordx2 s[26:27], s[6:7], 0x0
	s_waitcnt lgkmcnt(0)
	v_cmp_lt_i64_e64 s[6:7], s[26:27], 0
	s_and_b64 vcc, exec, s[6:7]
	s_cbranch_vccnz .LBB99_13
; %bb.1:
	s_load_dword s3, s[0:1], 0x28
	s_load_dwordx2 s[6:7], s[0:1], 0x0
	s_load_dwordx4 s[12:15], s[0:1], 0x10
	v_lshlrev_b32_e32 v2, 1, v0
	s_waitcnt lgkmcnt(0)
	s_ashr_i32 s22, s3, 31
	s_add_u32 s16, s6, s4
	s_addc_u32 s17, s7, s5
	s_load_dwordx2 s[18:19], s[16:17], 0x0
	s_load_dwordx2 s[24:25], s[0:1], 0x20
	s_load_dwordx8 s[4:11], s[0:1], 0x30
	s_load_dwordx2 s[20:21], s[0:1], 0x58
	s_load_dword s23, s[0:1], 0x50
	s_waitcnt lgkmcnt(0)
	s_mul_i32 s16, s18, s22
	s_mul_hi_u32 s17, s18, s3
	s_mul_i32 s19, s19, s3
	s_add_i32 s16, s17, s16
	s_add_i32 s29, s16, s19
	s_lshr_b32 s16, s3, 31
	s_mul_i32 s28, s18, s3
	s_add_i32 s3, s3, s16
	s_ashr_i32 s22, s3, 1
	s_mul_i32 s3, s22, s23
	v_cmp_gt_i32_e32 vcc, s3, v0
	s_and_saveexec_b64 s[16:17], vcc
	s_cbranch_execz .LBB99_4
; %bb.2:
	s_load_dwordx2 s[30:31], s[0:1], 0x8
	s_load_dword s34, s[0:1], 0x8c
	s_lshl_b64 s[18:19], s[28:29], 1
	s_add_u32 s18, s24, s18
	s_mul_i32 s5, s2, s5
	s_mul_hi_u32 s33, s2, s4
	s_addc_u32 s19, s25, s19
	s_add_i32 s5, s33, s5
	s_mul_i32 s4, s2, s4
	s_ashr_i32 s23, s22, 31
	s_lshl_b64 s[4:5], s[4:5], 1
	s_waitcnt lgkmcnt(0)
	s_add_u32 s4, s30, s4
	s_addc_u32 s5, s31, s5
	s_abs_i32 s33, s22
	v_cvt_f32_u32_e32 v1, s33
	s_sub_i32 s30, 0, s33
	s_and_b32 s34, s34, 0xffff
	s_sub_i32 s35, 0, s22
	v_rcp_iflag_f32_e32 v1, v1
	s_lshl_b32 s37, s34, 1
	v_mov_b32_e32 v4, v2
	v_mov_b32_e32 v6, v0
	v_mul_f32_e32 v1, 0x4f7ffffe, v1
	v_cvt_u32_f32_e32 v1, v1
	v_mul_lo_u32 v3, s30, v1
	v_mul_hi_u32 v3, v1, v3
	s_lshl_b32 s30, s22, 1
	v_add_u32_e32 v1, v1, v3
	s_sub_i32 s36, 0, s30
	s_mov_b64 s[30:31], 0
.LBB99_3:                               ; =>This Inner Loop Header: Depth=1
	v_sub_u32_e32 v5, 0, v6
	v_max_i32_e32 v5, v6, v5
	v_mul_hi_u32 v7, v5, v1
	v_mul_lo_u32 v8, v7, s33
	v_sub_u32_e32 v5, v5, v8
	v_add_u32_e32 v9, 1, v7
	v_cmp_le_u32_e32 vcc, s33, v5
	v_subrev_u32_e32 v8, s33, v5
	v_ashrrev_i32_e32 v3, 31, v6
	v_cndmask_b32_e32 v7, v7, v9, vcc
	v_cndmask_b32_e32 v5, v5, v8, vcc
	v_add_u32_e32 v8, 1, v7
	v_cmp_le_u32_e32 vcc, s33, v5
	v_xor_b32_e32 v3, s23, v3
	s_nop 0
	v_cndmask_b32_e32 v5, v7, v8, vcc
	v_xor_b32_e32 v5, v5, v3
	v_sub_u32_e32 v3, v5, v3
	v_ashrrev_i32_e32 v5, 31, v3
	v_mad_u64_u32 v[8:9], s[38:39], s35, v3, v[6:7]
	v_mul_lo_u32 v7, v3, s7
	v_mad_u64_u32 v[10:11], s[38:39], v3, s6, 0
	v_mad_u64_u32 v[12:13], s[38:39], s36, v3, v[4:5]
	v_mul_lo_u32 v3, v5, s6
	v_ashrrev_i32_e32 v9, 31, v8
	v_add3_u32 v11, v11, v7, v3
	v_ashrrev_i32_e32 v13, 31, v12
	v_lshl_add_u64 v[8:9], v[8:9], 1, s[18:19]
	v_lshl_add_u64 v[10:11], v[10:11], 1, s[4:5]
	;; [unrolled: 1-line block ×3, first 2 shown]
	global_load_ushort v3, v[8:9], off
	global_load_ushort v5, v[14:15], off
	v_lshl_add_u64 v[8:9], v[12:13], 1, v[10:11]
	global_load_dword v7, v[8:9], off
	v_add_u32_e32 v6, s34, v6
	v_cmp_le_i32_e32 vcc, s3, v6
	v_add_u32_e32 v4, s37, v4
	s_or_b64 s[30:31], vcc, s[30:31]
	s_waitcnt vmcnt(0)
	v_mul_f16_sdwa v10, v5, v7 dst_sel:DWORD dst_unused:UNUSED_PAD src0_sel:DWORD src1_sel:WORD_1
	v_mul_f16_sdwa v11, v3, v7 dst_sel:DWORD dst_unused:UNUSED_PAD src0_sel:DWORD src1_sel:WORD_1
	v_fma_f16 v3, v3, v7, -v10
	v_fma_f16 v5, v5, v7, v11
	v_pack_b32_f16 v3, v3, v5
	global_store_dword v[8:9], v3, off
	s_andn2_b64 exec, exec, s[30:31]
	s_cbranch_execnz .LBB99_3
.LBB99_4:
	s_or_b64 exec, exec, s[16:17]
	s_load_dwordx4 s[16:19], s[0:1], 0x68
	s_waitcnt lgkmcnt(0)
	s_ashr_i32 s35, s19, 31
	s_mov_b32 s34, s19
	s_or_b64 s[4:5], s[26:27], s[34:35]
	s_mov_b32 s4, 0
	s_cmp_lg_u64 s[4:5], 0
	s_cbranch_scc0 .LBB99_14
; %bb.5:
	s_add_u32 s4, s34, s35
	s_mov_b32 s6, s35
	s_mov_b32 s7, s35
	s_addc_u32 s5, s35, s35
	s_xor_b64 s[36:37], s[4:5], s[6:7]
	v_cvt_f32_u32_e32 v1, s36
	v_cvt_f32_u32_e32 v3, s37
	s_sub_u32 s3, 0, s36
	s_subb_u32 s4, 0, s37
	v_fmamk_f32 v1, v3, 0x4f800000, v1
	v_rcp_f32_e32 v1, v1
	s_nop 0
	v_mul_f32_e32 v1, 0x5f7ffffc, v1
	v_mul_f32_e32 v3, 0x2f800000, v1
	v_trunc_f32_e32 v3, v3
	v_fmamk_f32 v1, v3, 0xcf800000, v1
	v_cvt_u32_f32_e32 v3, v3
	v_cvt_u32_f32_e32 v1, v1
	v_readfirstlane_b32 s5, v3
	v_readfirstlane_b32 s19, v1
	s_mul_i32 s23, s3, s5
	s_mul_hi_u32 s38, s3, s19
	s_mul_i32 s33, s4, s19
	s_add_i32 s23, s38, s23
	s_add_i32 s23, s23, s33
	s_mul_i32 s39, s3, s19
	s_mul_hi_u32 s33, s19, s23
	s_mul_i32 s38, s19, s23
	s_mul_hi_u32 s19, s19, s39
	s_add_u32 s19, s19, s38
	s_addc_u32 s33, 0, s33
	s_mul_hi_u32 s40, s5, s39
	s_mul_i32 s39, s5, s39
	s_add_u32 s19, s19, s39
	s_mul_hi_u32 s38, s5, s23
	s_addc_u32 s19, s33, s40
	s_addc_u32 s33, s38, 0
	s_mul_i32 s23, s5, s23
	s_add_u32 s19, s19, s23
	s_addc_u32 s23, 0, s33
	v_add_co_u32_e32 v1, vcc, s19, v1
	s_cmp_lg_u64 vcc, 0
	s_addc_u32 s5, s5, s23
	v_readfirstlane_b32 s23, v1
	s_mul_i32 s19, s3, s5
	s_mul_hi_u32 s33, s3, s23
	s_add_i32 s19, s33, s19
	s_mul_i32 s4, s4, s23
	s_add_i32 s19, s19, s4
	s_mul_i32 s3, s3, s23
	s_mul_hi_u32 s33, s5, s3
	s_mul_i32 s38, s5, s3
	s_mul_i32 s40, s23, s19
	s_mul_hi_u32 s3, s23, s3
	s_mul_hi_u32 s39, s23, s19
	s_add_u32 s3, s3, s40
	s_addc_u32 s23, 0, s39
	s_add_u32 s3, s3, s38
	s_mul_hi_u32 s4, s5, s19
	s_addc_u32 s3, s23, s33
	s_addc_u32 s4, s4, 0
	s_mul_i32 s19, s5, s19
	s_add_u32 s3, s3, s19
	s_addc_u32 s4, 0, s4
	v_add_co_u32_e32 v1, vcc, s3, v1
	s_cmp_lg_u64 vcc, 0
	s_addc_u32 s3, s5, s4
	s_ashr_i32 s38, s27, 31
	s_add_u32 s4, s26, s38
	s_mov_b32 s39, s38
	s_addc_u32 s5, s27, s38
	s_xor_b64 s[40:41], s[4:5], s[38:39]
	v_readfirstlane_b32 s19, v1
	s_mul_i32 s5, s40, s3
	s_mul_hi_u32 s23, s40, s19
	s_mul_hi_u32 s4, s40, s3
	s_add_u32 s5, s23, s5
	s_addc_u32 s4, 0, s4
	s_mul_hi_u32 s33, s41, s19
	s_mul_i32 s19, s41, s19
	s_add_u32 s5, s5, s19
	s_mul_hi_u32 s23, s41, s3
	s_addc_u32 s4, s4, s33
	s_addc_u32 s5, s23, 0
	s_mul_i32 s3, s41, s3
	s_add_u32 s3, s4, s3
	s_addc_u32 s19, 0, s5
	s_mul_i32 s4, s36, s19
	s_mul_hi_u32 s5, s36, s3
	s_add_i32 s4, s5, s4
	s_mul_i32 s5, s37, s3
	s_add_i32 s23, s4, s5
	s_mul_i32 s5, s36, s3
	v_mov_b32_e32 v1, s5
	s_sub_i32 s4, s41, s23
	v_sub_co_u32_e32 v1, vcc, s40, v1
	s_cmp_lg_u64 vcc, 0
	s_subb_u32 s33, s4, s37
	v_subrev_co_u32_e64 v3, s[4:5], s36, v1
	s_cmp_lg_u64 s[4:5], 0
	s_subb_u32 s4, s33, 0
	s_cmp_ge_u32 s4, s37
	v_readfirstlane_b32 s33, v3
	s_cselect_b32 s5, -1, 0
	s_cmp_ge_u32 s33, s36
	s_cselect_b32 s33, -1, 0
	s_cmp_eq_u32 s4, s37
	s_cselect_b32 s4, s33, s5
	s_add_u32 s5, s3, 1
	s_addc_u32 s33, s19, 0
	s_add_u32 s40, s3, 2
	s_addc_u32 s42, s19, 0
	s_cmp_lg_u32 s4, 0
	s_cselect_b32 s4, s40, s5
	s_cselect_b32 s5, s42, s33
	s_cmp_lg_u64 vcc, 0
	s_subb_u32 s23, s41, s23
	s_cmp_ge_u32 s23, s37
	v_readfirstlane_b32 s40, v1
	s_cselect_b32 s33, -1, 0
	s_cmp_ge_u32 s40, s36
	s_cselect_b32 s36, -1, 0
	s_cmp_eq_u32 s23, s37
	s_cselect_b32 s23, s36, s33
	s_cmp_lg_u32 s23, 0
	s_cselect_b32 s5, s5, s19
	s_cselect_b32 s4, s4, s3
	s_xor_b64 s[6:7], s[38:39], s[6:7]
	s_xor_b64 s[4:5], s[4:5], s[6:7]
	s_sub_u32 s6, s4, s6
	s_subb_u32 s7, s5, s7
	s_cbranch_execnz .LBB99_7
.LBB99_6:
	v_cvt_f32_u32_e32 v1, s34
	s_sub_i32 s3, 0, s34
	s_mov_b32 s7, 0
	v_rcp_iflag_f32_e32 v1, v1
	s_nop 0
	v_mul_f32_e32 v1, 0x4f7ffffe, v1
	v_cvt_u32_f32_e32 v1, v1
	s_nop 0
	v_readfirstlane_b32 s4, v1
	s_mul_i32 s3, s3, s4
	s_mul_hi_u32 s3, s4, s3
	s_add_i32 s4, s4, s3
	s_mul_hi_u32 s3, s26, s4
	s_mul_i32 s5, s3, s34
	s_sub_i32 s5, s26, s5
	s_add_i32 s4, s3, 1
	s_sub_i32 s6, s5, s34
	s_cmp_ge_u32 s5, s34
	s_cselect_b32 s3, s4, s3
	s_cselect_b32 s5, s6, s5
	s_add_i32 s4, s3, 1
	s_cmp_ge_u32 s5, s34
	s_cselect_b32 s6, s4, s3
.LBB99_7:
	s_mul_i32 s3, s6, s35
	s_mul_hi_u32 s4, s6, s34
	s_load_dwordx2 s[30:31], s[0:1], 0x78
	s_add_i32 s3, s4, s3
	s_mul_i32 s4, s7, s34
	s_add_i32 s3, s3, s4
	s_mul_i32 s4, s6, s34
	s_sub_u32 s33, s26, s4
	s_subb_u32 s3, s27, s3
	v_cmp_gt_i32_e32 vcc, s22, v0
	s_mul_hi_u32 s35, s6, s16
	s_mul_i32 s36, s7, s16
	s_mul_i32 s37, s6, s16
	s_mul_hi_u32 s34, s33, s17
	s_mul_i32 s7, s3, s17
	s_mul_i32 s19, s33, s17
	s_and_saveexec_b64 s[26:27], vcc
	s_cbranch_execz .LBB99_10
; %bb.8:
	s_ashr_i32 s3, s16, 31
	s_mul_i32 s3, s6, s3
	s_load_dword s4, s[0:1], 0x8c
	s_add_i32 s3, s35, s3
	s_add_i32 s39, s3, s36
	s_ashr_i32 s3, s17, 31
	s_mul_i32 s3, s33, s3
	s_add_i32 s3, s34, s3
	s_ashr_i32 s23, s22, 31
	s_add_i32 s40, s3, s7
	s_ashr_i32 s41, s18, 31
	s_waitcnt lgkmcnt(0)
	s_and_b32 s38, s4, 0xffff
	s_lshl_b64 s[4:5], s[28:29], 1
	s_add_u32 s4, s24, s4
	v_mov_b32_e32 v3, 0
	s_addc_u32 s5, s25, s5
	s_lshl_b32 s24, s38, 1
	v_lshl_add_u64 v[4:5], s[4:5], 0, v[2:3]
	s_add_u32 s4, s37, s19
	s_addc_u32 s5, s39, s40
	v_lshl_add_u64 v[6:7], s[22:23], 1, v[4:5]
	s_add_u32 s23, s20, s18
	s_addc_u32 s25, s21, s41
	s_add_u32 s4, s23, s4
	s_addc_u32 s5, s25, s5
	v_lshl_add_u64 v[8:9], s[4:5], 0, v[2:3]
	s_mul_i32 s4, s9, s2
	s_mul_hi_u32 s5, s8, s2
	s_add_i32 s5, s5, s4
	s_mul_i32 s4, s8, s2
	s_load_dword s3, s[30:31], 0x0
	s_lshl_b64 s[4:5], s[4:5], 1
	s_add_u32 s4, s12, s4
	v_lshlrev_b32_e32 v2, 2, v0
	s_addc_u32 s5, s13, s5
	v_lshl_add_u64 v[2:3], s[4:5], 0, v[2:3]
	s_mov_b32 s29, 0
	v_lshl_add_u64 v[8:9], v[8:9], 0, 1
	v_lshl_add_u64 v[2:3], v[2:3], 0, 2
	s_lshl_b32 s28, s38, 2
	s_mov_b64 s[8:9], 0
	s_mov_b32 s23, 0x7f800000
	s_mov_b32 s25, 0x43700000
	v_mov_b32_e32 v1, 0xc3700000
	s_mov_b64 s[12:13], 0
	v_mov_b32_e32 v10, v0
.LBB99_9:                               ; =>This Inner Loop Header: Depth=1
	v_lshl_add_u64 v[12:13], v[4:5], 0, s[12:13]
	v_lshl_add_u64 v[14:15], v[6:7], 0, s[12:13]
	global_load_dword v11, v[2:3], off offset:-2
	global_load_ushort v16, v[14:15], off
	global_load_ushort v17, v[12:13], off
	v_lshl_add_u64 v[12:13], v[8:9], 0, s[12:13]
	v_add_u32_e32 v10, s38, v10
	s_add_u32 s12, s12, s24
	s_addc_u32 s13, s13, 0
	v_cmp_le_i32_e32 vcc, s22, v10
	s_or_b64 s[8:9], vcc, s[8:9]
	v_mov_b32_e32 v15, 0
	v_mov_b32_e32 v14, 0
	s_waitcnt vmcnt(1)
	v_mul_f16_sdwa v18, v16, v11 dst_sel:DWORD dst_unused:UNUSED_PAD src0_sel:DWORD src1_sel:WORD_1
	s_waitcnt vmcnt(0)
	v_mul_f16_sdwa v19, v17, v11 dst_sel:DWORD dst_unused:UNUSED_PAD src0_sel:DWORD src1_sel:WORD_1
	v_fma_f16 v17, v17, v11, -v18
	v_fma_f16 v11, v16, v11, v19
	v_pack_b32_f16 v16, v17, v11
	v_lshlrev_b32_e32 v17, 16, v17
	v_lshlrev_b32_e32 v11, 16, v11
	s_waitcnt lgkmcnt(0)
	v_div_scale_f32 v18, s[4:5], s3, s3, v17
	v_div_scale_f32 v20, s[4:5], s3, s3, v11
	v_rcp_f32_e32 v22, v18
	v_rcp_f32_e32 v23, v20
	v_div_scale_f32 v19, vcc, v17, s3, v17
	v_fma_f32 v24, -v18, v22, 1.0
	v_fma_f32 v25, -v20, v23, 1.0
	v_fmac_f32_e32 v22, v24, v22
	v_div_scale_f32 v21, s[4:5], v11, s3, v11
	v_fmac_f32_e32 v23, v25, v23
	v_mul_f32_e32 v24, v19, v22
	v_mul_f32_e32 v25, v21, v23
	v_fma_f32 v26, -v18, v24, v19
	v_fma_f32 v27, -v20, v25, v21
	v_fmac_f32_e32 v24, v26, v22
	v_fmac_f32_e32 v25, v27, v23
	v_fma_f32 v18, -v18, v24, v19
	v_fma_f32 v19, -v20, v25, v21
	v_div_fmas_f32 v18, v18, v22, v24
	s_mov_b64 vcc, s[4:5]
	v_div_fixup_f32 v17, v18, s3, v17
	v_div_fmas_f32 v18, v19, v23, v25
	v_med3_f32 v19, v17, s25, v1
	v_div_fixup_f32 v11, v18, s3, v11
	v_cmp_nlg_f32_e64 vcc, |v17|, s23
	v_med3_f32 v18, v11, s25, v1
	global_store_dword v[2:3], v16, off offset:-2
	v_cndmask_b32_e32 v17, v19, v17, vcc
	v_cmp_nlg_f32_e64 vcc, |v11|, s23
	v_cvt_pk_fp8_f32 v14, v17, v17
	v_lshl_add_u64 v[2:3], v[2:3], 0, s[28:29]
	v_cndmask_b32_e32 v11, v18, v11, vcc
	v_cvt_pk_fp8_f32 v15, v11, v11
	v_lshlrev_b16_e32 v11, 8, v15
	v_or_b32_sdwa v11, v14, v11 dst_sel:DWORD dst_unused:UNUSED_PAD src0_sel:BYTE_0 src1_sel:DWORD
	global_store_short v[12:13], v11, off offset:-1
	s_andn2_b64 exec, exec, s[8:9]
	s_cbranch_execnz .LBB99_9
.LBB99_10:
	s_or_b64 exec, exec, s[26:27]
	v_cmp_gt_i32_e32 vcc, s18, v0
	s_and_saveexec_b64 s[4:5], vcc
	s_cbranch_execz .LBB99_13
; %bb.11:
	s_mul_i32 s3, s2, s11
	s_mul_hi_u32 s4, s2, s10
	s_add_i32 s3, s4, s3
	s_mul_i32 s2, s2, s10
	s_lshl_b64 s[2:3], s[2:3], 1
	s_add_u32 s2, s14, s2
	s_addc_u32 s3, s15, s3
	s_ashr_i32 s4, s16, 31
	s_mul_i32 s4, s6, s4
	s_add_i32 s4, s35, s4
	s_add_i32 s4, s4, s36
	s_add_u32 s5, s20, s37
	s_addc_u32 s4, s21, s4
	s_ashr_i32 s6, s17, 31
	s_mul_i32 s33, s33, s6
	s_add_i32 s6, s34, s33
	s_add_i32 s6, s6, s7
	s_load_dword s8, s[0:1], 0x8c
	s_add_u32 s0, s5, s19
	s_addc_u32 s1, s4, s6
	s_waitcnt lgkmcnt(0)
	s_load_dword s6, s[30:31], 0x0
	s_mov_b64 s[4:5], 0
	s_and_b32 s7, s8, 0xffff
	s_mov_b32 s8, 0x7f800000
	s_mov_b32 s9, 0x43700000
	v_mov_b32_e32 v2, 0xc3700000
.LBB99_12:                              ; =>This Inner Loop Header: Depth=1
	v_ashrrev_i32_e32 v1, 31, v0
	v_lshl_add_u64 v[4:5], v[0:1], 1, s[2:3]
	global_load_ushort v3, v[4:5], off
	v_mov_b32_e32 v6, 0
	s_waitcnt vmcnt(0)
	v_lshlrev_b32_e32 v3, 16, v3
	s_waitcnt lgkmcnt(0)
	v_div_scale_f32 v4, s[10:11], s6, s6, v3
	v_rcp_f32_e32 v5, v4
	v_div_scale_f32 v7, vcc, v3, s6, v3
	v_fma_f32 v8, -v4, v5, 1.0
	v_fmac_f32_e32 v5, v8, v5
	v_mul_f32_e32 v8, v7, v5
	v_fma_f32 v9, -v4, v8, v7
	v_fmac_f32_e32 v8, v9, v5
	v_fma_f32 v4, -v4, v8, v7
	v_div_fmas_f32 v4, v4, v5, v8
	v_div_fixup_f32 v3, v4, s6, v3
	v_med3_f32 v4, v3, s9, v2
	v_cmp_nlg_f32_e64 vcc, |v3|, s8
	s_nop 1
	v_cndmask_b32_e32 v3, v4, v3, vcc
	v_cvt_pk_fp8_f32 v6, v3, v3
	v_lshl_add_u64 v[4:5], s[0:1], 0, v[0:1]
	v_add_u32_e32 v0, s7, v0
	v_cmp_le_i32_e32 vcc, s18, v0
	s_or_b64 s[4:5], vcc, s[4:5]
	global_store_byte v[4:5], v6, off
	s_andn2_b64 exec, exec, s[4:5]
	s_cbranch_execnz .LBB99_12
.LBB99_13:
	s_endpgm
.LBB99_14:
                                        ; implicit-def: $sgpr6_sgpr7
	s_branch .LBB99_6
	.section	.rodata,"a",@progbits
	.p2align	6, 0x0
	.amdhsa_kernel _ZN4vllm38concat_and_cache_mla_rope_fused_kernelIN3c104HalfES2_Lb0E14__hip_bfloat16hLNS_18Fp8KVCacheDataTypeE1EEEvPKlPT_S8_PKS7_PKT0_illlliPT3_S6_iiiiPKf
		.amdhsa_group_segment_fixed_size 0
		.amdhsa_private_segment_fixed_size 0
		.amdhsa_kernarg_size 384
		.amdhsa_user_sgpr_count 2
		.amdhsa_user_sgpr_dispatch_ptr 0
		.amdhsa_user_sgpr_queue_ptr 0
		.amdhsa_user_sgpr_kernarg_segment_ptr 1
		.amdhsa_user_sgpr_dispatch_id 0
		.amdhsa_user_sgpr_kernarg_preload_length 0
		.amdhsa_user_sgpr_kernarg_preload_offset 0
		.amdhsa_user_sgpr_private_segment_size 0
		.amdhsa_uses_dynamic_stack 0
		.amdhsa_enable_private_segment 0
		.amdhsa_system_sgpr_workgroup_id_x 1
		.amdhsa_system_sgpr_workgroup_id_y 0
		.amdhsa_system_sgpr_workgroup_id_z 0
		.amdhsa_system_sgpr_workgroup_info 0
		.amdhsa_system_vgpr_workitem_id 0
		.amdhsa_next_free_vgpr 28
		.amdhsa_next_free_sgpr 43
		.amdhsa_accum_offset 28
		.amdhsa_reserve_vcc 1
		.amdhsa_float_round_mode_32 0
		.amdhsa_float_round_mode_16_64 0
		.amdhsa_float_denorm_mode_32 3
		.amdhsa_float_denorm_mode_16_64 3
		.amdhsa_dx10_clamp 1
		.amdhsa_ieee_mode 1
		.amdhsa_fp16_overflow 0
		.amdhsa_tg_split 0
		.amdhsa_exception_fp_ieee_invalid_op 0
		.amdhsa_exception_fp_denorm_src 0
		.amdhsa_exception_fp_ieee_div_zero 0
		.amdhsa_exception_fp_ieee_overflow 0
		.amdhsa_exception_fp_ieee_underflow 0
		.amdhsa_exception_fp_ieee_inexact 0
		.amdhsa_exception_int_div_zero 0
	.end_amdhsa_kernel
	.section	.text._ZN4vllm38concat_and_cache_mla_rope_fused_kernelIN3c104HalfES2_Lb0E14__hip_bfloat16hLNS_18Fp8KVCacheDataTypeE1EEEvPKlPT_S8_PKS7_PKT0_illlliPT3_S6_iiiiPKf,"axG",@progbits,_ZN4vllm38concat_and_cache_mla_rope_fused_kernelIN3c104HalfES2_Lb0E14__hip_bfloat16hLNS_18Fp8KVCacheDataTypeE1EEEvPKlPT_S8_PKS7_PKT0_illlliPT3_S6_iiiiPKf,comdat
.Lfunc_end99:
	.size	_ZN4vllm38concat_and_cache_mla_rope_fused_kernelIN3c104HalfES2_Lb0E14__hip_bfloat16hLNS_18Fp8KVCacheDataTypeE1EEEvPKlPT_S8_PKS7_PKT0_illlliPT3_S6_iiiiPKf, .Lfunc_end99-_ZN4vllm38concat_and_cache_mla_rope_fused_kernelIN3c104HalfES2_Lb0E14__hip_bfloat16hLNS_18Fp8KVCacheDataTypeE1EEEvPKlPT_S8_PKS7_PKT0_illlliPT3_S6_iiiiPKf
                                        ; -- End function
	.section	.AMDGPU.csdata,"",@progbits
; Kernel info:
; codeLenInByte = 2328
; NumSgprs: 49
; NumVgprs: 28
; NumAgprs: 0
; TotalNumVgprs: 28
; ScratchSize: 0
; MemoryBound: 0
; FloatMode: 240
; IeeeMode: 1
; LDSByteSize: 0 bytes/workgroup (compile time only)
; SGPRBlocks: 6
; VGPRBlocks: 3
; NumSGPRsForWavesPerEU: 49
; NumVGPRsForWavesPerEU: 28
; AccumOffset: 28
; Occupancy: 8
; WaveLimiterHint : 1
; COMPUTE_PGM_RSRC2:SCRATCH_EN: 0
; COMPUTE_PGM_RSRC2:USER_SGPR: 2
; COMPUTE_PGM_RSRC2:TRAP_HANDLER: 0
; COMPUTE_PGM_RSRC2:TGID_X_EN: 1
; COMPUTE_PGM_RSRC2:TGID_Y_EN: 0
; COMPUTE_PGM_RSRC2:TGID_Z_EN: 0
; COMPUTE_PGM_RSRC2:TIDIG_COMP_CNT: 0
; COMPUTE_PGM_RSRC3_GFX90A:ACCUM_OFFSET: 6
; COMPUTE_PGM_RSRC3_GFX90A:TG_SPLIT: 0
	.section	.text._ZN4vllm38concat_and_cache_mla_rope_fused_kernelIN3c104HalfENS1_8BFloat16ELb1E14__hip_bfloat16hLNS_18Fp8KVCacheDataTypeE1EEEvPKlPT_S9_PKS8_PKT0_illlliPT3_S7_iiiiPKf,"axG",@progbits,_ZN4vllm38concat_and_cache_mla_rope_fused_kernelIN3c104HalfENS1_8BFloat16ELb1E14__hip_bfloat16hLNS_18Fp8KVCacheDataTypeE1EEEvPKlPT_S9_PKS8_PKT0_illlliPT3_S7_iiiiPKf,comdat
	.protected	_ZN4vllm38concat_and_cache_mla_rope_fused_kernelIN3c104HalfENS1_8BFloat16ELb1E14__hip_bfloat16hLNS_18Fp8KVCacheDataTypeE1EEEvPKlPT_S9_PKS8_PKT0_illlliPT3_S7_iiiiPKf ; -- Begin function _ZN4vllm38concat_and_cache_mla_rope_fused_kernelIN3c104HalfENS1_8BFloat16ELb1E14__hip_bfloat16hLNS_18Fp8KVCacheDataTypeE1EEEvPKlPT_S9_PKS8_PKT0_illlliPT3_S7_iiiiPKf
	.globl	_ZN4vllm38concat_and_cache_mla_rope_fused_kernelIN3c104HalfENS1_8BFloat16ELb1E14__hip_bfloat16hLNS_18Fp8KVCacheDataTypeE1EEEvPKlPT_S9_PKS8_PKT0_illlliPT3_S7_iiiiPKf
	.p2align	8
	.type	_ZN4vllm38concat_and_cache_mla_rope_fused_kernelIN3c104HalfENS1_8BFloat16ELb1E14__hip_bfloat16hLNS_18Fp8KVCacheDataTypeE1EEEvPKlPT_S9_PKS8_PKT0_illlliPT3_S7_iiiiPKf,@function
_ZN4vllm38concat_and_cache_mla_rope_fused_kernelIN3c104HalfENS1_8BFloat16ELb1E14__hip_bfloat16hLNS_18Fp8KVCacheDataTypeE1EEEvPKlPT_S9_PKS8_PKT0_illlliPT3_S7_iiiiPKf: ; @_ZN4vllm38concat_and_cache_mla_rope_fused_kernelIN3c104HalfENS1_8BFloat16ELb1E14__hip_bfloat16hLNS_18Fp8KVCacheDataTypeE1EEEvPKlPT_S9_PKS8_PKT0_illlliPT3_S7_iiiiPKf
; %bb.0:
	s_load_dwordx2 s[6:7], s[0:1], 0x60
	s_mov_b32 s3, 0
	s_lshl_b64 s[4:5], s[2:3], 3
	s_waitcnt lgkmcnt(0)
	s_add_u32 s6, s6, s4
	s_addc_u32 s7, s7, s5
	s_load_dwordx2 s[30:31], s[6:7], 0x0
	s_waitcnt lgkmcnt(0)
	v_cmp_lt_i64_e64 s[6:7], s[30:31], 0
	s_and_b64 vcc, exec, s[6:7]
	s_cbranch_vccnz .LBB100_13
; %bb.1:
	s_load_dword s3, s[0:1], 0x28
	s_load_dwordx2 s[6:7], s[0:1], 0x0
	s_load_dwordx4 s[12:15], s[0:1], 0x10
	s_waitcnt lgkmcnt(0)
	s_ashr_i32 s22, s3, 31
	s_add_u32 s16, s6, s4
	s_addc_u32 s17, s7, s5
	s_load_dwordx2 s[18:19], s[16:17], 0x0
	s_load_dwordx2 s[26:27], s[0:1], 0x20
	s_load_dwordx8 s[4:11], s[0:1], 0x30
	s_load_dwordx2 s[20:21], s[0:1], 0x58
	s_load_dword s25, s[0:1], 0x50
	s_waitcnt lgkmcnt(0)
	s_mul_i32 s16, s18, s22
	s_mul_hi_u32 s17, s18, s3
	s_mul_i32 s19, s19, s3
	s_add_i32 s16, s17, s16
	s_add_i32 s17, s16, s19
	s_mul_i32 s16, s18, s3
	s_lshl_b64 s[28:29], s[16:17], 1
	s_add_u32 s22, s26, s28
	s_addc_u32 s23, s27, s29
	s_lshr_b32 s16, s3, 31
	s_add_i32 s3, s3, s16
	s_ashr_i32 s24, s3, 1
	s_mul_i32 s3, s24, s25
	v_cmp_gt_i32_e32 vcc, s3, v0
	s_and_saveexec_b64 s[16:17], vcc
	s_cbranch_execz .LBB100_4
; %bb.2:
	s_load_dwordx2 s[18:19], s[0:1], 0x8
	s_load_dword s34, s[0:1], 0x8c
	s_mul_i32 s5, s2, s5
	s_mul_hi_u32 s33, s2, s4
	s_add_i32 s5, s33, s5
	s_mul_i32 s4, s2, s4
	s_ashr_i32 s25, s24, 31
	s_lshl_b64 s[4:5], s[4:5], 1
	s_waitcnt lgkmcnt(0)
	s_add_u32 s4, s18, s4
	s_addc_u32 s5, s19, s5
	s_abs_i32 s33, s24
	v_cvt_f32_u32_e32 v1, s33
	s_sub_i32 s38, 0, s33
	s_mov_b64 s[18:19], 0
	s_and_b32 s36, s34, 0xffff
	v_rcp_iflag_f32_e32 v1, v1
	s_sub_i32 s37, 0, s24
	s_lshl_b64 s[34:35], s[24:25], 1
	v_mul_f32_e32 v1, 0x4f7ffffe, v1
	v_cvt_u32_f32_e32 v1, v1
	v_mul_lo_u32 v2, s38, v1
	v_mul_hi_u32 v2, v1, v2
	v_add_u32_e32 v1, v1, v2
	v_mov_b32_e32 v2, v0
.LBB100_3:                              ; =>This Inner Loop Header: Depth=1
	v_sub_u32_e32 v4, 0, v2
	v_max_i32_e32 v4, v2, v4
	v_mul_hi_u32 v5, v4, v1
	v_mul_lo_u32 v6, v5, s33
	v_sub_u32_e32 v4, v4, v6
	v_add_u32_e32 v7, 1, v5
	v_cmp_le_u32_e32 vcc, s33, v4
	v_subrev_u32_e32 v6, s33, v4
	v_ashrrev_i32_e32 v3, 31, v2
	v_cndmask_b32_e32 v5, v5, v7, vcc
	v_cndmask_b32_e32 v4, v4, v6, vcc
	v_add_u32_e32 v6, 1, v5
	v_cmp_le_u32_e32 vcc, s33, v4
	v_xor_b32_e32 v3, s25, v3
	s_nop 0
	v_cndmask_b32_e32 v4, v5, v6, vcc
	v_xor_b32_e32 v4, v4, v3
	v_sub_u32_e32 v3, v4, v3
	v_mad_u64_u32 v[4:5], s[38:39], s37, v3, v[2:3]
	v_ashrrev_i32_e32 v8, 31, v3
	v_ashrrev_i32_e32 v5, 31, v4
	v_mul_lo_u32 v9, v3, s7
	v_mad_u64_u32 v[6:7], s[38:39], v3, s6, 0
	v_mul_lo_u32 v3, v8, s6
	v_lshlrev_b64 v[4:5], 1, v[4:5]
	v_add3_u32 v7, v7, v9, v3
	v_lshl_add_u64 v[8:9], s[22:23], 0, v[4:5]
	v_lshl_add_u64 v[10:11], v[8:9], 0, s[34:35]
	global_load_ushort v3, v[8:9], off
	v_lshl_add_u64 v[6:7], v[6:7], 1, s[4:5]
	global_load_ushort v8, v[10:11], off
	v_lshl_add_u64 v[4:5], v[6:7], 0, v[4:5]
	v_lshl_add_u64 v[6:7], v[4:5], 0, s[34:35]
	global_load_ushort v9, v[4:5], off
	global_load_ushort v10, v[6:7], off
	v_add_u32_e32 v2, s36, v2
	v_cmp_le_i32_e32 vcc, s3, v2
	s_or_b64 s[18:19], vcc, s[18:19]
	s_waitcnt vmcnt(3)
	v_lshlrev_b32_e32 v3, 16, v3
	v_cvt_f16_f32_e32 v3, v3
	s_waitcnt vmcnt(2)
	v_lshlrev_b32_e32 v8, 16, v8
	v_cvt_f16_f32_e32 v8, v8
	s_waitcnt vmcnt(0)
	v_mul_f16_e32 v11, v10, v8
	v_mul_f16_e32 v8, v9, v8
	v_fma_f16 v9, v9, v3, -v11
	v_fma_f16 v3, v10, v3, v8
	global_store_short v[4:5], v9, off
	global_store_short v[6:7], v3, off
	s_andn2_b64 exec, exec, s[18:19]
	s_cbranch_execnz .LBB100_3
.LBB100_4:
	s_or_b64 exec, exec, s[16:17]
	s_load_dwordx4 s[16:19], s[0:1], 0x68
	s_waitcnt lgkmcnt(0)
	s_ashr_i32 s37, s19, 31
	s_mov_b32 s36, s19
	s_or_b64 s[4:5], s[30:31], s[36:37]
	s_mov_b32 s4, 0
	s_cmp_lg_u64 s[4:5], 0
	s_cbranch_scc0 .LBB100_14
; %bb.5:
	s_add_u32 s4, s36, s37
	s_mov_b32 s6, s37
	s_mov_b32 s7, s37
	s_addc_u32 s5, s37, s37
	s_xor_b64 s[38:39], s[4:5], s[6:7]
	v_cvt_f32_u32_e32 v1, s38
	v_cvt_f32_u32_e32 v2, s39
	s_sub_u32 s3, 0, s38
	s_subb_u32 s4, 0, s39
	v_fmamk_f32 v1, v2, 0x4f800000, v1
	v_rcp_f32_e32 v1, v1
	s_nop 0
	v_mul_f32_e32 v1, 0x5f7ffffc, v1
	v_mul_f32_e32 v2, 0x2f800000, v1
	v_trunc_f32_e32 v2, v2
	v_fmamk_f32 v1, v2, 0xcf800000, v1
	v_cvt_u32_f32_e32 v2, v2
	v_cvt_u32_f32_e32 v1, v1
	v_readfirstlane_b32 s5, v2
	v_readfirstlane_b32 s19, v1
	s_mul_i32 s25, s3, s5
	s_mul_hi_u32 s40, s3, s19
	s_mul_i32 s33, s4, s19
	s_add_i32 s25, s40, s25
	s_add_i32 s25, s25, s33
	s_mul_i32 s41, s3, s19
	s_mul_hi_u32 s33, s19, s25
	s_mul_i32 s40, s19, s25
	s_mul_hi_u32 s19, s19, s41
	s_add_u32 s19, s19, s40
	s_addc_u32 s33, 0, s33
	s_mul_hi_u32 s42, s5, s41
	s_mul_i32 s41, s5, s41
	s_add_u32 s19, s19, s41
	s_mul_hi_u32 s40, s5, s25
	s_addc_u32 s19, s33, s42
	s_addc_u32 s33, s40, 0
	s_mul_i32 s25, s5, s25
	s_add_u32 s19, s19, s25
	s_addc_u32 s25, 0, s33
	v_add_co_u32_e32 v1, vcc, s19, v1
	s_cmp_lg_u64 vcc, 0
	s_addc_u32 s5, s5, s25
	v_readfirstlane_b32 s25, v1
	s_mul_i32 s19, s3, s5
	s_mul_hi_u32 s33, s3, s25
	s_add_i32 s19, s33, s19
	s_mul_i32 s4, s4, s25
	s_add_i32 s19, s19, s4
	s_mul_i32 s3, s3, s25
	s_mul_hi_u32 s33, s5, s3
	s_mul_i32 s40, s5, s3
	s_mul_i32 s42, s25, s19
	s_mul_hi_u32 s3, s25, s3
	s_mul_hi_u32 s41, s25, s19
	s_add_u32 s3, s3, s42
	s_addc_u32 s25, 0, s41
	s_add_u32 s3, s3, s40
	s_mul_hi_u32 s4, s5, s19
	s_addc_u32 s3, s25, s33
	s_addc_u32 s4, s4, 0
	s_mul_i32 s19, s5, s19
	s_add_u32 s3, s3, s19
	s_addc_u32 s4, 0, s4
	v_add_co_u32_e32 v1, vcc, s3, v1
	s_cmp_lg_u64 vcc, 0
	s_addc_u32 s3, s5, s4
	s_ashr_i32 s40, s31, 31
	s_add_u32 s4, s30, s40
	s_mov_b32 s41, s40
	s_addc_u32 s5, s31, s40
	s_xor_b64 s[42:43], s[4:5], s[40:41]
	v_readfirstlane_b32 s19, v1
	s_mul_i32 s5, s42, s3
	s_mul_hi_u32 s25, s42, s19
	s_mul_hi_u32 s4, s42, s3
	s_add_u32 s5, s25, s5
	s_addc_u32 s4, 0, s4
	s_mul_hi_u32 s33, s43, s19
	s_mul_i32 s19, s43, s19
	s_add_u32 s5, s5, s19
	s_mul_hi_u32 s25, s43, s3
	s_addc_u32 s4, s4, s33
	s_addc_u32 s5, s25, 0
	s_mul_i32 s3, s43, s3
	s_add_u32 s3, s4, s3
	s_addc_u32 s19, 0, s5
	s_mul_i32 s4, s38, s19
	s_mul_hi_u32 s5, s38, s3
	s_add_i32 s4, s5, s4
	s_mul_i32 s5, s39, s3
	s_add_i32 s25, s4, s5
	s_mul_i32 s5, s38, s3
	v_mov_b32_e32 v1, s5
	s_sub_i32 s4, s43, s25
	v_sub_co_u32_e32 v1, vcc, s42, v1
	s_cmp_lg_u64 vcc, 0
	s_subb_u32 s33, s4, s39
	v_subrev_co_u32_e64 v2, s[4:5], s38, v1
	s_cmp_lg_u64 s[4:5], 0
	s_subb_u32 s4, s33, 0
	s_cmp_ge_u32 s4, s39
	v_readfirstlane_b32 s33, v2
	s_cselect_b32 s5, -1, 0
	s_cmp_ge_u32 s33, s38
	s_cselect_b32 s33, -1, 0
	s_cmp_eq_u32 s4, s39
	s_cselect_b32 s4, s33, s5
	s_add_u32 s5, s3, 1
	s_addc_u32 s33, s19, 0
	s_add_u32 s42, s3, 2
	s_addc_u32 s44, s19, 0
	s_cmp_lg_u32 s4, 0
	s_cselect_b32 s4, s42, s5
	s_cselect_b32 s5, s44, s33
	s_cmp_lg_u64 vcc, 0
	s_subb_u32 s25, s43, s25
	s_cmp_ge_u32 s25, s39
	v_readfirstlane_b32 s42, v1
	s_cselect_b32 s33, -1, 0
	s_cmp_ge_u32 s42, s38
	s_cselect_b32 s38, -1, 0
	s_cmp_eq_u32 s25, s39
	s_cselect_b32 s25, s38, s33
	s_cmp_lg_u32 s25, 0
	s_cselect_b32 s5, s5, s19
	s_cselect_b32 s4, s4, s3
	s_xor_b64 s[6:7], s[40:41], s[6:7]
	s_xor_b64 s[4:5], s[4:5], s[6:7]
	s_sub_u32 s6, s4, s6
	s_subb_u32 s7, s5, s7
	s_cbranch_execnz .LBB100_7
.LBB100_6:
	v_cvt_f32_u32_e32 v1, s36
	s_sub_i32 s3, 0, s36
	s_mov_b32 s7, 0
	v_rcp_iflag_f32_e32 v1, v1
	s_nop 0
	v_mul_f32_e32 v1, 0x4f7ffffe, v1
	v_cvt_u32_f32_e32 v1, v1
	s_nop 0
	v_readfirstlane_b32 s4, v1
	s_mul_i32 s3, s3, s4
	s_mul_hi_u32 s3, s4, s3
	s_add_i32 s4, s4, s3
	s_mul_hi_u32 s3, s30, s4
	s_mul_i32 s5, s3, s36
	s_sub_i32 s5, s30, s5
	s_add_i32 s4, s3, 1
	s_sub_i32 s6, s5, s36
	s_cmp_ge_u32 s5, s36
	s_cselect_b32 s3, s4, s3
	s_cselect_b32 s5, s6, s5
	s_add_i32 s4, s3, 1
	s_cmp_ge_u32 s5, s36
	s_cselect_b32 s6, s4, s3
.LBB100_7:
	s_mul_i32 s3, s6, s37
	s_mul_hi_u32 s4, s6, s36
	s_load_dwordx2 s[34:35], s[0:1], 0x78
	s_add_i32 s3, s4, s3
	s_mul_i32 s4, s7, s36
	s_add_i32 s3, s3, s4
	s_mul_i32 s4, s6, s36
	s_sub_u32 s33, s30, s4
	s_subb_u32 s3, s31, s3
	v_cmp_gt_i32_e32 vcc, s24, v0
	s_mul_hi_u32 s39, s6, s16
	s_mul_i32 s40, s7, s16
	s_mul_i32 s41, s6, s16
	s_mul_hi_u32 s38, s33, s17
	s_mul_i32 s7, s3, s17
	s_mul_i32 s19, s33, s17
	s_and_saveexec_b64 s[30:31], vcc
	s_cbranch_execz .LBB100_10
; %bb.8:
	s_mul_i32 s3, s2, s9
	s_mul_hi_u32 s4, s2, s8
	s_add_i32 s5, s4, s3
	s_mul_i32 s4, s2, s8
	s_ashr_i32 s25, s24, 31
	s_lshl_b64 s[4:5], s[4:5], 1
	s_add_u32 s8, s12, s4
	s_addc_u32 s9, s13, s5
	s_ashr_i32 s3, s16, 31
	s_load_dword s36, s[0:1], 0x8c
	s_mul_i32 s3, s6, s3
	s_add_i32 s3, s39, s3
	s_add_i32 s43, s3, s40
	s_ashr_i32 s3, s17, 31
	s_mul_i32 s3, s33, s3
	s_add_i32 s3, s38, s3
	s_waitcnt lgkmcnt(0)
	s_and_b32 s36, s36, 0xffff
	s_add_i32 s46, s3, s7
	s_ashr_i32 s47, s18, 31
	s_lshl_b32 s42, s36, 1
	s_lshl_b64 s[44:45], s[24:25], 1
	s_add_u32 s28, s28, s44
	s_addc_u32 s29, s29, s45
	s_add_u32 s26, s26, s28
	s_addc_u32 s27, s27, s29
	;; [unrolled: 2-line block ×5, first 2 shown]
	s_load_dword s3, s[34:35], 0x0
	s_add_u32 s4, s4, s18
	s_addc_u32 s5, s5, s47
	s_add_u32 s4, s20, s4
	v_mov_b32_e32 v1, 0
	s_addc_u32 s5, s21, s5
	s_mov_b32 s37, 0
	v_lshlrev_b32_e32 v2, 1, v0
	v_mov_b32_e32 v3, v1
	v_lshl_add_u64 v[4:5], s[4:5], 0, v[0:1]
	s_mov_b64 s[28:29], 0
	s_mov_b32 s43, 0x7f800000
	s_mov_b32 s44, 0x43700000
	v_mov_b32_e32 v1, 0xc3700000
	v_mov_b32_e32 v6, v0
.LBB100_9:                              ; =>This Inner Loop Header: Depth=1
	v_lshl_add_u64 v[8:9], s[22:23], 0, v[2:3]
	v_lshl_add_u64 v[10:11], s[26:27], 0, v[2:3]
	;; [unrolled: 1-line block ×4, first 2 shown]
	global_load_ushort v7, v[8:9], off
	global_load_ushort v16, v[10:11], off
	;; [unrolled: 1-line block ×4, first 2 shown]
	s_add_u32 s22, s22, s42
	s_addc_u32 s23, s23, 0
	s_add_u32 s26, s26, s42
	s_addc_u32 s27, s27, 0
	;; [unrolled: 2-line block ×3, first 2 shown]
	v_add_u32_e32 v6, s36, v6
	s_add_u32 s8, s8, s42
	v_cmp_le_i32_e32 vcc, s24, v6
	s_addc_u32 s9, s9, 0
	s_or_b64 s[28:29], vcc, s[28:29]
	v_mov_b32_e32 v10, 0
	v_mov_b32_e32 v11, 0
	v_lshl_add_u64 v[8:9], v[4:5], 0, s[24:25]
	s_waitcnt vmcnt(3)
	v_lshlrev_b32_e32 v7, 16, v7
	s_waitcnt vmcnt(2)
	v_lshlrev_b32_e32 v16, 16, v16
	v_cvt_f16_f32_e32 v16, v16
	v_cvt_f16_f32_e32 v7, v7
	s_waitcnt vmcnt(1)
	v_mul_f16_e32 v19, v17, v16
	s_waitcnt vmcnt(0)
	v_mul_f16_e32 v16, v18, v16
	v_fma_f16 v18, v18, v7, -v19
	v_fma_f16 v7, v17, v7, v16
	global_store_short v[12:13], v18, off
	v_lshlrev_b32_e32 v12, 16, v18
	v_lshlrev_b32_e32 v13, 16, v7
	s_waitcnt lgkmcnt(0)
	v_div_scale_f32 v16, s[4:5], s3, s3, v12
	v_div_scale_f32 v18, s[4:5], s3, s3, v13
	v_rcp_f32_e32 v20, v16
	v_rcp_f32_e32 v21, v18
	v_div_scale_f32 v17, vcc, v12, s3, v12
	v_fma_f32 v22, -v16, v20, 1.0
	v_fma_f32 v23, -v18, v21, 1.0
	v_fmac_f32_e32 v20, v22, v20
	v_div_scale_f32 v19, s[4:5], v13, s3, v13
	v_fmac_f32_e32 v21, v23, v21
	v_mul_f32_e32 v22, v17, v20
	v_mul_f32_e32 v23, v19, v21
	v_fma_f32 v24, -v16, v22, v17
	v_fma_f32 v25, -v18, v23, v19
	v_fmac_f32_e32 v22, v24, v20
	v_fmac_f32_e32 v23, v25, v21
	v_fma_f32 v16, -v16, v22, v17
	v_fma_f32 v17, -v18, v23, v19
	v_div_fmas_f32 v16, v16, v20, v22
	s_mov_b64 vcc, s[4:5]
	v_div_fixup_f32 v12, v16, s3, v12
	v_div_fmas_f32 v16, v17, v21, v23
	v_med3_f32 v17, v12, s44, v1
	v_div_fixup_f32 v13, v16, s3, v13
	v_cmp_nlg_f32_e64 vcc, |v12|, s43
	v_med3_f32 v16, v13, s44, v1
	s_nop 0
	v_cndmask_b32_e32 v12, v17, v12, vcc
	v_cmp_nlg_f32_e64 vcc, |v13|, s43
	v_cvt_pk_fp8_f32 v10, v12, v12
	global_store_short v[14:15], v7, off
	global_store_byte v[4:5], v10, off
	v_cndmask_b32_e32 v12, v16, v13, vcc
	v_cvt_pk_fp8_f32 v11, v12, v12
	v_lshl_add_u64 v[4:5], v[4:5], 0, s[36:37]
	global_store_byte v[8:9], v11, off
	s_andn2_b64 exec, exec, s[28:29]
	s_cbranch_execnz .LBB100_9
.LBB100_10:
	s_or_b64 exec, exec, s[30:31]
	v_cmp_gt_i32_e32 vcc, s18, v0
	s_and_saveexec_b64 s[4:5], vcc
	s_cbranch_execz .LBB100_13
; %bb.11:
	s_mul_i32 s3, s2, s11
	s_mul_hi_u32 s4, s2, s10
	s_add_i32 s3, s4, s3
	s_mul_i32 s2, s2, s10
	s_lshl_b64 s[2:3], s[2:3], 1
	s_add_u32 s2, s14, s2
	s_addc_u32 s3, s15, s3
	s_ashr_i32 s4, s16, 31
	s_mul_i32 s4, s6, s4
	s_add_i32 s4, s39, s4
	s_add_i32 s4, s4, s40
	s_add_u32 s5, s20, s41
	s_addc_u32 s4, s21, s4
	s_ashr_i32 s6, s17, 31
	s_mul_i32 s33, s33, s6
	s_add_i32 s6, s38, s33
	s_add_i32 s6, s6, s7
	s_load_dword s8, s[0:1], 0x8c
	s_add_u32 s0, s5, s19
	s_addc_u32 s1, s4, s6
	s_waitcnt lgkmcnt(0)
	s_load_dword s6, s[34:35], 0x0
	s_mov_b64 s[4:5], 0
	s_and_b32 s7, s8, 0xffff
	s_mov_b32 s8, 0x7f800000
	s_mov_b32 s9, 0x43700000
	v_mov_b32_e32 v2, 0xc3700000
.LBB100_12:                             ; =>This Inner Loop Header: Depth=1
	v_ashrrev_i32_e32 v1, 31, v0
	v_lshl_add_u64 v[4:5], v[0:1], 1, s[2:3]
	global_load_ushort v3, v[4:5], off
	v_mov_b32_e32 v6, 0
	s_waitcnt vmcnt(0)
	v_lshlrev_b32_e32 v3, 16, v3
	s_waitcnt lgkmcnt(0)
	v_div_scale_f32 v4, s[10:11], s6, s6, v3
	v_rcp_f32_e32 v5, v4
	v_div_scale_f32 v7, vcc, v3, s6, v3
	v_fma_f32 v8, -v4, v5, 1.0
	v_fmac_f32_e32 v5, v8, v5
	v_mul_f32_e32 v8, v7, v5
	v_fma_f32 v9, -v4, v8, v7
	v_fmac_f32_e32 v8, v9, v5
	v_fma_f32 v4, -v4, v8, v7
	v_div_fmas_f32 v4, v4, v5, v8
	v_div_fixup_f32 v3, v4, s6, v3
	v_med3_f32 v4, v3, s9, v2
	v_cmp_nlg_f32_e64 vcc, |v3|, s8
	s_nop 1
	v_cndmask_b32_e32 v3, v4, v3, vcc
	v_cvt_pk_fp8_f32 v6, v3, v3
	v_lshl_add_u64 v[4:5], s[0:1], 0, v[0:1]
	v_add_u32_e32 v0, s7, v0
	v_cmp_le_i32_e32 vcc, s18, v0
	s_or_b64 s[4:5], vcc, s[4:5]
	global_store_byte v[4:5], v6, off
	s_andn2_b64 exec, exec, s[4:5]
	s_cbranch_execnz .LBB100_12
.LBB100_13:
	s_endpgm
.LBB100_14:
                                        ; implicit-def: $sgpr6_sgpr7
	s_branch .LBB100_6
	.section	.rodata,"a",@progbits
	.p2align	6, 0x0
	.amdhsa_kernel _ZN4vllm38concat_and_cache_mla_rope_fused_kernelIN3c104HalfENS1_8BFloat16ELb1E14__hip_bfloat16hLNS_18Fp8KVCacheDataTypeE1EEEvPKlPT_S9_PKS8_PKT0_illlliPT3_S7_iiiiPKf
		.amdhsa_group_segment_fixed_size 0
		.amdhsa_private_segment_fixed_size 0
		.amdhsa_kernarg_size 384
		.amdhsa_user_sgpr_count 2
		.amdhsa_user_sgpr_dispatch_ptr 0
		.amdhsa_user_sgpr_queue_ptr 0
		.amdhsa_user_sgpr_kernarg_segment_ptr 1
		.amdhsa_user_sgpr_dispatch_id 0
		.amdhsa_user_sgpr_kernarg_preload_length 0
		.amdhsa_user_sgpr_kernarg_preload_offset 0
		.amdhsa_user_sgpr_private_segment_size 0
		.amdhsa_uses_dynamic_stack 0
		.amdhsa_enable_private_segment 0
		.amdhsa_system_sgpr_workgroup_id_x 1
		.amdhsa_system_sgpr_workgroup_id_y 0
		.amdhsa_system_sgpr_workgroup_id_z 0
		.amdhsa_system_sgpr_workgroup_info 0
		.amdhsa_system_vgpr_workitem_id 0
		.amdhsa_next_free_vgpr 26
		.amdhsa_next_free_sgpr 48
		.amdhsa_accum_offset 28
		.amdhsa_reserve_vcc 1
		.amdhsa_float_round_mode_32 0
		.amdhsa_float_round_mode_16_64 0
		.amdhsa_float_denorm_mode_32 3
		.amdhsa_float_denorm_mode_16_64 3
		.amdhsa_dx10_clamp 1
		.amdhsa_ieee_mode 1
		.amdhsa_fp16_overflow 0
		.amdhsa_tg_split 0
		.amdhsa_exception_fp_ieee_invalid_op 0
		.amdhsa_exception_fp_denorm_src 0
		.amdhsa_exception_fp_ieee_div_zero 0
		.amdhsa_exception_fp_ieee_overflow 0
		.amdhsa_exception_fp_ieee_underflow 0
		.amdhsa_exception_fp_ieee_inexact 0
		.amdhsa_exception_int_div_zero 0
	.end_amdhsa_kernel
	.section	.text._ZN4vllm38concat_and_cache_mla_rope_fused_kernelIN3c104HalfENS1_8BFloat16ELb1E14__hip_bfloat16hLNS_18Fp8KVCacheDataTypeE1EEEvPKlPT_S9_PKS8_PKT0_illlliPT3_S7_iiiiPKf,"axG",@progbits,_ZN4vllm38concat_and_cache_mla_rope_fused_kernelIN3c104HalfENS1_8BFloat16ELb1E14__hip_bfloat16hLNS_18Fp8KVCacheDataTypeE1EEEvPKlPT_S9_PKS8_PKT0_illlliPT3_S7_iiiiPKf,comdat
.Lfunc_end100:
	.size	_ZN4vllm38concat_and_cache_mla_rope_fused_kernelIN3c104HalfENS1_8BFloat16ELb1E14__hip_bfloat16hLNS_18Fp8KVCacheDataTypeE1EEEvPKlPT_S9_PKS8_PKT0_illlliPT3_S7_iiiiPKf, .Lfunc_end100-_ZN4vllm38concat_and_cache_mla_rope_fused_kernelIN3c104HalfENS1_8BFloat16ELb1E14__hip_bfloat16hLNS_18Fp8KVCacheDataTypeE1EEEvPKlPT_S9_PKS8_PKT0_illlliPT3_S7_iiiiPKf
                                        ; -- End function
	.section	.AMDGPU.csdata,"",@progbits
; Kernel info:
; codeLenInByte = 2380
; NumSgprs: 54
; NumVgprs: 26
; NumAgprs: 0
; TotalNumVgprs: 26
; ScratchSize: 0
; MemoryBound: 0
; FloatMode: 240
; IeeeMode: 1
; LDSByteSize: 0 bytes/workgroup (compile time only)
; SGPRBlocks: 6
; VGPRBlocks: 3
; NumSGPRsForWavesPerEU: 54
; NumVGPRsForWavesPerEU: 26
; AccumOffset: 28
; Occupancy: 8
; WaveLimiterHint : 1
; COMPUTE_PGM_RSRC2:SCRATCH_EN: 0
; COMPUTE_PGM_RSRC2:USER_SGPR: 2
; COMPUTE_PGM_RSRC2:TRAP_HANDLER: 0
; COMPUTE_PGM_RSRC2:TGID_X_EN: 1
; COMPUTE_PGM_RSRC2:TGID_Y_EN: 0
; COMPUTE_PGM_RSRC2:TGID_Z_EN: 0
; COMPUTE_PGM_RSRC2:TIDIG_COMP_CNT: 0
; COMPUTE_PGM_RSRC3_GFX90A:ACCUM_OFFSET: 6
; COMPUTE_PGM_RSRC3_GFX90A:TG_SPLIT: 0
	.section	.text._ZN4vllm38concat_and_cache_mla_rope_fused_kernelIN3c104HalfENS1_8BFloat16ELb0E14__hip_bfloat16hLNS_18Fp8KVCacheDataTypeE1EEEvPKlPT_S9_PKS8_PKT0_illlliPT3_S7_iiiiPKf,"axG",@progbits,_ZN4vllm38concat_and_cache_mla_rope_fused_kernelIN3c104HalfENS1_8BFloat16ELb0E14__hip_bfloat16hLNS_18Fp8KVCacheDataTypeE1EEEvPKlPT_S9_PKS8_PKT0_illlliPT3_S7_iiiiPKf,comdat
	.protected	_ZN4vllm38concat_and_cache_mla_rope_fused_kernelIN3c104HalfENS1_8BFloat16ELb0E14__hip_bfloat16hLNS_18Fp8KVCacheDataTypeE1EEEvPKlPT_S9_PKS8_PKT0_illlliPT3_S7_iiiiPKf ; -- Begin function _ZN4vllm38concat_and_cache_mla_rope_fused_kernelIN3c104HalfENS1_8BFloat16ELb0E14__hip_bfloat16hLNS_18Fp8KVCacheDataTypeE1EEEvPKlPT_S9_PKS8_PKT0_illlliPT3_S7_iiiiPKf
	.globl	_ZN4vllm38concat_and_cache_mla_rope_fused_kernelIN3c104HalfENS1_8BFloat16ELb0E14__hip_bfloat16hLNS_18Fp8KVCacheDataTypeE1EEEvPKlPT_S9_PKS8_PKT0_illlliPT3_S7_iiiiPKf
	.p2align	8
	.type	_ZN4vllm38concat_and_cache_mla_rope_fused_kernelIN3c104HalfENS1_8BFloat16ELb0E14__hip_bfloat16hLNS_18Fp8KVCacheDataTypeE1EEEvPKlPT_S9_PKS8_PKT0_illlliPT3_S7_iiiiPKf,@function
_ZN4vllm38concat_and_cache_mla_rope_fused_kernelIN3c104HalfENS1_8BFloat16ELb0E14__hip_bfloat16hLNS_18Fp8KVCacheDataTypeE1EEEvPKlPT_S9_PKS8_PKT0_illlliPT3_S7_iiiiPKf: ; @_ZN4vllm38concat_and_cache_mla_rope_fused_kernelIN3c104HalfENS1_8BFloat16ELb0E14__hip_bfloat16hLNS_18Fp8KVCacheDataTypeE1EEEvPKlPT_S9_PKS8_PKT0_illlliPT3_S7_iiiiPKf
; %bb.0:
	s_load_dwordx2 s[6:7], s[0:1], 0x60
	s_mov_b32 s3, 0
	s_lshl_b64 s[4:5], s[2:3], 3
	s_waitcnt lgkmcnt(0)
	s_add_u32 s6, s6, s4
	s_addc_u32 s7, s7, s5
	s_load_dwordx2 s[26:27], s[6:7], 0x0
	s_waitcnt lgkmcnt(0)
	v_cmp_lt_i64_e64 s[6:7], s[26:27], 0
	s_and_b64 vcc, exec, s[6:7]
	s_cbranch_vccnz .LBB101_13
; %bb.1:
	s_load_dword s3, s[0:1], 0x28
	s_load_dwordx2 s[6:7], s[0:1], 0x0
	s_load_dwordx4 s[12:15], s[0:1], 0x10
	v_lshlrev_b32_e32 v2, 1, v0
	s_waitcnt lgkmcnt(0)
	s_ashr_i32 s22, s3, 31
	s_add_u32 s16, s6, s4
	s_addc_u32 s17, s7, s5
	s_load_dwordx2 s[18:19], s[16:17], 0x0
	s_load_dwordx2 s[24:25], s[0:1], 0x20
	s_load_dwordx8 s[4:11], s[0:1], 0x30
	s_load_dwordx2 s[20:21], s[0:1], 0x58
	s_load_dword s23, s[0:1], 0x50
	s_waitcnt lgkmcnt(0)
	s_mul_i32 s16, s18, s22
	s_mul_hi_u32 s17, s18, s3
	s_mul_i32 s19, s19, s3
	s_add_i32 s16, s17, s16
	s_add_i32 s29, s16, s19
	s_lshr_b32 s16, s3, 31
	s_mul_i32 s28, s18, s3
	s_add_i32 s3, s3, s16
	s_ashr_i32 s22, s3, 1
	s_mul_i32 s3, s22, s23
	v_cmp_gt_i32_e32 vcc, s3, v0
	s_and_saveexec_b64 s[16:17], vcc
	s_cbranch_execz .LBB101_4
; %bb.2:
	s_load_dwordx2 s[30:31], s[0:1], 0x8
	s_load_dword s34, s[0:1], 0x8c
	s_lshl_b64 s[18:19], s[28:29], 1
	s_add_u32 s18, s24, s18
	s_mul_i32 s5, s2, s5
	s_mul_hi_u32 s33, s2, s4
	s_addc_u32 s19, s25, s19
	s_add_i32 s5, s33, s5
	s_mul_i32 s4, s2, s4
	s_ashr_i32 s23, s22, 31
	s_lshl_b64 s[4:5], s[4:5], 1
	s_waitcnt lgkmcnt(0)
	s_add_u32 s4, s30, s4
	s_addc_u32 s5, s31, s5
	s_abs_i32 s33, s22
	v_cvt_f32_u32_e32 v1, s33
	s_sub_i32 s30, 0, s33
	s_and_b32 s34, s34, 0xffff
	s_sub_i32 s35, 0, s22
	v_rcp_iflag_f32_e32 v1, v1
	s_lshl_b32 s37, s34, 1
	v_mov_b32_e32 v4, v2
	v_mov_b32_e32 v6, v0
	v_mul_f32_e32 v1, 0x4f7ffffe, v1
	v_cvt_u32_f32_e32 v1, v1
	v_mul_lo_u32 v3, s30, v1
	v_mul_hi_u32 v3, v1, v3
	s_lshl_b32 s30, s22, 1
	v_add_u32_e32 v1, v1, v3
	s_sub_i32 s36, 0, s30
	s_mov_b64 s[30:31], 0
.LBB101_3:                              ; =>This Inner Loop Header: Depth=1
	v_sub_u32_e32 v5, 0, v6
	v_max_i32_e32 v5, v6, v5
	v_mul_hi_u32 v7, v5, v1
	v_mul_lo_u32 v8, v7, s33
	v_sub_u32_e32 v5, v5, v8
	v_add_u32_e32 v9, 1, v7
	v_cmp_le_u32_e32 vcc, s33, v5
	v_subrev_u32_e32 v8, s33, v5
	v_ashrrev_i32_e32 v3, 31, v6
	v_cndmask_b32_e32 v7, v7, v9, vcc
	v_cndmask_b32_e32 v5, v5, v8, vcc
	v_add_u32_e32 v8, 1, v7
	v_cmp_le_u32_e32 vcc, s33, v5
	v_xor_b32_e32 v3, s23, v3
	s_nop 0
	v_cndmask_b32_e32 v5, v7, v8, vcc
	v_xor_b32_e32 v5, v5, v3
	v_sub_u32_e32 v3, v5, v3
	v_mad_u64_u32 v[8:9], s[38:39], s35, v3, v[6:7]
	v_ashrrev_i32_e32 v9, 31, v8
	v_ashrrev_i32_e32 v5, 31, v3
	v_lshl_add_u64 v[8:9], v[8:9], 1, s[18:19]
	v_mul_lo_u32 v7, v3, s7
	v_mad_u64_u32 v[10:11], s[38:39], v3, s6, 0
	v_mad_u64_u32 v[12:13], s[38:39], s36, v3, v[4:5]
	v_mul_lo_u32 v3, v5, s6
	v_lshl_add_u64 v[14:15], s[22:23], 1, v[8:9]
	v_add3_u32 v11, v11, v7, v3
	global_load_ushort v3, v[8:9], off
	global_load_ushort v5, v[14:15], off
	v_ashrrev_i32_e32 v13, 31, v12
	v_lshl_add_u64 v[8:9], v[10:11], 1, s[4:5]
	v_lshl_add_u64 v[8:9], v[12:13], 1, v[8:9]
	global_load_dword v7, v[8:9], off
	v_add_u32_e32 v6, s34, v6
	v_cmp_le_i32_e32 vcc, s3, v6
	v_add_u32_e32 v4, s37, v4
	s_or_b64 s[30:31], vcc, s[30:31]
	s_waitcnt vmcnt(2)
	v_lshlrev_b32_e32 v3, 16, v3
	s_waitcnt vmcnt(1)
	v_lshlrev_b32_e32 v5, 16, v5
	v_cvt_f16_f32_e32 v5, v5
	v_cvt_f16_f32_e32 v3, v3
	s_waitcnt vmcnt(0)
	v_lshrrev_b32_e32 v10, 16, v7
	v_mul_f16_e32 v11, v10, v5
	v_mul_f16_e32 v5, v7, v5
	v_fma_f16 v7, v7, v3, -v11
	v_fma_f16 v3, v10, v3, v5
	v_pack_b32_f16 v3, v7, v3
	global_store_dword v[8:9], v3, off
	s_andn2_b64 exec, exec, s[30:31]
	s_cbranch_execnz .LBB101_3
.LBB101_4:
	s_or_b64 exec, exec, s[16:17]
	s_load_dwordx4 s[16:19], s[0:1], 0x68
	s_waitcnt lgkmcnt(0)
	s_ashr_i32 s35, s19, 31
	s_mov_b32 s34, s19
	s_or_b64 s[4:5], s[26:27], s[34:35]
	s_mov_b32 s4, 0
	s_cmp_lg_u64 s[4:5], 0
	s_cbranch_scc0 .LBB101_14
; %bb.5:
	s_add_u32 s4, s34, s35
	s_mov_b32 s6, s35
	s_mov_b32 s7, s35
	s_addc_u32 s5, s35, s35
	s_xor_b64 s[36:37], s[4:5], s[6:7]
	v_cvt_f32_u32_e32 v1, s36
	v_cvt_f32_u32_e32 v3, s37
	s_sub_u32 s3, 0, s36
	s_subb_u32 s4, 0, s37
	v_fmamk_f32 v1, v3, 0x4f800000, v1
	v_rcp_f32_e32 v1, v1
	s_nop 0
	v_mul_f32_e32 v1, 0x5f7ffffc, v1
	v_mul_f32_e32 v3, 0x2f800000, v1
	v_trunc_f32_e32 v3, v3
	v_fmamk_f32 v1, v3, 0xcf800000, v1
	v_cvt_u32_f32_e32 v3, v3
	v_cvt_u32_f32_e32 v1, v1
	v_readfirstlane_b32 s5, v3
	v_readfirstlane_b32 s19, v1
	s_mul_i32 s23, s3, s5
	s_mul_hi_u32 s38, s3, s19
	s_mul_i32 s33, s4, s19
	s_add_i32 s23, s38, s23
	s_add_i32 s23, s23, s33
	s_mul_i32 s39, s3, s19
	s_mul_hi_u32 s33, s19, s23
	s_mul_i32 s38, s19, s23
	s_mul_hi_u32 s19, s19, s39
	s_add_u32 s19, s19, s38
	s_addc_u32 s33, 0, s33
	s_mul_hi_u32 s40, s5, s39
	s_mul_i32 s39, s5, s39
	s_add_u32 s19, s19, s39
	s_mul_hi_u32 s38, s5, s23
	s_addc_u32 s19, s33, s40
	s_addc_u32 s33, s38, 0
	s_mul_i32 s23, s5, s23
	s_add_u32 s19, s19, s23
	s_addc_u32 s23, 0, s33
	v_add_co_u32_e32 v1, vcc, s19, v1
	s_cmp_lg_u64 vcc, 0
	s_addc_u32 s5, s5, s23
	v_readfirstlane_b32 s23, v1
	s_mul_i32 s19, s3, s5
	s_mul_hi_u32 s33, s3, s23
	s_add_i32 s19, s33, s19
	s_mul_i32 s4, s4, s23
	s_add_i32 s19, s19, s4
	s_mul_i32 s3, s3, s23
	s_mul_hi_u32 s33, s5, s3
	s_mul_i32 s38, s5, s3
	s_mul_i32 s40, s23, s19
	s_mul_hi_u32 s3, s23, s3
	s_mul_hi_u32 s39, s23, s19
	s_add_u32 s3, s3, s40
	s_addc_u32 s23, 0, s39
	s_add_u32 s3, s3, s38
	s_mul_hi_u32 s4, s5, s19
	s_addc_u32 s3, s23, s33
	s_addc_u32 s4, s4, 0
	s_mul_i32 s19, s5, s19
	s_add_u32 s3, s3, s19
	s_addc_u32 s4, 0, s4
	v_add_co_u32_e32 v1, vcc, s3, v1
	s_cmp_lg_u64 vcc, 0
	s_addc_u32 s3, s5, s4
	s_ashr_i32 s38, s27, 31
	s_add_u32 s4, s26, s38
	s_mov_b32 s39, s38
	s_addc_u32 s5, s27, s38
	s_xor_b64 s[40:41], s[4:5], s[38:39]
	v_readfirstlane_b32 s19, v1
	s_mul_i32 s5, s40, s3
	s_mul_hi_u32 s23, s40, s19
	s_mul_hi_u32 s4, s40, s3
	s_add_u32 s5, s23, s5
	s_addc_u32 s4, 0, s4
	s_mul_hi_u32 s33, s41, s19
	s_mul_i32 s19, s41, s19
	s_add_u32 s5, s5, s19
	s_mul_hi_u32 s23, s41, s3
	s_addc_u32 s4, s4, s33
	s_addc_u32 s5, s23, 0
	s_mul_i32 s3, s41, s3
	s_add_u32 s3, s4, s3
	s_addc_u32 s19, 0, s5
	s_mul_i32 s4, s36, s19
	s_mul_hi_u32 s5, s36, s3
	s_add_i32 s4, s5, s4
	s_mul_i32 s5, s37, s3
	s_add_i32 s23, s4, s5
	s_mul_i32 s5, s36, s3
	v_mov_b32_e32 v1, s5
	s_sub_i32 s4, s41, s23
	v_sub_co_u32_e32 v1, vcc, s40, v1
	s_cmp_lg_u64 vcc, 0
	s_subb_u32 s33, s4, s37
	v_subrev_co_u32_e64 v3, s[4:5], s36, v1
	s_cmp_lg_u64 s[4:5], 0
	s_subb_u32 s4, s33, 0
	s_cmp_ge_u32 s4, s37
	v_readfirstlane_b32 s33, v3
	s_cselect_b32 s5, -1, 0
	s_cmp_ge_u32 s33, s36
	s_cselect_b32 s33, -1, 0
	s_cmp_eq_u32 s4, s37
	s_cselect_b32 s4, s33, s5
	s_add_u32 s5, s3, 1
	s_addc_u32 s33, s19, 0
	s_add_u32 s40, s3, 2
	s_addc_u32 s42, s19, 0
	s_cmp_lg_u32 s4, 0
	s_cselect_b32 s4, s40, s5
	s_cselect_b32 s5, s42, s33
	s_cmp_lg_u64 vcc, 0
	s_subb_u32 s23, s41, s23
	s_cmp_ge_u32 s23, s37
	v_readfirstlane_b32 s40, v1
	s_cselect_b32 s33, -1, 0
	s_cmp_ge_u32 s40, s36
	s_cselect_b32 s36, -1, 0
	s_cmp_eq_u32 s23, s37
	s_cselect_b32 s23, s36, s33
	s_cmp_lg_u32 s23, 0
	s_cselect_b32 s5, s5, s19
	s_cselect_b32 s4, s4, s3
	s_xor_b64 s[6:7], s[38:39], s[6:7]
	s_xor_b64 s[4:5], s[4:5], s[6:7]
	s_sub_u32 s6, s4, s6
	s_subb_u32 s7, s5, s7
	s_cbranch_execnz .LBB101_7
.LBB101_6:
	v_cvt_f32_u32_e32 v1, s34
	s_sub_i32 s3, 0, s34
	s_mov_b32 s7, 0
	v_rcp_iflag_f32_e32 v1, v1
	s_nop 0
	v_mul_f32_e32 v1, 0x4f7ffffe, v1
	v_cvt_u32_f32_e32 v1, v1
	s_nop 0
	v_readfirstlane_b32 s4, v1
	s_mul_i32 s3, s3, s4
	s_mul_hi_u32 s3, s4, s3
	s_add_i32 s4, s4, s3
	s_mul_hi_u32 s3, s26, s4
	s_mul_i32 s5, s3, s34
	s_sub_i32 s5, s26, s5
	s_add_i32 s4, s3, 1
	s_sub_i32 s6, s5, s34
	s_cmp_ge_u32 s5, s34
	s_cselect_b32 s3, s4, s3
	s_cselect_b32 s5, s6, s5
	s_add_i32 s4, s3, 1
	s_cmp_ge_u32 s5, s34
	s_cselect_b32 s6, s4, s3
.LBB101_7:
	s_mul_i32 s3, s6, s35
	s_mul_hi_u32 s4, s6, s34
	s_load_dwordx2 s[30:31], s[0:1], 0x78
	s_add_i32 s3, s4, s3
	s_mul_i32 s4, s7, s34
	s_add_i32 s3, s3, s4
	s_mul_i32 s4, s6, s34
	s_sub_u32 s33, s26, s4
	s_subb_u32 s3, s27, s3
	v_cmp_gt_i32_e32 vcc, s22, v0
	s_mul_hi_u32 s35, s6, s16
	s_mul_i32 s36, s7, s16
	s_mul_i32 s37, s6, s16
	s_mul_hi_u32 s34, s33, s17
	s_mul_i32 s7, s3, s17
	s_mul_i32 s19, s33, s17
	s_and_saveexec_b64 s[26:27], vcc
	s_cbranch_execz .LBB101_10
; %bb.8:
	s_ashr_i32 s3, s16, 31
	s_mul_i32 s3, s6, s3
	s_load_dword s4, s[0:1], 0x8c
	s_add_i32 s3, s35, s3
	s_add_i32 s39, s3, s36
	s_ashr_i32 s3, s17, 31
	s_mul_i32 s3, s33, s3
	s_add_i32 s3, s34, s3
	s_ashr_i32 s23, s22, 31
	s_add_i32 s40, s3, s7
	s_ashr_i32 s41, s18, 31
	s_waitcnt lgkmcnt(0)
	s_and_b32 s38, s4, 0xffff
	s_lshl_b64 s[4:5], s[28:29], 1
	s_add_u32 s4, s24, s4
	v_mov_b32_e32 v3, 0
	s_addc_u32 s5, s25, s5
	s_lshl_b32 s24, s38, 1
	v_lshl_add_u64 v[4:5], s[4:5], 0, v[2:3]
	s_add_u32 s4, s37, s19
	s_addc_u32 s5, s39, s40
	v_lshl_add_u64 v[6:7], s[22:23], 1, v[4:5]
	s_add_u32 s23, s20, s18
	s_addc_u32 s25, s21, s41
	s_add_u32 s4, s23, s4
	s_addc_u32 s5, s25, s5
	v_lshl_add_u64 v[8:9], s[4:5], 0, v[2:3]
	s_mul_i32 s4, s9, s2
	s_mul_hi_u32 s5, s8, s2
	s_add_i32 s5, s5, s4
	s_mul_i32 s4, s8, s2
	s_load_dword s3, s[30:31], 0x0
	s_lshl_b64 s[4:5], s[4:5], 1
	s_add_u32 s4, s12, s4
	v_lshlrev_b32_e32 v2, 2, v0
	s_addc_u32 s5, s13, s5
	v_lshl_add_u64 v[2:3], s[4:5], 0, v[2:3]
	s_mov_b32 s29, 0
	v_lshl_add_u64 v[8:9], v[8:9], 0, 1
	v_lshl_add_u64 v[2:3], v[2:3], 0, 2
	s_lshl_b32 s28, s38, 2
	s_mov_b64 s[8:9], 0
	s_mov_b32 s23, 0x7f800000
	s_mov_b32 s25, 0x43700000
	v_mov_b32_e32 v1, 0xc3700000
	s_mov_b64 s[12:13], 0
	v_mov_b32_e32 v10, v0
.LBB101_9:                              ; =>This Inner Loop Header: Depth=1
	v_lshl_add_u64 v[12:13], v[4:5], 0, s[12:13]
	v_lshl_add_u64 v[14:15], v[6:7], 0, s[12:13]
	global_load_ushort v11, v[12:13], off
	global_load_ushort v16, v[14:15], off
	global_load_dword v17, v[2:3], off offset:-2
	v_lshl_add_u64 v[12:13], v[8:9], 0, s[12:13]
	v_add_u32_e32 v10, s38, v10
	s_add_u32 s12, s12, s24
	s_addc_u32 s13, s13, 0
	v_cmp_le_i32_e32 vcc, s22, v10
	s_or_b64 s[8:9], vcc, s[8:9]
	v_mov_b32_e32 v15, 0
	v_mov_b32_e32 v14, 0
	s_waitcnt vmcnt(2)
	v_lshlrev_b32_e32 v11, 16, v11
	s_waitcnt vmcnt(1)
	v_lshlrev_b32_e32 v16, 16, v16
	v_cvt_f16_f32_e32 v16, v16
	v_cvt_f16_f32_e32 v11, v11
	s_waitcnt vmcnt(0)
	v_lshrrev_b32_e32 v18, 16, v17
	v_mul_f16_e32 v19, v18, v16
	v_mul_f16_e32 v16, v17, v16
	v_fma_f16 v17, v17, v11, -v19
	v_fma_f16 v11, v18, v11, v16
	v_pack_b32_f16 v16, v17, v11
	v_lshlrev_b32_e32 v17, 16, v17
	v_lshlrev_b32_e32 v11, 16, v11
	s_waitcnt lgkmcnt(0)
	v_div_scale_f32 v18, s[4:5], s3, s3, v17
	v_div_scale_f32 v20, s[4:5], s3, s3, v11
	v_rcp_f32_e32 v22, v18
	v_rcp_f32_e32 v23, v20
	v_div_scale_f32 v19, vcc, v17, s3, v17
	v_fma_f32 v24, -v18, v22, 1.0
	v_fma_f32 v25, -v20, v23, 1.0
	v_fmac_f32_e32 v22, v24, v22
	v_div_scale_f32 v21, s[4:5], v11, s3, v11
	v_fmac_f32_e32 v23, v25, v23
	v_mul_f32_e32 v24, v19, v22
	v_mul_f32_e32 v25, v21, v23
	v_fma_f32 v26, -v18, v24, v19
	v_fma_f32 v27, -v20, v25, v21
	v_fmac_f32_e32 v24, v26, v22
	v_fmac_f32_e32 v25, v27, v23
	v_fma_f32 v18, -v18, v24, v19
	v_fma_f32 v19, -v20, v25, v21
	v_div_fmas_f32 v18, v18, v22, v24
	s_mov_b64 vcc, s[4:5]
	v_div_fixup_f32 v17, v18, s3, v17
	v_div_fmas_f32 v18, v19, v23, v25
	v_med3_f32 v19, v17, s25, v1
	v_div_fixup_f32 v11, v18, s3, v11
	v_cmp_nlg_f32_e64 vcc, |v17|, s23
	v_med3_f32 v18, v11, s25, v1
	global_store_dword v[2:3], v16, off offset:-2
	v_cndmask_b32_e32 v17, v19, v17, vcc
	v_cmp_nlg_f32_e64 vcc, |v11|, s23
	v_cvt_pk_fp8_f32 v14, v17, v17
	v_lshl_add_u64 v[2:3], v[2:3], 0, s[28:29]
	v_cndmask_b32_e32 v11, v18, v11, vcc
	v_cvt_pk_fp8_f32 v15, v11, v11
	v_lshlrev_b16_e32 v11, 8, v15
	v_or_b32_sdwa v11, v14, v11 dst_sel:DWORD dst_unused:UNUSED_PAD src0_sel:BYTE_0 src1_sel:DWORD
	global_store_short v[12:13], v11, off offset:-1
	s_andn2_b64 exec, exec, s[8:9]
	s_cbranch_execnz .LBB101_9
.LBB101_10:
	s_or_b64 exec, exec, s[26:27]
	v_cmp_gt_i32_e32 vcc, s18, v0
	s_and_saveexec_b64 s[4:5], vcc
	s_cbranch_execz .LBB101_13
; %bb.11:
	s_mul_i32 s3, s2, s11
	s_mul_hi_u32 s4, s2, s10
	s_add_i32 s3, s4, s3
	s_mul_i32 s2, s2, s10
	s_lshl_b64 s[2:3], s[2:3], 1
	s_add_u32 s2, s14, s2
	s_addc_u32 s3, s15, s3
	s_ashr_i32 s4, s16, 31
	s_mul_i32 s4, s6, s4
	s_add_i32 s4, s35, s4
	s_add_i32 s4, s4, s36
	s_add_u32 s5, s20, s37
	s_addc_u32 s4, s21, s4
	s_ashr_i32 s6, s17, 31
	s_mul_i32 s33, s33, s6
	s_add_i32 s6, s34, s33
	s_add_i32 s6, s6, s7
	s_load_dword s8, s[0:1], 0x8c
	s_add_u32 s0, s5, s19
	s_addc_u32 s1, s4, s6
	s_waitcnt lgkmcnt(0)
	s_load_dword s6, s[30:31], 0x0
	s_mov_b64 s[4:5], 0
	s_and_b32 s7, s8, 0xffff
	s_mov_b32 s8, 0x7f800000
	s_mov_b32 s9, 0x43700000
	v_mov_b32_e32 v2, 0xc3700000
.LBB101_12:                             ; =>This Inner Loop Header: Depth=1
	v_ashrrev_i32_e32 v1, 31, v0
	v_lshl_add_u64 v[4:5], v[0:1], 1, s[2:3]
	global_load_ushort v3, v[4:5], off
	v_mov_b32_e32 v6, 0
	s_waitcnt vmcnt(0)
	v_lshlrev_b32_e32 v3, 16, v3
	s_waitcnt lgkmcnt(0)
	v_div_scale_f32 v4, s[10:11], s6, s6, v3
	v_rcp_f32_e32 v5, v4
	v_div_scale_f32 v7, vcc, v3, s6, v3
	v_fma_f32 v8, -v4, v5, 1.0
	v_fmac_f32_e32 v5, v8, v5
	v_mul_f32_e32 v8, v7, v5
	v_fma_f32 v9, -v4, v8, v7
	v_fmac_f32_e32 v8, v9, v5
	v_fma_f32 v4, -v4, v8, v7
	v_div_fmas_f32 v4, v4, v5, v8
	v_div_fixup_f32 v3, v4, s6, v3
	v_med3_f32 v4, v3, s9, v2
	v_cmp_nlg_f32_e64 vcc, |v3|, s8
	s_nop 1
	v_cndmask_b32_e32 v3, v4, v3, vcc
	v_cvt_pk_fp8_f32 v6, v3, v3
	v_lshl_add_u64 v[4:5], s[0:1], 0, v[0:1]
	v_add_u32_e32 v0, s7, v0
	v_cmp_le_i32_e32 vcc, s18, v0
	s_or_b64 s[4:5], vcc, s[4:5]
	global_store_byte v[4:5], v6, off
	s_andn2_b64 exec, exec, s[4:5]
	s_cbranch_execnz .LBB101_12
.LBB101_13:
	s_endpgm
.LBB101_14:
                                        ; implicit-def: $sgpr6_sgpr7
	s_branch .LBB101_6
	.section	.rodata,"a",@progbits
	.p2align	6, 0x0
	.amdhsa_kernel _ZN4vllm38concat_and_cache_mla_rope_fused_kernelIN3c104HalfENS1_8BFloat16ELb0E14__hip_bfloat16hLNS_18Fp8KVCacheDataTypeE1EEEvPKlPT_S9_PKS8_PKT0_illlliPT3_S7_iiiiPKf
		.amdhsa_group_segment_fixed_size 0
		.amdhsa_private_segment_fixed_size 0
		.amdhsa_kernarg_size 384
		.amdhsa_user_sgpr_count 2
		.amdhsa_user_sgpr_dispatch_ptr 0
		.amdhsa_user_sgpr_queue_ptr 0
		.amdhsa_user_sgpr_kernarg_segment_ptr 1
		.amdhsa_user_sgpr_dispatch_id 0
		.amdhsa_user_sgpr_kernarg_preload_length 0
		.amdhsa_user_sgpr_kernarg_preload_offset 0
		.amdhsa_user_sgpr_private_segment_size 0
		.amdhsa_uses_dynamic_stack 0
		.amdhsa_enable_private_segment 0
		.amdhsa_system_sgpr_workgroup_id_x 1
		.amdhsa_system_sgpr_workgroup_id_y 0
		.amdhsa_system_sgpr_workgroup_id_z 0
		.amdhsa_system_sgpr_workgroup_info 0
		.amdhsa_system_vgpr_workitem_id 0
		.amdhsa_next_free_vgpr 28
		.amdhsa_next_free_sgpr 43
		.amdhsa_accum_offset 28
		.amdhsa_reserve_vcc 1
		.amdhsa_float_round_mode_32 0
		.amdhsa_float_round_mode_16_64 0
		.amdhsa_float_denorm_mode_32 3
		.amdhsa_float_denorm_mode_16_64 3
		.amdhsa_dx10_clamp 1
		.amdhsa_ieee_mode 1
		.amdhsa_fp16_overflow 0
		.amdhsa_tg_split 0
		.amdhsa_exception_fp_ieee_invalid_op 0
		.amdhsa_exception_fp_denorm_src 0
		.amdhsa_exception_fp_ieee_div_zero 0
		.amdhsa_exception_fp_ieee_overflow 0
		.amdhsa_exception_fp_ieee_underflow 0
		.amdhsa_exception_fp_ieee_inexact 0
		.amdhsa_exception_int_div_zero 0
	.end_amdhsa_kernel
	.section	.text._ZN4vllm38concat_and_cache_mla_rope_fused_kernelIN3c104HalfENS1_8BFloat16ELb0E14__hip_bfloat16hLNS_18Fp8KVCacheDataTypeE1EEEvPKlPT_S9_PKS8_PKT0_illlliPT3_S7_iiiiPKf,"axG",@progbits,_ZN4vllm38concat_and_cache_mla_rope_fused_kernelIN3c104HalfENS1_8BFloat16ELb0E14__hip_bfloat16hLNS_18Fp8KVCacheDataTypeE1EEEvPKlPT_S9_PKS8_PKT0_illlliPT3_S7_iiiiPKf,comdat
.Lfunc_end101:
	.size	_ZN4vllm38concat_and_cache_mla_rope_fused_kernelIN3c104HalfENS1_8BFloat16ELb0E14__hip_bfloat16hLNS_18Fp8KVCacheDataTypeE1EEEvPKlPT_S9_PKS8_PKT0_illlliPT3_S7_iiiiPKf, .Lfunc_end101-_ZN4vllm38concat_and_cache_mla_rope_fused_kernelIN3c104HalfENS1_8BFloat16ELb0E14__hip_bfloat16hLNS_18Fp8KVCacheDataTypeE1EEEvPKlPT_S9_PKS8_PKT0_illlliPT3_S7_iiiiPKf
                                        ; -- End function
	.section	.AMDGPU.csdata,"",@progbits
; Kernel info:
; codeLenInByte = 2364
; NumSgprs: 49
; NumVgprs: 28
; NumAgprs: 0
; TotalNumVgprs: 28
; ScratchSize: 0
; MemoryBound: 0
; FloatMode: 240
; IeeeMode: 1
; LDSByteSize: 0 bytes/workgroup (compile time only)
; SGPRBlocks: 6
; VGPRBlocks: 3
; NumSGPRsForWavesPerEU: 49
; NumVGPRsForWavesPerEU: 28
; AccumOffset: 28
; Occupancy: 8
; WaveLimiterHint : 1
; COMPUTE_PGM_RSRC2:SCRATCH_EN: 0
; COMPUTE_PGM_RSRC2:USER_SGPR: 2
; COMPUTE_PGM_RSRC2:TRAP_HANDLER: 0
; COMPUTE_PGM_RSRC2:TGID_X_EN: 1
; COMPUTE_PGM_RSRC2:TGID_Y_EN: 0
; COMPUTE_PGM_RSRC2:TGID_Z_EN: 0
; COMPUTE_PGM_RSRC2:TIDIG_COMP_CNT: 0
; COMPUTE_PGM_RSRC3_GFX90A:ACCUM_OFFSET: 6
; COMPUTE_PGM_RSRC3_GFX90A:TG_SPLIT: 0
	.section	.text._ZN4vllm38concat_and_cache_mla_rope_fused_kernelIN3c108BFloat16EfLb1E14__hip_bfloat16hLNS_18Fp8KVCacheDataTypeE1EEEvPKlPT_S8_PKS7_PKT0_illlliPT3_S6_iiiiPKf,"axG",@progbits,_ZN4vllm38concat_and_cache_mla_rope_fused_kernelIN3c108BFloat16EfLb1E14__hip_bfloat16hLNS_18Fp8KVCacheDataTypeE1EEEvPKlPT_S8_PKS7_PKT0_illlliPT3_S6_iiiiPKf,comdat
	.protected	_ZN4vllm38concat_and_cache_mla_rope_fused_kernelIN3c108BFloat16EfLb1E14__hip_bfloat16hLNS_18Fp8KVCacheDataTypeE1EEEvPKlPT_S8_PKS7_PKT0_illlliPT3_S6_iiiiPKf ; -- Begin function _ZN4vllm38concat_and_cache_mla_rope_fused_kernelIN3c108BFloat16EfLb1E14__hip_bfloat16hLNS_18Fp8KVCacheDataTypeE1EEEvPKlPT_S8_PKS7_PKT0_illlliPT3_S6_iiiiPKf
	.globl	_ZN4vllm38concat_and_cache_mla_rope_fused_kernelIN3c108BFloat16EfLb1E14__hip_bfloat16hLNS_18Fp8KVCacheDataTypeE1EEEvPKlPT_S8_PKS7_PKT0_illlliPT3_S6_iiiiPKf
	.p2align	8
	.type	_ZN4vllm38concat_and_cache_mla_rope_fused_kernelIN3c108BFloat16EfLb1E14__hip_bfloat16hLNS_18Fp8KVCacheDataTypeE1EEEvPKlPT_S8_PKS7_PKT0_illlliPT3_S6_iiiiPKf,@function
_ZN4vllm38concat_and_cache_mla_rope_fused_kernelIN3c108BFloat16EfLb1E14__hip_bfloat16hLNS_18Fp8KVCacheDataTypeE1EEEvPKlPT_S8_PKS7_PKT0_illlliPT3_S6_iiiiPKf: ; @_ZN4vllm38concat_and_cache_mla_rope_fused_kernelIN3c108BFloat16EfLb1E14__hip_bfloat16hLNS_18Fp8KVCacheDataTypeE1EEEvPKlPT_S8_PKS7_PKT0_illlliPT3_S6_iiiiPKf
; %bb.0:
	s_load_dwordx2 s[6:7], s[0:1], 0x60
	s_mov_b32 s3, 0
	s_lshl_b64 s[4:5], s[2:3], 3
	s_waitcnt lgkmcnt(0)
	s_add_u32 s6, s6, s4
	s_addc_u32 s7, s7, s5
	s_load_dwordx2 s[34:35], s[6:7], 0x0
	s_waitcnt lgkmcnt(0)
	v_cmp_lt_i64_e64 s[6:7], s[34:35], 0
	s_and_b64 vcc, exec, s[6:7]
	s_cbranch_vccnz .LBB102_13
; %bb.1:
	s_load_dword s3, s[0:1], 0x28
	s_load_dwordx2 s[6:7], s[0:1], 0x0
	s_load_dwordx4 s[16:19], s[0:1], 0x10
	s_waitcnt lgkmcnt(0)
	s_ashr_i32 s20, s3, 31
	s_add_u32 s4, s6, s4
	s_addc_u32 s5, s7, s5
	s_load_dwordx2 s[6:7], s[4:5], 0x0
	s_load_dwordx2 s[28:29], s[0:1], 0x20
	s_load_dwordx8 s[8:15], s[0:1], 0x30
	s_load_dwordx2 s[24:25], s[0:1], 0x58
	s_load_dword s21, s[0:1], 0x50
	s_waitcnt lgkmcnt(0)
	s_mul_i32 s4, s6, s20
	s_mul_hi_u32 s5, s6, s3
	s_mul_i32 s7, s7, s3
	s_add_i32 s4, s5, s4
	s_add_i32 s31, s4, s7
	s_lshr_b32 s4, s3, 31
	s_mul_i32 s30, s6, s3
	s_add_i32 s3, s3, s4
	s_ashr_i32 s26, s3, 1
	s_mul_i32 s3, s26, s21
	v_cmp_gt_i32_e32 vcc, s3, v0
	s_and_saveexec_b64 s[20:21], vcc
	s_cbranch_execz .LBB102_4
; %bb.2:
	s_lshl_b64 s[4:5], s[30:31], 2
	s_add_u32 s22, s28, s4
	s_addc_u32 s23, s29, s5
	s_load_dwordx2 s[4:5], s[0:1], 0x8
	s_mul_i32 s6, s2, s9
	s_mul_hi_u32 s7, s2, s8
	s_add_i32 s7, s7, s6
	s_mul_i32 s6, s2, s8
	s_load_dword s8, s[0:1], 0x8c
	s_ashr_i32 s27, s26, 31
	s_lshl_b64 s[6:7], s[6:7], 1
	s_waitcnt lgkmcnt(0)
	s_add_u32 s36, s4, s6
	s_addc_u32 s37, s5, s7
	s_abs_i32 s33, s26
	v_cvt_f32_u32_e32 v1, s33
	s_sub_i32 s4, 0, s33
	s_and_b32 s40, s8, 0xffff
	s_sub_i32 s41, 0, s26
	v_rcp_iflag_f32_e32 v1, v1
	s_mov_b64 s[38:39], 0
	s_movk_i32 s42, 0x7fff
	v_mov_b32_e32 v3, 0x7fc00000
	v_mul_f32_e32 v1, 0x4f7ffffe, v1
	v_cvt_u32_f32_e32 v1, v1
	v_mov_b32_e32 v4, 0x7fc0
	v_mul_lo_u32 v2, s4, v1
	v_mul_hi_u32 v2, v1, v2
	v_add_u32_e32 v1, v1, v2
	v_mov_b32_e32 v2, v0
.LBB102_3:                              ; =>This Inner Loop Header: Depth=1
	v_sub_u32_e32 v6, 0, v2
	v_max_i32_e32 v6, v2, v6
	v_mul_hi_u32 v7, v6, v1
	v_mul_lo_u32 v8, v7, s33
	v_sub_u32_e32 v6, v6, v8
	v_add_u32_e32 v9, 1, v7
	v_cmp_le_u32_e32 vcc, s33, v6
	v_subrev_u32_e32 v8, s33, v6
	v_ashrrev_i32_e32 v5, 31, v2
	v_cndmask_b32_e32 v7, v7, v9, vcc
	v_cndmask_b32_e32 v6, v6, v8, vcc
	v_add_u32_e32 v8, 1, v7
	v_cmp_le_u32_e32 vcc, s33, v6
	v_xor_b32_e32 v5, s27, v5
	s_nop 0
	v_cndmask_b32_e32 v6, v7, v8, vcc
	v_xor_b32_e32 v6, v6, v5
	v_sub_u32_e32 v5, v6, v5
	v_mad_u64_u32 v[6:7], s[4:5], s41, v5, v[2:3]
	v_ashrrev_i32_e32 v10, 31, v5
	v_mul_lo_u32 v12, v5, s11
	v_mad_u64_u32 v[8:9], s[4:5], v5, s10, 0
	v_ashrrev_i32_e32 v7, 31, v6
	v_mul_lo_u32 v5, v10, s10
	v_lshl_add_u64 v[10:11], v[6:7], 2, s[22:23]
	v_add3_u32 v9, v9, v12, v5
	v_lshl_add_u64 v[12:13], s[26:27], 2, v[10:11]
	v_lshl_add_u64 v[8:9], v[8:9], 1, s[36:37]
	global_load_dword v5, v[10:11], off
	global_load_dword v14, v[12:13], off
	v_lshl_add_u64 v[6:7], v[6:7], 1, v[8:9]
	v_lshl_add_u64 v[8:9], s[26:27], 1, v[6:7]
	global_load_ushort v10, v[6:7], off
	global_load_ushort v12, v[8:9], off
	v_add_u32_e32 v2, s40, v2
	v_cmp_le_i32_e32 vcc, s3, v2
	s_or_b64 s[38:39], vcc, s[38:39]
	s_waitcnt vmcnt(3)
	v_bfe_u32 v11, v5, 16, 1
	s_waitcnt vmcnt(2)
	v_bfe_u32 v13, v14, 16, 1
	v_add3_u32 v11, v5, v11, s42
	v_add3_u32 v13, v14, v13, s42
	v_and_b32_e32 v15, 0xffff0000, v11
	v_cmp_o_f32_e32 vcc, v5, v5
	v_and_b32_e32 v5, 0xffff0000, v13
	s_waitcnt vmcnt(1)
	v_lshlrev_b32_e32 v11, 16, v10
	s_waitcnt vmcnt(0)
	v_lshlrev_b32_e32 v10, 16, v12
	v_cndmask_b32_e32 v12, v3, v15, vcc
	v_cmp_o_f32_e32 vcc, v14, v14
	v_mov_b32_e32 v14, v11
	v_mov_b32_e32 v15, v10
	v_cndmask_b32_e32 v13, v3, v5, vcc
	v_pk_mul_f32 v[14:15], v[12:13], v[14:15]
	v_pk_mul_f32 v[10:11], v[12:13], v[10:11]
	v_bfe_u32 v5, v14, 16, 1
	v_bfe_u32 v12, v15, 16, 1
	;; [unrolled: 1-line block ×4, first 2 shown]
	v_add3_u32 v12, v15, v12, s42
	v_add3_u32 v5, v14, v5, s42
	;; [unrolled: 1-line block ×4, first 2 shown]
	v_and_b32_e32 v5, 0xffff0000, v5
	v_and_b32_e32 v12, 0xffff0000, v12
	v_cmp_o_f32_e32 vcc, v14, v14
	v_cmp_o_f32_e64 s[8:9], v15, v15
	v_and_b32_e32 v13, 0xffff0000, v13
	v_and_b32_e32 v14, 0xffff0000, v16
	v_cmp_o_f32_e64 s[4:5], v11, v11
	v_cmp_o_f32_e64 s[6:7], v10, v10
	v_cndmask_b32_e64 v10, v3, v12, s[8:9]
	v_cndmask_b32_e32 v5, v3, v5, vcc
	v_cndmask_b32_e64 v11, v3, v14, s[4:5]
	v_cndmask_b32_e64 v12, v3, v13, s[6:7]
	v_sub_f32_e32 v5, v5, v10
	v_add_f32_e32 v10, v12, v11
	v_bfe_u32 v11, v5, 16, 1
	v_bfe_u32 v12, v10, 16, 1
	v_add3_u32 v11, v5, v11, s42
	v_add3_u32 v12, v10, v12, s42
	v_lshrrev_b32_e32 v11, 16, v11
	v_cmp_o_f32_e64 s[4:5], v5, v5
	v_lshrrev_b32_e32 v12, 16, v12
	v_cmp_o_f32_e32 vcc, v10, v10
	v_cndmask_b32_e64 v5, v4, v11, s[4:5]
	s_nop 0
	v_cndmask_b32_e32 v10, v4, v12, vcc
	global_store_short v[6:7], v5, off
	global_store_short v[8:9], v10, off
	s_andn2_b64 exec, exec, s[38:39]
	s_cbranch_execnz .LBB102_3
.LBB102_4:
	s_or_b64 exec, exec, s[20:21]
	s_load_dwordx4 s[20:23], s[0:1], 0x68
	s_waitcnt lgkmcnt(0)
	s_ashr_i32 s7, s23, 31
	s_mov_b32 s6, s23
	s_or_b64 s[4:5], s[34:35], s[6:7]
	s_mov_b32 s4, 0
	s_cmp_lg_u64 s[4:5], 0
	s_cbranch_scc0 .LBB102_14
; %bb.5:
	s_add_u32 s4, s6, s7
	s_mov_b32 s10, s7
	s_mov_b32 s11, s7
	s_addc_u32 s5, s7, s7
	s_xor_b64 s[36:37], s[4:5], s[10:11]
	v_cvt_f32_u32_e32 v1, s36
	v_cvt_f32_u32_e32 v2, s37
	s_sub_u32 s3, 0, s36
	s_subb_u32 s4, 0, s37
	v_fmamk_f32 v1, v2, 0x4f800000, v1
	v_rcp_f32_e32 v1, v1
	s_nop 0
	v_mul_f32_e32 v1, 0x5f7ffffc, v1
	v_mul_f32_e32 v2, 0x2f800000, v1
	v_trunc_f32_e32 v2, v2
	v_fmamk_f32 v1, v2, 0xcf800000, v1
	v_cvt_u32_f32_e32 v2, v2
	v_cvt_u32_f32_e32 v1, v1
	v_readfirstlane_b32 s5, v2
	v_readfirstlane_b32 s23, v1
	s_mul_i32 s27, s3, s5
	s_mul_hi_u32 s38, s3, s23
	s_mul_i32 s33, s4, s23
	s_add_i32 s27, s38, s27
	s_add_i32 s27, s27, s33
	s_mul_i32 s39, s3, s23
	s_mul_hi_u32 s33, s23, s27
	s_mul_i32 s38, s23, s27
	s_mul_hi_u32 s23, s23, s39
	s_add_u32 s23, s23, s38
	s_addc_u32 s33, 0, s33
	s_mul_hi_u32 s40, s5, s39
	s_mul_i32 s39, s5, s39
	s_add_u32 s23, s23, s39
	s_mul_hi_u32 s38, s5, s27
	s_addc_u32 s23, s33, s40
	s_addc_u32 s33, s38, 0
	s_mul_i32 s27, s5, s27
	s_add_u32 s23, s23, s27
	s_addc_u32 s27, 0, s33
	v_add_co_u32_e32 v1, vcc, s23, v1
	s_cmp_lg_u64 vcc, 0
	s_addc_u32 s5, s5, s27
	v_readfirstlane_b32 s27, v1
	s_mul_i32 s23, s3, s5
	s_mul_hi_u32 s33, s3, s27
	s_add_i32 s23, s33, s23
	s_mul_i32 s4, s4, s27
	s_add_i32 s23, s23, s4
	s_mul_i32 s3, s3, s27
	s_mul_hi_u32 s33, s5, s3
	s_mul_i32 s38, s5, s3
	s_mul_i32 s40, s27, s23
	s_mul_hi_u32 s3, s27, s3
	s_mul_hi_u32 s39, s27, s23
	s_add_u32 s3, s3, s40
	s_addc_u32 s27, 0, s39
	s_add_u32 s3, s3, s38
	s_mul_hi_u32 s4, s5, s23
	s_addc_u32 s3, s27, s33
	s_addc_u32 s4, s4, 0
	s_mul_i32 s23, s5, s23
	s_add_u32 s3, s3, s23
	s_addc_u32 s4, 0, s4
	v_add_co_u32_e32 v1, vcc, s3, v1
	s_cmp_lg_u64 vcc, 0
	s_addc_u32 s3, s5, s4
	s_ashr_i32 s38, s35, 31
	s_add_u32 s4, s34, s38
	s_mov_b32 s39, s38
	s_addc_u32 s5, s35, s38
	s_xor_b64 s[40:41], s[4:5], s[38:39]
	v_readfirstlane_b32 s23, v1
	s_mul_i32 s5, s40, s3
	s_mul_hi_u32 s27, s40, s23
	s_mul_hi_u32 s4, s40, s3
	s_add_u32 s5, s27, s5
	s_addc_u32 s4, 0, s4
	s_mul_hi_u32 s33, s41, s23
	s_mul_i32 s23, s41, s23
	s_add_u32 s5, s5, s23
	s_mul_hi_u32 s27, s41, s3
	s_addc_u32 s4, s4, s33
	s_addc_u32 s5, s27, 0
	s_mul_i32 s3, s41, s3
	s_add_u32 s3, s4, s3
	s_addc_u32 s23, 0, s5
	s_mul_i32 s4, s36, s23
	s_mul_hi_u32 s5, s36, s3
	s_add_i32 s4, s5, s4
	s_mul_i32 s5, s37, s3
	s_add_i32 s27, s4, s5
	s_mul_i32 s5, s36, s3
	v_mov_b32_e32 v1, s5
	s_sub_i32 s4, s41, s27
	v_sub_co_u32_e32 v1, vcc, s40, v1
	s_cmp_lg_u64 vcc, 0
	s_subb_u32 s33, s4, s37
	v_subrev_co_u32_e64 v2, s[4:5], s36, v1
	s_cmp_lg_u64 s[4:5], 0
	s_subb_u32 s4, s33, 0
	s_cmp_ge_u32 s4, s37
	v_readfirstlane_b32 s33, v2
	s_cselect_b32 s5, -1, 0
	s_cmp_ge_u32 s33, s36
	s_cselect_b32 s33, -1, 0
	s_cmp_eq_u32 s4, s37
	s_cselect_b32 s4, s33, s5
	s_add_u32 s5, s3, 1
	s_addc_u32 s33, s23, 0
	s_add_u32 s40, s3, 2
	s_addc_u32 s42, s23, 0
	s_cmp_lg_u32 s4, 0
	s_cselect_b32 s4, s40, s5
	s_cselect_b32 s5, s42, s33
	s_cmp_lg_u64 vcc, 0
	s_subb_u32 s27, s41, s27
	s_cmp_ge_u32 s27, s37
	v_readfirstlane_b32 s40, v1
	s_cselect_b32 s33, -1, 0
	s_cmp_ge_u32 s40, s36
	s_cselect_b32 s36, -1, 0
	s_cmp_eq_u32 s27, s37
	s_cselect_b32 s27, s36, s33
	s_cmp_lg_u32 s27, 0
	s_cselect_b32 s5, s5, s23
	s_cselect_b32 s4, s4, s3
	s_xor_b64 s[10:11], s[38:39], s[10:11]
	s_xor_b64 s[4:5], s[4:5], s[10:11]
	s_sub_u32 s10, s4, s10
	s_subb_u32 s11, s5, s11
	s_cbranch_execnz .LBB102_7
.LBB102_6:
	v_cvt_f32_u32_e32 v1, s6
	s_sub_i32 s3, 0, s6
	s_mov_b32 s11, 0
	v_rcp_iflag_f32_e32 v1, v1
	s_nop 0
	v_mul_f32_e32 v1, 0x4f7ffffe, v1
	v_cvt_u32_f32_e32 v1, v1
	s_nop 0
	v_readfirstlane_b32 s4, v1
	s_mul_i32 s3, s3, s4
	s_mul_hi_u32 s3, s4, s3
	s_add_i32 s4, s4, s3
	s_mul_hi_u32 s3, s34, s4
	s_mul_i32 s5, s3, s6
	s_sub_i32 s5, s34, s5
	s_add_i32 s4, s3, 1
	s_sub_i32 s8, s5, s6
	s_cmp_ge_u32 s5, s6
	s_cselect_b32 s3, s4, s3
	s_cselect_b32 s5, s8, s5
	s_add_i32 s4, s3, 1
	s_cmp_ge_u32 s5, s6
	s_cselect_b32 s10, s4, s3
.LBB102_7:
	s_mul_i32 s3, s10, s7
	s_mul_hi_u32 s4, s10, s6
	s_load_dwordx2 s[36:37], s[0:1], 0x78
	s_add_i32 s3, s4, s3
	s_mul_i32 s4, s11, s6
	s_add_i32 s3, s3, s4
	s_mul_i32 s4, s10, s6
	s_sub_u32 s33, s34, s4
	s_subb_u32 s3, s35, s3
	v_cmp_gt_i32_e32 vcc, s26, v0
	s_mul_hi_u32 s47, s10, s20
	s_mul_i32 s48, s11, s20
	s_mul_i32 s49, s10, s20
	s_mul_hi_u32 s46, s33, s21
	s_mul_i32 s11, s3, s21
	s_mul_i32 s23, s33, s21
	s_and_saveexec_b64 s[34:35], vcc
	s_cbranch_execz .LBB102_10
; %bb.8:
	s_ashr_i32 s3, s20, 31
	s_ashr_i32 s4, s21, 31
	s_mul_i32 s3, s10, s3
	s_mul_i32 s4, s33, s4
	s_add_i32 s3, s47, s3
	s_add_i32 s4, s46, s4
	s_ashr_i32 s27, s26, 31
	s_add_i32 s3, s3, s48
	s_add_i32 s4, s4, s11
	s_add_u32 s6, s49, s23
	s_load_dword s5, s[0:1], 0x8c
	s_addc_u32 s7, s3, s4
	s_add_u32 s3, s6, s24
	s_addc_u32 s4, s7, s25
	s_ashr_i32 s8, s22, 31
	s_add_u32 s38, s3, s22
	s_addc_u32 s39, s4, s8
	s_waitcnt lgkmcnt(0)
	s_and_b32 s50, s5, 0xffff
	s_lshl_b64 s[4:5], s[30:31], 2
	v_mov_b32_e32 v1, 0
	s_add_u32 s4, s28, s4
	v_lshlrev_b32_e32 v2, 2, v0
	v_mov_b32_e32 v3, v1
	s_addc_u32 s5, s29, s5
	v_lshl_add_u64 v[2:3], s[4:5], 0, v[2:3]
	s_mul_i32 s4, s13, s2
	s_mul_hi_u32 s5, s12, s2
	s_add_i32 s5, s5, s4
	s_mul_i32 s4, s12, s2
	s_lshl_b32 s40, s50, 2
	s_lshl_b64 s[28:29], s[26:27], 2
	s_lshl_b64 s[30:31], s[26:27], 1
	;; [unrolled: 1-line block ×3, first 2 shown]
	s_add_u32 s4, s16, s4
	v_lshlrev_b32_e32 v4, 1, v0
	v_mov_b32_e32 v5, v1
	s_addc_u32 s5, s17, s5
	s_lshl_b32 s12, s50, 1
	v_lshl_add_u64 v[4:5], s[4:5], 0, v[4:5]
	s_add_u32 s4, s6, s26
	s_load_dword s3, s[36:37], 0x0
	s_addc_u32 s5, s7, s27
	s_add_u32 s4, s4, s22
	s_addc_u32 s5, s5, s8
	s_mov_b32 s41, 0
	s_add_u32 s16, s24, s4
	s_mov_b32 s13, s41
	s_addc_u32 s17, s25, s5
	s_mov_b64 s[42:43], 0
	s_movk_i32 s27, 0x7fff
	v_mov_b32_e32 v10, 0x7fc00000
	v_mov_b32_e32 v11, 0x7fc0
	s_mov_b32 s51, 0x7f800000
	s_mov_b32 s52, 0x43700000
	v_mov_b32_e32 v12, 0xc3700000
	s_mov_b64 s[44:45], 0
.LBB102_9:                              ; =>This Inner Loop Header: Depth=1
	global_load_dword v13, v[2:3], off
	v_lshl_add_u64 v[8:9], v[2:3], 0, s[28:29]
	v_lshl_add_u64 v[6:7], v[4:5], 0, s[30:31]
	global_load_dword v21, v[8:9], off
	global_load_ushort v16, v[4:5], off
	global_load_ushort v18, v[6:7], off
	s_add_u32 s44, s44, s50
	s_addc_u32 s45, s45, 0
	v_lshl_add_u64 v[14:15], s[16:17], 0, v[0:1]
	s_add_u32 s16, s16, s50
	v_add_u32_e32 v17, s44, v0
	s_addc_u32 s17, s17, 0
	v_lshl_add_u64 v[8:9], s[38:39], 0, v[0:1]
	v_cmp_le_i32_e32 vcc, s26, v17
	s_add_u32 s38, s38, s50
	s_addc_u32 s39, s39, 0
	s_or_b64 s[42:43], vcc, s[42:43]
	v_mov_b32_e32 v22, 0
	v_mov_b32_e32 v23, 0
	v_lshl_add_u64 v[2:3], v[2:3], 0, s[40:41]
	s_waitcnt vmcnt(3)
	v_bfe_u32 v17, v13, 16, 1
	s_waitcnt vmcnt(2)
	v_bfe_u32 v19, v21, 16, 1
	v_add3_u32 v20, v13, v17, s27
	v_add3_u32 v24, v21, v19, s27
	v_and_b32_e32 v20, 0xffff0000, v20
	v_cmp_o_f32_e32 vcc, v13, v13
	s_waitcnt vmcnt(1)
	v_lshlrev_b32_e32 v17, 16, v16
	s_waitcnt vmcnt(0)
	v_lshlrev_b32_e32 v16, 16, v18
	v_and_b32_e32 v13, 0xffff0000, v24
	v_cndmask_b32_e32 v20, v10, v20, vcc
	v_cmp_o_f32_e32 vcc, v21, v21
	v_mov_b32_e32 v18, v17
	v_mov_b32_e32 v19, v16
	v_cndmask_b32_e32 v21, v10, v13, vcc
	v_pk_mul_f32 v[18:19], v[20:21], v[18:19]
	v_pk_mul_f32 v[16:17], v[20:21], v[16:17]
	v_bfe_u32 v13, v18, 16, 1
	v_bfe_u32 v20, v19, 16, 1
	;; [unrolled: 1-line block ×4, first 2 shown]
	v_add3_u32 v20, v19, v20, s27
	v_add3_u32 v13, v18, v13, s27
	;; [unrolled: 1-line block ×4, first 2 shown]
	v_and_b32_e32 v13, 0xffff0000, v13
	v_and_b32_e32 v20, 0xffff0000, v20
	v_cmp_o_f32_e32 vcc, v18, v18
	v_cmp_o_f32_e64 s[8:9], v19, v19
	v_and_b32_e32 v18, 0xffff0000, v21
	v_and_b32_e32 v21, 0xffff0000, v24
	v_cmp_o_f32_e64 s[4:5], v17, v17
	v_cmp_o_f32_e64 s[6:7], v16, v16
	v_cndmask_b32_e64 v16, v10, v20, s[8:9]
	v_cndmask_b32_e32 v13, v10, v13, vcc
	v_cndmask_b32_e64 v17, v10, v21, s[4:5]
	v_cndmask_b32_e64 v18, v10, v18, s[6:7]
	v_sub_f32_e32 v13, v13, v16
	v_add_f32_e32 v16, v18, v17
	v_bfe_u32 v17, v13, 16, 1
	v_bfe_u32 v18, v16, 16, 1
	v_add3_u32 v17, v13, v17, s27
	v_add3_u32 v18, v16, v18, s27
	v_lshrrev_b32_e32 v17, 16, v17
	v_cmp_o_f32_e64 s[4:5], v13, v13
	v_lshrrev_b32_e32 v18, 16, v18
	v_cmp_o_f32_e32 vcc, v16, v16
	v_cndmask_b32_e64 v13, v11, v17, s[4:5]
	global_store_short v[4:5], v13, off
	v_cndmask_b32_e32 v16, v11, v18, vcc
	v_lshlrev_b32_e32 v13, 16, v13
	v_lshlrev_b32_e32 v17, 16, v16
	s_waitcnt lgkmcnt(0)
	v_div_scale_f32 v18, s[4:5], s3, s3, v13
	v_div_scale_f32 v20, s[4:5], s3, s3, v17
	v_rcp_f32_e32 v24, v18
	v_rcp_f32_e32 v25, v20
	v_div_scale_f32 v19, vcc, v13, s3, v13
	v_fma_f32 v26, -v18, v24, 1.0
	v_fma_f32 v27, -v20, v25, 1.0
	v_fmac_f32_e32 v24, v26, v24
	v_div_scale_f32 v21, s[4:5], v17, s3, v17
	v_fmac_f32_e32 v25, v27, v25
	v_mul_f32_e32 v26, v19, v24
	v_mul_f32_e32 v27, v21, v25
	v_fma_f32 v28, -v18, v26, v19
	v_fma_f32 v29, -v20, v27, v21
	v_fmac_f32_e32 v26, v28, v24
	v_fmac_f32_e32 v27, v29, v25
	v_fma_f32 v18, -v18, v26, v19
	v_fma_f32 v19, -v20, v27, v21
	v_div_fmas_f32 v18, v18, v24, v26
	s_mov_b64 vcc, s[4:5]
	v_div_fixup_f32 v13, v18, s3, v13
	v_div_fmas_f32 v18, v19, v25, v27
	v_med3_f32 v19, v13, s52, v12
	v_div_fixup_f32 v17, v18, s3, v17
	v_cmp_nlg_f32_e64 vcc, |v13|, s51
	v_med3_f32 v18, v17, s52, v12
	v_lshl_add_u64 v[4:5], v[4:5], 0, s[12:13]
	v_cndmask_b32_e32 v13, v19, v13, vcc
	v_cmp_nlg_f32_e64 vcc, |v17|, s51
	v_cvt_pk_fp8_f32 v22, v13, v13
	global_store_short v[6:7], v16, off
	v_cndmask_b32_e32 v13, v18, v17, vcc
	v_cvt_pk_fp8_f32 v23, v13, v13
	global_store_byte v[8:9], v22, off
	global_store_byte v[14:15], v23, off
	s_andn2_b64 exec, exec, s[42:43]
	s_cbranch_execnz .LBB102_9
.LBB102_10:
	s_or_b64 exec, exec, s[34:35]
	v_cmp_gt_i32_e32 vcc, s22, v0
	s_and_saveexec_b64 s[4:5], vcc
	s_cbranch_execz .LBB102_13
; %bb.11:
	s_mul_i32 s3, s2, s15
	s_mul_hi_u32 s4, s2, s14
	s_add_i32 s3, s4, s3
	s_mul_i32 s2, s2, s14
	s_lshl_b64 s[2:3], s[2:3], 1
	s_add_u32 s2, s18, s2
	s_addc_u32 s3, s19, s3
	s_ashr_i32 s4, s20, 31
	s_mul_i32 s4, s10, s4
	s_add_i32 s4, s47, s4
	s_add_i32 s4, s4, s48
	s_add_u32 s5, s24, s49
	s_addc_u32 s4, s25, s4
	s_ashr_i32 s6, s21, 31
	s_mul_i32 s33, s33, s6
	s_add_i32 s6, s46, s33
	s_add_i32 s6, s6, s11
	s_load_dword s7, s[0:1], 0x8c
	s_add_u32 s0, s5, s23
	s_addc_u32 s1, s4, s6
	s_waitcnt lgkmcnt(0)
	s_load_dword s6, s[36:37], 0x0
	s_mov_b64 s[4:5], 0
	s_and_b32 s7, s7, 0xffff
	s_mov_b32 s8, 0x7f800000
	s_mov_b32 s9, 0x43700000
	v_mov_b32_e32 v2, 0xc3700000
.LBB102_12:                             ; =>This Inner Loop Header: Depth=1
	v_ashrrev_i32_e32 v1, 31, v0
	v_lshl_add_u64 v[4:5], v[0:1], 1, s[2:3]
	global_load_ushort v3, v[4:5], off
	v_mov_b32_e32 v6, 0
	s_waitcnt vmcnt(0)
	v_lshlrev_b32_e32 v3, 16, v3
	s_waitcnt lgkmcnt(0)
	v_div_scale_f32 v4, s[10:11], s6, s6, v3
	v_rcp_f32_e32 v5, v4
	v_div_scale_f32 v7, vcc, v3, s6, v3
	v_fma_f32 v8, -v4, v5, 1.0
	v_fmac_f32_e32 v5, v8, v5
	v_mul_f32_e32 v8, v7, v5
	v_fma_f32 v9, -v4, v8, v7
	v_fmac_f32_e32 v8, v9, v5
	v_fma_f32 v4, -v4, v8, v7
	v_div_fmas_f32 v4, v4, v5, v8
	v_div_fixup_f32 v3, v4, s6, v3
	v_med3_f32 v4, v3, s9, v2
	v_cmp_nlg_f32_e64 vcc, |v3|, s8
	s_nop 1
	v_cndmask_b32_e32 v3, v4, v3, vcc
	v_cvt_pk_fp8_f32 v6, v3, v3
	v_lshl_add_u64 v[4:5], s[0:1], 0, v[0:1]
	v_add_u32_e32 v0, s7, v0
	v_cmp_le_i32_e32 vcc, s22, v0
	s_or_b64 s[4:5], vcc, s[4:5]
	global_store_byte v[4:5], v6, off
	s_andn2_b64 exec, exec, s[4:5]
	s_cbranch_execnz .LBB102_12
.LBB102_13:
	s_endpgm
.LBB102_14:
                                        ; implicit-def: $sgpr10_sgpr11
	s_branch .LBB102_6
	.section	.rodata,"a",@progbits
	.p2align	6, 0x0
	.amdhsa_kernel _ZN4vllm38concat_and_cache_mla_rope_fused_kernelIN3c108BFloat16EfLb1E14__hip_bfloat16hLNS_18Fp8KVCacheDataTypeE1EEEvPKlPT_S8_PKS7_PKT0_illlliPT3_S6_iiiiPKf
		.amdhsa_group_segment_fixed_size 0
		.amdhsa_private_segment_fixed_size 0
		.amdhsa_kernarg_size 384
		.amdhsa_user_sgpr_count 2
		.amdhsa_user_sgpr_dispatch_ptr 0
		.amdhsa_user_sgpr_queue_ptr 0
		.amdhsa_user_sgpr_kernarg_segment_ptr 1
		.amdhsa_user_sgpr_dispatch_id 0
		.amdhsa_user_sgpr_kernarg_preload_length 0
		.amdhsa_user_sgpr_kernarg_preload_offset 0
		.amdhsa_user_sgpr_private_segment_size 0
		.amdhsa_uses_dynamic_stack 0
		.amdhsa_enable_private_segment 0
		.amdhsa_system_sgpr_workgroup_id_x 1
		.amdhsa_system_sgpr_workgroup_id_y 0
		.amdhsa_system_sgpr_workgroup_id_z 0
		.amdhsa_system_sgpr_workgroup_info 0
		.amdhsa_system_vgpr_workitem_id 0
		.amdhsa_next_free_vgpr 30
		.amdhsa_next_free_sgpr 53
		.amdhsa_accum_offset 32
		.amdhsa_reserve_vcc 1
		.amdhsa_float_round_mode_32 0
		.amdhsa_float_round_mode_16_64 0
		.amdhsa_float_denorm_mode_32 3
		.amdhsa_float_denorm_mode_16_64 3
		.amdhsa_dx10_clamp 1
		.amdhsa_ieee_mode 1
		.amdhsa_fp16_overflow 0
		.amdhsa_tg_split 0
		.amdhsa_exception_fp_ieee_invalid_op 0
		.amdhsa_exception_fp_denorm_src 0
		.amdhsa_exception_fp_ieee_div_zero 0
		.amdhsa_exception_fp_ieee_overflow 0
		.amdhsa_exception_fp_ieee_underflow 0
		.amdhsa_exception_fp_ieee_inexact 0
		.amdhsa_exception_int_div_zero 0
	.end_amdhsa_kernel
	.section	.text._ZN4vllm38concat_and_cache_mla_rope_fused_kernelIN3c108BFloat16EfLb1E14__hip_bfloat16hLNS_18Fp8KVCacheDataTypeE1EEEvPKlPT_S8_PKS7_PKT0_illlliPT3_S6_iiiiPKf,"axG",@progbits,_ZN4vllm38concat_and_cache_mla_rope_fused_kernelIN3c108BFloat16EfLb1E14__hip_bfloat16hLNS_18Fp8KVCacheDataTypeE1EEEvPKlPT_S8_PKS7_PKT0_illlliPT3_S6_iiiiPKf,comdat
.Lfunc_end102:
	.size	_ZN4vllm38concat_and_cache_mla_rope_fused_kernelIN3c108BFloat16EfLb1E14__hip_bfloat16hLNS_18Fp8KVCacheDataTypeE1EEEvPKlPT_S8_PKS7_PKT0_illlliPT3_S6_iiiiPKf, .Lfunc_end102-_ZN4vllm38concat_and_cache_mla_rope_fused_kernelIN3c108BFloat16EfLb1E14__hip_bfloat16hLNS_18Fp8KVCacheDataTypeE1EEEvPKlPT_S8_PKS7_PKT0_illlliPT3_S6_iiiiPKf
                                        ; -- End function
	.section	.AMDGPU.csdata,"",@progbits
; Kernel info:
; codeLenInByte = 2996
; NumSgprs: 59
; NumVgprs: 30
; NumAgprs: 0
; TotalNumVgprs: 30
; ScratchSize: 0
; MemoryBound: 0
; FloatMode: 240
; IeeeMode: 1
; LDSByteSize: 0 bytes/workgroup (compile time only)
; SGPRBlocks: 7
; VGPRBlocks: 3
; NumSGPRsForWavesPerEU: 59
; NumVGPRsForWavesPerEU: 30
; AccumOffset: 32
; Occupancy: 8
; WaveLimiterHint : 1
; COMPUTE_PGM_RSRC2:SCRATCH_EN: 0
; COMPUTE_PGM_RSRC2:USER_SGPR: 2
; COMPUTE_PGM_RSRC2:TRAP_HANDLER: 0
; COMPUTE_PGM_RSRC2:TGID_X_EN: 1
; COMPUTE_PGM_RSRC2:TGID_Y_EN: 0
; COMPUTE_PGM_RSRC2:TGID_Z_EN: 0
; COMPUTE_PGM_RSRC2:TIDIG_COMP_CNT: 0
; COMPUTE_PGM_RSRC3_GFX90A:ACCUM_OFFSET: 7
; COMPUTE_PGM_RSRC3_GFX90A:TG_SPLIT: 0
	.section	.text._ZN4vllm38concat_and_cache_mla_rope_fused_kernelIN3c108BFloat16EfLb0E14__hip_bfloat16hLNS_18Fp8KVCacheDataTypeE1EEEvPKlPT_S8_PKS7_PKT0_illlliPT3_S6_iiiiPKf,"axG",@progbits,_ZN4vllm38concat_and_cache_mla_rope_fused_kernelIN3c108BFloat16EfLb0E14__hip_bfloat16hLNS_18Fp8KVCacheDataTypeE1EEEvPKlPT_S8_PKS7_PKT0_illlliPT3_S6_iiiiPKf,comdat
	.protected	_ZN4vllm38concat_and_cache_mla_rope_fused_kernelIN3c108BFloat16EfLb0E14__hip_bfloat16hLNS_18Fp8KVCacheDataTypeE1EEEvPKlPT_S8_PKS7_PKT0_illlliPT3_S6_iiiiPKf ; -- Begin function _ZN4vllm38concat_and_cache_mla_rope_fused_kernelIN3c108BFloat16EfLb0E14__hip_bfloat16hLNS_18Fp8KVCacheDataTypeE1EEEvPKlPT_S8_PKS7_PKT0_illlliPT3_S6_iiiiPKf
	.globl	_ZN4vllm38concat_and_cache_mla_rope_fused_kernelIN3c108BFloat16EfLb0E14__hip_bfloat16hLNS_18Fp8KVCacheDataTypeE1EEEvPKlPT_S8_PKS7_PKT0_illlliPT3_S6_iiiiPKf
	.p2align	8
	.type	_ZN4vllm38concat_and_cache_mla_rope_fused_kernelIN3c108BFloat16EfLb0E14__hip_bfloat16hLNS_18Fp8KVCacheDataTypeE1EEEvPKlPT_S8_PKS7_PKT0_illlliPT3_S6_iiiiPKf,@function
_ZN4vllm38concat_and_cache_mla_rope_fused_kernelIN3c108BFloat16EfLb0E14__hip_bfloat16hLNS_18Fp8KVCacheDataTypeE1EEEvPKlPT_S8_PKS7_PKT0_illlliPT3_S6_iiiiPKf: ; @_ZN4vllm38concat_and_cache_mla_rope_fused_kernelIN3c108BFloat16EfLb0E14__hip_bfloat16hLNS_18Fp8KVCacheDataTypeE1EEEvPKlPT_S8_PKS7_PKT0_illlliPT3_S6_iiiiPKf
; %bb.0:
	s_load_dwordx2 s[6:7], s[0:1], 0x60
	s_mov_b32 s3, 0
	s_lshl_b64 s[4:5], s[2:3], 3
	s_waitcnt lgkmcnt(0)
	s_add_u32 s6, s6, s4
	s_addc_u32 s7, s7, s5
	s_load_dwordx2 s[26:27], s[6:7], 0x0
	s_waitcnt lgkmcnt(0)
	v_cmp_lt_i64_e64 s[6:7], s[26:27], 0
	s_and_b64 vcc, exec, s[6:7]
	s_cbranch_vccnz .LBB103_13
; %bb.1:
	s_load_dword s3, s[0:1], 0x28
	s_load_dwordx2 s[6:7], s[0:1], 0x0
	s_load_dwordx4 s[12:15], s[0:1], 0x10
	v_lshlrev_b32_e32 v2, 1, v0
	s_waitcnt lgkmcnt(0)
	s_ashr_i32 s22, s3, 31
	s_add_u32 s16, s6, s4
	s_addc_u32 s17, s7, s5
	s_load_dwordx2 s[18:19], s[16:17], 0x0
	s_load_dwordx2 s[24:25], s[0:1], 0x20
	s_load_dwordx8 s[4:11], s[0:1], 0x30
	s_load_dwordx2 s[20:21], s[0:1], 0x58
	s_load_dword s23, s[0:1], 0x50
	s_waitcnt lgkmcnt(0)
	s_mul_i32 s16, s18, s22
	s_mul_hi_u32 s17, s18, s3
	s_mul_i32 s19, s19, s3
	s_add_i32 s16, s17, s16
	s_add_i32 s29, s16, s19
	s_lshr_b32 s16, s3, 31
	s_mul_i32 s28, s18, s3
	s_add_i32 s3, s3, s16
	s_ashr_i32 s22, s3, 1
	s_mul_i32 s3, s22, s23
	v_cmp_gt_i32_e32 vcc, s3, v0
	s_and_saveexec_b64 s[16:17], vcc
	s_cbranch_execz .LBB103_4
; %bb.2:
	s_load_dwordx2 s[30:31], s[0:1], 0x8
	s_load_dword s34, s[0:1], 0x8c
	s_lshl_b64 s[18:19], s[28:29], 2
	s_add_u32 s18, s24, s18
	s_mul_i32 s5, s2, s5
	s_mul_hi_u32 s33, s2, s4
	s_addc_u32 s19, s25, s19
	s_add_i32 s5, s33, s5
	s_mul_i32 s4, s2, s4
	s_ashr_i32 s23, s22, 31
	s_lshl_b64 s[4:5], s[4:5], 1
	s_waitcnt lgkmcnt(0)
	s_add_u32 s30, s30, s4
	s_addc_u32 s31, s31, s5
	s_abs_i32 s33, s22
	v_cvt_f32_u32_e32 v1, s33
	s_sub_i32 s4, 0, s33
	s_and_b32 s36, s34, 0xffff
	s_sub_i32 s37, 0, s22
	v_rcp_iflag_f32_e32 v1, v1
	s_lshl_b32 s39, s36, 1
	s_mov_b64 s[34:35], 0
	s_movk_i32 s40, 0x7fff
	v_mul_f32_e32 v1, 0x4f7ffffe, v1
	v_cvt_u32_f32_e32 v1, v1
	v_mov_b32_e32 v5, 0x7fc0
	s_mov_b32 s41, 0x5040100
	v_mov_b32_e32 v4, v2
	v_mul_lo_u32 v3, s4, v1
	v_mul_hi_u32 v3, v1, v3
	s_lshl_b32 s4, s22, 1
	v_add_u32_e32 v1, v1, v3
	s_sub_i32 s38, 0, s4
	v_mov_b32_e32 v3, 0x7fc00000
	v_mov_b32_e32 v6, v0
.LBB103_3:                              ; =>This Inner Loop Header: Depth=1
	v_sub_u32_e32 v8, 0, v6
	v_max_i32_e32 v8, v6, v8
	v_mul_hi_u32 v9, v8, v1
	v_mul_lo_u32 v10, v9, s33
	v_sub_u32_e32 v8, v8, v10
	v_add_u32_e32 v11, 1, v9
	v_cmp_le_u32_e32 vcc, s33, v8
	v_subrev_u32_e32 v10, s33, v8
	v_ashrrev_i32_e32 v7, 31, v6
	v_cndmask_b32_e32 v9, v9, v11, vcc
	v_cndmask_b32_e32 v8, v8, v10, vcc
	v_add_u32_e32 v10, 1, v9
	v_cmp_le_u32_e32 vcc, s33, v8
	v_xor_b32_e32 v7, s23, v7
	s_nop 0
	v_cndmask_b32_e32 v8, v9, v10, vcc
	v_xor_b32_e32 v8, v8, v7
	v_sub_u32_e32 v7, v8, v7
	v_mad_u64_u32 v[8:9], s[4:5], s37, v7, v[6:7]
	v_ashrrev_i32_e32 v14, 31, v7
	v_ashrrev_i32_e32 v9, 31, v8
	v_mul_lo_u32 v15, v7, s7
	v_mad_u64_u32 v[10:11], s[4:5], v7, s6, 0
	v_mad_u64_u32 v[12:13], s[4:5], s38, v7, v[4:5]
	v_mul_lo_u32 v7, v14, s6
	v_lshl_add_u64 v[8:9], v[8:9], 2, s[18:19]
	v_add3_u32 v11, v11, v15, v7
	v_lshl_add_u64 v[14:15], s[22:23], 2, v[8:9]
	global_load_dword v7, v[8:9], off
	v_ashrrev_i32_e32 v13, 31, v12
	global_load_dword v14, v[14:15], off
	v_lshl_add_u64 v[8:9], v[10:11], 1, s[30:31]
	v_lshl_add_u64 v[8:9], v[12:13], 1, v[8:9]
	global_load_dword v10, v[8:9], off
	v_add_u32_e32 v6, s36, v6
	v_cmp_le_i32_e32 vcc, s3, v6
	s_or_b64 s[34:35], vcc, s[34:35]
	v_add_u32_e32 v4, s39, v4
	s_waitcnt vmcnt(2)
	v_bfe_u32 v11, v7, 16, 1
	v_add3_u32 v11, v7, v11, s40
	s_waitcnt vmcnt(1)
	v_bfe_u32 v12, v14, 16, 1
	v_and_b32_e32 v13, 0xffff0000, v11
	v_add3_u32 v12, v14, v12, s40
	v_cmp_o_f32_e32 vcc, v7, v7
	s_waitcnt vmcnt(0)
	v_and_b32_e32 v11, 0xffff0000, v10
	v_lshlrev_b32_e32 v10, 16, v10
	v_and_b32_e32 v7, 0xffff0000, v12
	v_cndmask_b32_e32 v12, v3, v13, vcc
	v_cmp_o_f32_e32 vcc, v14, v14
	v_pk_mul_f32 v[12:13], v[12:13], v[10:11] op_sel_hi:[0,1]
	v_bfe_u32 v15, v13, 16, 1
	v_cndmask_b32_e32 v14, v3, v7, vcc
	v_bfe_u32 v7, v12, 16, 1
	v_pk_mul_f32 v[10:11], v[14:15], v[10:11] op_sel_hi:[0,1]
	v_add3_u32 v14, v13, v15, s40
	v_add3_u32 v7, v12, v7, s40
	v_bfe_u32 v15, v11, 16, 1
	v_bfe_u32 v16, v10, 16, 1
	v_and_b32_e32 v7, 0xffff0000, v7
	v_and_b32_e32 v14, 0xffff0000, v14
	v_add3_u32 v16, v10, v16, s40
	v_add3_u32 v15, v11, v15, s40
	v_cmp_o_f32_e32 vcc, v12, v12
	v_cmp_o_f32_e64 s[4:5], v13, v13
	v_and_b32_e32 v15, 0xffff0000, v15
	v_and_b32_e32 v16, 0xffff0000, v16
	v_cndmask_b32_e64 v13, v3, v14, s[4:5]
	v_cndmask_b32_e32 v12, v3, v7, vcc
	v_cmp_o_f32_e32 vcc, v11, v11
	v_cmp_o_f32_e64 s[4:5], v10, v10
	s_nop 0
	v_cndmask_b32_e32 v10, v3, v15, vcc
	v_cndmask_b32_e64 v11, v3, v16, s[4:5]
	v_pk_add_f32 v[14:15], v[12:13], v[10:11] neg_lo:[0,1] neg_hi:[0,1]
	v_pk_add_f32 v[10:11], v[12:13], v[10:11]
	v_bfe_u32 v7, v14, 16, 1
	v_bfe_u32 v10, v11, 16, 1
	v_add3_u32 v10, v11, v10, s40
	v_add3_u32 v7, v14, v7, s40
	v_lshrrev_b32_e32 v7, 16, v7
	v_lshrrev_b32_e32 v10, 16, v10
	v_cmp_o_f32_e32 vcc, v11, v11
	v_cmp_o_f32_e64 s[4:5], v14, v14
	s_nop 0
	v_cndmask_b32_e32 v10, v5, v10, vcc
	v_cndmask_b32_e64 v7, v5, v7, s[4:5]
	v_perm_b32 v7, v10, v7, s41
	global_store_dword v[8:9], v7, off
	s_andn2_b64 exec, exec, s[34:35]
	s_cbranch_execnz .LBB103_3
.LBB103_4:
	s_or_b64 exec, exec, s[16:17]
	s_load_dwordx4 s[16:19], s[0:1], 0x68
	s_waitcnt lgkmcnt(0)
	s_ashr_i32 s7, s19, 31
	s_mov_b32 s6, s19
	s_or_b64 s[4:5], s[26:27], s[6:7]
	s_mov_b32 s4, 0
	s_cmp_lg_u64 s[4:5], 0
	s_cbranch_scc0 .LBB103_14
; %bb.5:
	s_add_u32 s4, s6, s7
	s_mov_b32 s30, s7
	s_mov_b32 s31, s7
	s_addc_u32 s5, s7, s7
	s_xor_b64 s[36:37], s[4:5], s[30:31]
	v_cvt_f32_u32_e32 v1, s36
	v_cvt_f32_u32_e32 v3, s37
	s_sub_u32 s3, 0, s36
	s_subb_u32 s4, 0, s37
	v_fmamk_f32 v1, v3, 0x4f800000, v1
	v_rcp_f32_e32 v1, v1
	s_nop 0
	v_mul_f32_e32 v1, 0x5f7ffffc, v1
	v_mul_f32_e32 v3, 0x2f800000, v1
	v_trunc_f32_e32 v3, v3
	v_fmamk_f32 v1, v3, 0xcf800000, v1
	v_cvt_u32_f32_e32 v3, v3
	v_cvt_u32_f32_e32 v1, v1
	v_readfirstlane_b32 s5, v3
	v_readfirstlane_b32 s19, v1
	s_mul_i32 s23, s3, s5
	s_mul_hi_u32 s38, s3, s19
	s_mul_i32 s33, s4, s19
	s_add_i32 s23, s38, s23
	s_add_i32 s23, s23, s33
	s_mul_i32 s39, s3, s19
	s_mul_hi_u32 s33, s19, s23
	s_mul_i32 s38, s19, s23
	s_mul_hi_u32 s19, s19, s39
	s_add_u32 s19, s19, s38
	s_addc_u32 s33, 0, s33
	s_mul_hi_u32 s40, s5, s39
	s_mul_i32 s39, s5, s39
	s_add_u32 s19, s19, s39
	s_mul_hi_u32 s38, s5, s23
	s_addc_u32 s19, s33, s40
	s_addc_u32 s33, s38, 0
	s_mul_i32 s23, s5, s23
	s_add_u32 s19, s19, s23
	s_addc_u32 s23, 0, s33
	v_add_co_u32_e32 v1, vcc, s19, v1
	s_cmp_lg_u64 vcc, 0
	s_addc_u32 s5, s5, s23
	v_readfirstlane_b32 s23, v1
	s_mul_i32 s19, s3, s5
	s_mul_hi_u32 s33, s3, s23
	s_add_i32 s19, s33, s19
	s_mul_i32 s4, s4, s23
	s_add_i32 s19, s19, s4
	s_mul_i32 s3, s3, s23
	s_mul_hi_u32 s33, s5, s3
	s_mul_i32 s38, s5, s3
	s_mul_i32 s40, s23, s19
	s_mul_hi_u32 s3, s23, s3
	s_mul_hi_u32 s39, s23, s19
	s_add_u32 s3, s3, s40
	s_addc_u32 s23, 0, s39
	s_add_u32 s3, s3, s38
	s_mul_hi_u32 s4, s5, s19
	s_addc_u32 s3, s23, s33
	s_addc_u32 s4, s4, 0
	s_mul_i32 s19, s5, s19
	s_add_u32 s3, s3, s19
	s_addc_u32 s4, 0, s4
	v_add_co_u32_e32 v1, vcc, s3, v1
	s_cmp_lg_u64 vcc, 0
	s_addc_u32 s3, s5, s4
	s_ashr_i32 s38, s27, 31
	s_add_u32 s4, s26, s38
	s_mov_b32 s39, s38
	s_addc_u32 s5, s27, s38
	s_xor_b64 s[40:41], s[4:5], s[38:39]
	v_readfirstlane_b32 s19, v1
	s_mul_i32 s5, s40, s3
	s_mul_hi_u32 s23, s40, s19
	s_mul_hi_u32 s4, s40, s3
	s_add_u32 s5, s23, s5
	s_addc_u32 s4, 0, s4
	s_mul_hi_u32 s33, s41, s19
	s_mul_i32 s19, s41, s19
	s_add_u32 s5, s5, s19
	s_mul_hi_u32 s23, s41, s3
	s_addc_u32 s4, s4, s33
	s_addc_u32 s5, s23, 0
	s_mul_i32 s3, s41, s3
	s_add_u32 s3, s4, s3
	s_addc_u32 s19, 0, s5
	s_mul_i32 s4, s36, s19
	s_mul_hi_u32 s5, s36, s3
	s_add_i32 s4, s5, s4
	s_mul_i32 s5, s37, s3
	s_add_i32 s23, s4, s5
	s_mul_i32 s5, s36, s3
	v_mov_b32_e32 v1, s5
	s_sub_i32 s4, s41, s23
	v_sub_co_u32_e32 v1, vcc, s40, v1
	s_cmp_lg_u64 vcc, 0
	s_subb_u32 s33, s4, s37
	v_subrev_co_u32_e64 v3, s[4:5], s36, v1
	s_cmp_lg_u64 s[4:5], 0
	s_subb_u32 s4, s33, 0
	s_cmp_ge_u32 s4, s37
	v_readfirstlane_b32 s33, v3
	s_cselect_b32 s5, -1, 0
	s_cmp_ge_u32 s33, s36
	s_cselect_b32 s33, -1, 0
	s_cmp_eq_u32 s4, s37
	s_cselect_b32 s4, s33, s5
	s_add_u32 s5, s3, 1
	s_addc_u32 s33, s19, 0
	s_add_u32 s40, s3, 2
	s_addc_u32 s42, s19, 0
	s_cmp_lg_u32 s4, 0
	s_cselect_b32 s4, s40, s5
	s_cselect_b32 s5, s42, s33
	s_cmp_lg_u64 vcc, 0
	s_subb_u32 s23, s41, s23
	s_cmp_ge_u32 s23, s37
	v_readfirstlane_b32 s40, v1
	s_cselect_b32 s33, -1, 0
	s_cmp_ge_u32 s40, s36
	s_cselect_b32 s36, -1, 0
	s_cmp_eq_u32 s23, s37
	s_cselect_b32 s23, s36, s33
	s_cmp_lg_u32 s23, 0
	s_cselect_b32 s5, s5, s19
	s_cselect_b32 s4, s4, s3
	s_xor_b64 s[30:31], s[38:39], s[30:31]
	s_xor_b64 s[4:5], s[4:5], s[30:31]
	s_sub_u32 s30, s4, s30
	s_subb_u32 s31, s5, s31
	s_cbranch_execnz .LBB103_7
.LBB103_6:
	v_cvt_f32_u32_e32 v1, s6
	s_sub_i32 s3, 0, s6
	s_mov_b32 s31, 0
	v_rcp_iflag_f32_e32 v1, v1
	s_nop 0
	v_mul_f32_e32 v1, 0x4f7ffffe, v1
	v_cvt_u32_f32_e32 v1, v1
	s_nop 0
	v_readfirstlane_b32 s4, v1
	s_mul_i32 s3, s3, s4
	s_mul_hi_u32 s3, s4, s3
	s_add_i32 s4, s4, s3
	s_mul_hi_u32 s3, s26, s4
	s_mul_i32 s5, s3, s6
	s_sub_i32 s5, s26, s5
	s_add_i32 s4, s3, 1
	s_sub_i32 s19, s5, s6
	s_cmp_ge_u32 s5, s6
	s_cselect_b32 s3, s4, s3
	s_cselect_b32 s5, s19, s5
	s_add_i32 s4, s3, 1
	s_cmp_ge_u32 s5, s6
	s_cselect_b32 s30, s4, s3
.LBB103_7:
	s_mul_i32 s3, s30, s7
	s_mul_hi_u32 s4, s30, s6
	s_load_dwordx2 s[34:35], s[0:1], 0x78
	s_add_i32 s3, s4, s3
	s_mul_i32 s4, s31, s6
	s_add_i32 s3, s3, s4
	s_mul_i32 s4, s30, s6
	s_sub_u32 s33, s26, s4
	s_subb_u32 s19, s27, s3
	v_cmp_gt_i32_e32 vcc, s22, v0
	s_mul_hi_u32 s37, s30, s16
	s_mul_i32 s38, s31, s16
	s_mul_i32 s39, s30, s16
	s_mul_hi_u32 s36, s33, s17
	s_mul_i32 s19, s19, s17
	s_mul_i32 s31, s33, s17
	s_and_saveexec_b64 s[26:27], vcc
	s_cbranch_execz .LBB103_10
; %bb.8:
	s_ashr_i32 s3, s16, 31
	s_mul_i32 s3, s30, s3
	s_load_dword s4, s[0:1], 0x8c
	s_add_i32 s3, s37, s3
	s_add_i32 s6, s3, s38
	s_ashr_i32 s3, s17, 31
	s_mul_i32 s3, s33, s3
	s_add_i32 s3, s36, s3
	s_ashr_i32 s23, s22, 31
	s_add_i32 s7, s3, s19
	s_ashr_i32 s42, s18, 31
	s_waitcnt lgkmcnt(0)
	s_and_b32 s40, s4, 0xffff
	s_lshl_b64 s[4:5], s[28:29], 2
	s_add_u32 s4, s24, s4
	v_lshlrev_b32_e32 v10, 2, v0
	v_mov_b32_e32 v11, 0
	s_addc_u32 s5, s25, s5
	v_lshl_add_u64 v[4:5], s[4:5], 0, v[10:11]
	s_mul_i32 s4, s9, s2
	s_mul_hi_u32 s5, s8, s2
	s_add_i32 s5, s5, s4
	s_mul_i32 s4, s8, s2
	s_lshl_b32 s41, s40, 2
	s_lshl_b64 s[4:5], s[4:5], 1
	s_add_u32 s4, s12, s4
	s_addc_u32 s5, s13, s5
	v_lshl_add_u64 v[8:9], s[4:5], 0, v[10:11]
	s_add_u32 s4, s39, s31
	s_addc_u32 s5, s6, s7
	s_add_u32 s6, s20, s18
	s_load_dword s3, s[34:35], 0x0
	s_addc_u32 s7, s21, s42
	s_add_u32 s4, s6, s4
	v_mov_b32_e32 v3, v11
	s_addc_u32 s5, s7, s5
	v_lshl_add_u64 v[2:3], s[4:5], 0, v[2:3]
	s_mov_b32 s29, 0
	v_lshl_add_u64 v[6:7], s[22:23], 2, v[4:5]
	v_lshl_add_u64 v[2:3], v[2:3], 0, 1
	s_lshl_b32 s28, s40, 1
	s_mov_b64 s[12:13], 0
	s_movk_i32 s23, 0x7fff
	v_mov_b32_e32 v1, 0x7fc00000
	v_mov_b32_e32 v12, 0x7fc0
	s_mov_b32 s42, 0x5040100
	s_mov_b32 s43, 0x7f800000
	;; [unrolled: 1-line block ×3, first 2 shown]
	v_mov_b32_e32 v13, 0xc3700000
	s_mov_b64 s[24:25], 0
	v_mov_b32_e32 v14, v0
.LBB103_9:                              ; =>This Inner Loop Header: Depth=1
	v_lshl_add_u64 v[16:17], v[4:5], 0, s[24:25]
	v_lshl_add_u64 v[18:19], v[6:7], 0, s[24:25]
	v_lshl_add_u64 v[10:11], v[8:9], 0, s[24:25]
	global_load_dword v15, v[16:17], off
	global_load_dword v20, v[18:19], off
	global_load_dword v21, v[10:11], off
	v_add_u32_e32 v14, s40, v14
	s_add_u32 s24, s24, s41
	s_addc_u32 s25, s25, 0
	v_cmp_le_i32_e32 vcc, s22, v14
	s_or_b64 s[12:13], vcc, s[12:13]
	v_mov_b32_e32 v23, 0
	v_mov_b32_e32 v22, 0
	s_waitcnt vmcnt(2)
	v_bfe_u32 v18, v15, 16, 1
	s_waitcnt vmcnt(1)
	v_bfe_u32 v19, v20, 16, 1
	v_add3_u32 v18, v15, v18, s23
	v_add3_u32 v19, v20, v19, s23
	v_and_b32_e32 v18, 0xffff0000, v18
	v_and_b32_e32 v19, 0xffff0000, v19
	v_cmp_o_f32_e32 vcc, v20, v20
	v_cmp_o_f32_e64 s[4:5], v15, v15
	s_waitcnt vmcnt(0)
	v_and_b32_e32 v17, 0xffff0000, v21
	v_lshlrev_b32_e32 v16, 16, v21
	v_cndmask_b32_e64 v18, v1, v18, s[4:5]
	v_cndmask_b32_e32 v20, v1, v19, vcc
	v_pk_mul_f32 v[18:19], v[18:19], v[16:17] op_sel_hi:[0,1]
	v_pk_mul_f32 v[16:17], v[20:21], v[16:17] op_sel_hi:[0,1]
	v_bfe_u32 v15, v18, 16, 1
	v_bfe_u32 v20, v19, 16, 1
	;; [unrolled: 1-line block ×4, first 2 shown]
	v_add3_u32 v20, v19, v20, s23
	v_add3_u32 v15, v18, v15, s23
	;; [unrolled: 1-line block ×4, first 2 shown]
	v_and_b32_e32 v15, 0xffff0000, v15
	v_and_b32_e32 v20, 0xffff0000, v20
	;; [unrolled: 1-line block ×4, first 2 shown]
	v_cmp_o_f32_e32 vcc, v18, v18
	v_cmp_o_f32_e64 s[4:5], v16, v16
	v_cmp_o_f32_e64 s[6:7], v17, v17
	;; [unrolled: 1-line block ×3, first 2 shown]
	v_cndmask_b32_e32 v16, v1, v15, vcc
	v_cndmask_b32_e64 v19, v1, v24, s[4:5]
	v_cndmask_b32_e64 v17, v1, v20, s[8:9]
	;; [unrolled: 1-line block ×3, first 2 shown]
	v_pk_add_f32 v[20:21], v[16:17], v[18:19] neg_lo:[0,1] neg_hi:[0,1]
	v_pk_add_f32 v[16:17], v[16:17], v[18:19]
	v_bfe_u32 v15, v20, 16, 1
	v_bfe_u32 v16, v17, 16, 1
	v_add3_u32 v16, v17, v16, s23
	v_add3_u32 v15, v20, v15, s23
	v_lshrrev_b32_e32 v15, 16, v15
	v_lshrrev_b32_e32 v16, 16, v16
	v_cmp_o_f32_e32 vcc, v17, v17
	v_cmp_o_f32_e64 s[4:5], v20, v20
	s_nop 0
	v_cndmask_b32_e32 v16, v12, v16, vcc
	v_cndmask_b32_e64 v15, v12, v15, s[4:5]
	v_perm_b32 v17, v16, v15, s42
	v_lshlrev_b32_e32 v15, 16, v15
	v_lshlrev_b32_e32 v16, 16, v16
	s_waitcnt lgkmcnt(0)
	v_div_scale_f32 v18, s[4:5], s3, s3, v15
	v_div_scale_f32 v20, s[4:5], s3, s3, v16
	v_rcp_f32_e32 v24, v18
	v_rcp_f32_e32 v25, v20
	v_div_scale_f32 v19, vcc, v15, s3, v15
	v_fma_f32 v26, -v18, v24, 1.0
	v_fma_f32 v27, -v20, v25, 1.0
	v_fmac_f32_e32 v24, v26, v24
	v_div_scale_f32 v21, s[4:5], v16, s3, v16
	v_fmac_f32_e32 v25, v27, v25
	v_mul_f32_e32 v26, v19, v24
	v_mul_f32_e32 v27, v21, v25
	v_fma_f32 v28, -v18, v26, v19
	v_fma_f32 v29, -v20, v27, v21
	v_fmac_f32_e32 v26, v28, v24
	v_fmac_f32_e32 v27, v29, v25
	v_fma_f32 v18, -v18, v26, v19
	v_fma_f32 v19, -v20, v27, v21
	v_div_fmas_f32 v18, v18, v24, v26
	s_mov_b64 vcc, s[4:5]
	v_div_fixup_f32 v15, v18, s3, v15
	v_div_fmas_f32 v18, v19, v25, v27
	v_med3_f32 v19, v15, s44, v13
	v_div_fixup_f32 v16, v18, s3, v16
	v_cmp_nlg_f32_e64 vcc, |v15|, s43
	v_med3_f32 v18, v16, s44, v13
	global_store_dword v[10:11], v17, off
	v_cndmask_b32_e32 v15, v19, v15, vcc
	v_cmp_nlg_f32_e64 vcc, |v16|, s43
	v_cvt_pk_fp8_f32 v22, v15, v15
	s_nop 0
	v_cndmask_b32_e32 v16, v18, v16, vcc
	v_cvt_pk_fp8_f32 v23, v16, v16
	v_lshlrev_b16_e32 v10, 8, v23
	v_or_b32_sdwa v10, v22, v10 dst_sel:DWORD dst_unused:UNUSED_PAD src0_sel:BYTE_0 src1_sel:DWORD
	global_store_short v[2:3], v10, off offset:-1
	v_lshl_add_u64 v[2:3], v[2:3], 0, s[28:29]
	s_andn2_b64 exec, exec, s[12:13]
	s_cbranch_execnz .LBB103_9
.LBB103_10:
	s_or_b64 exec, exec, s[26:27]
	v_cmp_gt_i32_e32 vcc, s18, v0
	s_and_saveexec_b64 s[4:5], vcc
	s_cbranch_execz .LBB103_13
; %bb.11:
	s_mul_i32 s3, s2, s11
	s_mul_hi_u32 s4, s2, s10
	s_add_i32 s3, s4, s3
	s_mul_i32 s2, s2, s10
	s_lshl_b64 s[2:3], s[2:3], 1
	s_add_u32 s2, s14, s2
	s_addc_u32 s3, s15, s3
	s_ashr_i32 s4, s16, 31
	s_mul_i32 s4, s30, s4
	s_add_i32 s4, s37, s4
	s_add_i32 s4, s4, s38
	s_add_u32 s5, s20, s39
	s_addc_u32 s4, s21, s4
	s_ashr_i32 s6, s17, 31
	s_mul_i32 s33, s33, s6
	s_add_i32 s6, s36, s33
	s_add_i32 s6, s6, s19
	s_load_dword s7, s[0:1], 0x8c
	s_add_u32 s0, s5, s31
	s_addc_u32 s1, s4, s6
	s_waitcnt lgkmcnt(0)
	s_load_dword s6, s[34:35], 0x0
	s_mov_b64 s[4:5], 0
	s_and_b32 s7, s7, 0xffff
	s_mov_b32 s8, 0x7f800000
	s_mov_b32 s9, 0x43700000
	v_mov_b32_e32 v2, 0xc3700000
.LBB103_12:                             ; =>This Inner Loop Header: Depth=1
	v_ashrrev_i32_e32 v1, 31, v0
	v_lshl_add_u64 v[4:5], v[0:1], 1, s[2:3]
	global_load_ushort v3, v[4:5], off
	v_mov_b32_e32 v6, 0
	s_waitcnt vmcnt(0)
	v_lshlrev_b32_e32 v3, 16, v3
	s_waitcnt lgkmcnt(0)
	v_div_scale_f32 v4, s[10:11], s6, s6, v3
	v_rcp_f32_e32 v5, v4
	v_div_scale_f32 v7, vcc, v3, s6, v3
	v_fma_f32 v8, -v4, v5, 1.0
	v_fmac_f32_e32 v5, v8, v5
	v_mul_f32_e32 v8, v7, v5
	v_fma_f32 v9, -v4, v8, v7
	v_fmac_f32_e32 v8, v9, v5
	v_fma_f32 v4, -v4, v8, v7
	v_div_fmas_f32 v4, v4, v5, v8
	v_div_fixup_f32 v3, v4, s6, v3
	v_med3_f32 v4, v3, s9, v2
	v_cmp_nlg_f32_e64 vcc, |v3|, s8
	s_nop 1
	v_cndmask_b32_e32 v3, v4, v3, vcc
	v_cvt_pk_fp8_f32 v6, v3, v3
	v_lshl_add_u64 v[4:5], s[0:1], 0, v[0:1]
	v_add_u32_e32 v0, s7, v0
	v_cmp_le_i32_e32 vcc, s18, v0
	s_or_b64 s[4:5], vcc, s[4:5]
	global_store_byte v[4:5], v6, off
	s_andn2_b64 exec, exec, s[4:5]
	s_cbranch_execnz .LBB103_12
.LBB103_13:
	s_endpgm
.LBB103_14:
                                        ; implicit-def: $sgpr30_sgpr31
	s_branch .LBB103_6
	.section	.rodata,"a",@progbits
	.p2align	6, 0x0
	.amdhsa_kernel _ZN4vllm38concat_and_cache_mla_rope_fused_kernelIN3c108BFloat16EfLb0E14__hip_bfloat16hLNS_18Fp8KVCacheDataTypeE1EEEvPKlPT_S8_PKS7_PKT0_illlliPT3_S6_iiiiPKf
		.amdhsa_group_segment_fixed_size 0
		.amdhsa_private_segment_fixed_size 0
		.amdhsa_kernarg_size 384
		.amdhsa_user_sgpr_count 2
		.amdhsa_user_sgpr_dispatch_ptr 0
		.amdhsa_user_sgpr_queue_ptr 0
		.amdhsa_user_sgpr_kernarg_segment_ptr 1
		.amdhsa_user_sgpr_dispatch_id 0
		.amdhsa_user_sgpr_kernarg_preload_length 0
		.amdhsa_user_sgpr_kernarg_preload_offset 0
		.amdhsa_user_sgpr_private_segment_size 0
		.amdhsa_uses_dynamic_stack 0
		.amdhsa_enable_private_segment 0
		.amdhsa_system_sgpr_workgroup_id_x 1
		.amdhsa_system_sgpr_workgroup_id_y 0
		.amdhsa_system_sgpr_workgroup_id_z 0
		.amdhsa_system_sgpr_workgroup_info 0
		.amdhsa_system_vgpr_workitem_id 0
		.amdhsa_next_free_vgpr 30
		.amdhsa_next_free_sgpr 45
		.amdhsa_accum_offset 32
		.amdhsa_reserve_vcc 1
		.amdhsa_float_round_mode_32 0
		.amdhsa_float_round_mode_16_64 0
		.amdhsa_float_denorm_mode_32 3
		.amdhsa_float_denorm_mode_16_64 3
		.amdhsa_dx10_clamp 1
		.amdhsa_ieee_mode 1
		.amdhsa_fp16_overflow 0
		.amdhsa_tg_split 0
		.amdhsa_exception_fp_ieee_invalid_op 0
		.amdhsa_exception_fp_denorm_src 0
		.amdhsa_exception_fp_ieee_div_zero 0
		.amdhsa_exception_fp_ieee_overflow 0
		.amdhsa_exception_fp_ieee_underflow 0
		.amdhsa_exception_fp_ieee_inexact 0
		.amdhsa_exception_int_div_zero 0
	.end_amdhsa_kernel
	.section	.text._ZN4vllm38concat_and_cache_mla_rope_fused_kernelIN3c108BFloat16EfLb0E14__hip_bfloat16hLNS_18Fp8KVCacheDataTypeE1EEEvPKlPT_S8_PKS7_PKT0_illlliPT3_S6_iiiiPKf,"axG",@progbits,_ZN4vllm38concat_and_cache_mla_rope_fused_kernelIN3c108BFloat16EfLb0E14__hip_bfloat16hLNS_18Fp8KVCacheDataTypeE1EEEvPKlPT_S8_PKS7_PKT0_illlliPT3_S6_iiiiPKf,comdat
.Lfunc_end103:
	.size	_ZN4vllm38concat_and_cache_mla_rope_fused_kernelIN3c108BFloat16EfLb0E14__hip_bfloat16hLNS_18Fp8KVCacheDataTypeE1EEEvPKlPT_S8_PKS7_PKT0_illlliPT3_S6_iiiiPKf, .Lfunc_end103-_ZN4vllm38concat_and_cache_mla_rope_fused_kernelIN3c108BFloat16EfLb0E14__hip_bfloat16hLNS_18Fp8KVCacheDataTypeE1EEEvPKlPT_S8_PKS7_PKT0_illlliPT3_S6_iiiiPKf
                                        ; -- End function
	.section	.AMDGPU.csdata,"",@progbits
; Kernel info:
; codeLenInByte = 2992
; NumSgprs: 51
; NumVgprs: 30
; NumAgprs: 0
; TotalNumVgprs: 30
; ScratchSize: 0
; MemoryBound: 0
; FloatMode: 240
; IeeeMode: 1
; LDSByteSize: 0 bytes/workgroup (compile time only)
; SGPRBlocks: 6
; VGPRBlocks: 3
; NumSGPRsForWavesPerEU: 51
; NumVGPRsForWavesPerEU: 30
; AccumOffset: 32
; Occupancy: 8
; WaveLimiterHint : 1
; COMPUTE_PGM_RSRC2:SCRATCH_EN: 0
; COMPUTE_PGM_RSRC2:USER_SGPR: 2
; COMPUTE_PGM_RSRC2:TRAP_HANDLER: 0
; COMPUTE_PGM_RSRC2:TGID_X_EN: 1
; COMPUTE_PGM_RSRC2:TGID_Y_EN: 0
; COMPUTE_PGM_RSRC2:TGID_Z_EN: 0
; COMPUTE_PGM_RSRC2:TIDIG_COMP_CNT: 0
; COMPUTE_PGM_RSRC3_GFX90A:ACCUM_OFFSET: 7
; COMPUTE_PGM_RSRC3_GFX90A:TG_SPLIT: 0
	.section	.text._ZN4vllm38concat_and_cache_mla_rope_fused_kernelIN3c108BFloat16ENS1_4HalfELb1E14__hip_bfloat16hLNS_18Fp8KVCacheDataTypeE1EEEvPKlPT_S9_PKS8_PKT0_illlliPT3_S7_iiiiPKf,"axG",@progbits,_ZN4vllm38concat_and_cache_mla_rope_fused_kernelIN3c108BFloat16ENS1_4HalfELb1E14__hip_bfloat16hLNS_18Fp8KVCacheDataTypeE1EEEvPKlPT_S9_PKS8_PKT0_illlliPT3_S7_iiiiPKf,comdat
	.protected	_ZN4vllm38concat_and_cache_mla_rope_fused_kernelIN3c108BFloat16ENS1_4HalfELb1E14__hip_bfloat16hLNS_18Fp8KVCacheDataTypeE1EEEvPKlPT_S9_PKS8_PKT0_illlliPT3_S7_iiiiPKf ; -- Begin function _ZN4vllm38concat_and_cache_mla_rope_fused_kernelIN3c108BFloat16ENS1_4HalfELb1E14__hip_bfloat16hLNS_18Fp8KVCacheDataTypeE1EEEvPKlPT_S9_PKS8_PKT0_illlliPT3_S7_iiiiPKf
	.globl	_ZN4vllm38concat_and_cache_mla_rope_fused_kernelIN3c108BFloat16ENS1_4HalfELb1E14__hip_bfloat16hLNS_18Fp8KVCacheDataTypeE1EEEvPKlPT_S9_PKS8_PKT0_illlliPT3_S7_iiiiPKf
	.p2align	8
	.type	_ZN4vllm38concat_and_cache_mla_rope_fused_kernelIN3c108BFloat16ENS1_4HalfELb1E14__hip_bfloat16hLNS_18Fp8KVCacheDataTypeE1EEEvPKlPT_S9_PKS8_PKT0_illlliPT3_S7_iiiiPKf,@function
_ZN4vllm38concat_and_cache_mla_rope_fused_kernelIN3c108BFloat16ENS1_4HalfELb1E14__hip_bfloat16hLNS_18Fp8KVCacheDataTypeE1EEEvPKlPT_S9_PKS8_PKT0_illlliPT3_S7_iiiiPKf: ; @_ZN4vllm38concat_and_cache_mla_rope_fused_kernelIN3c108BFloat16ENS1_4HalfELb1E14__hip_bfloat16hLNS_18Fp8KVCacheDataTypeE1EEEvPKlPT_S9_PKS8_PKT0_illlliPT3_S7_iiiiPKf
; %bb.0:
	s_load_dwordx2 s[6:7], s[0:1], 0x60
	s_mov_b32 s3, 0
	s_lshl_b64 s[4:5], s[2:3], 3
	s_waitcnt lgkmcnt(0)
	s_add_u32 s6, s6, s4
	s_addc_u32 s7, s7, s5
	s_load_dwordx2 s[36:37], s[6:7], 0x0
	s_waitcnt lgkmcnt(0)
	v_cmp_lt_i64_e64 s[6:7], s[36:37], 0
	s_and_b64 vcc, exec, s[6:7]
	s_cbranch_vccnz .LBB104_13
; %bb.1:
	s_load_dword s3, s[0:1], 0x28
	s_load_dwordx2 s[6:7], s[0:1], 0x0
	s_load_dwordx4 s[16:19], s[0:1], 0x10
	s_waitcnt lgkmcnt(0)
	s_ashr_i32 s20, s3, 31
	s_add_u32 s4, s6, s4
	s_addc_u32 s5, s7, s5
	s_load_dwordx2 s[6:7], s[4:5], 0x0
	s_load_dwordx2 s[30:31], s[0:1], 0x20
	s_load_dwordx8 s[8:15], s[0:1], 0x30
	s_load_dwordx2 s[24:25], s[0:1], 0x58
	s_load_dword s21, s[0:1], 0x50
	s_waitcnt lgkmcnt(0)
	s_mul_i32 s4, s6, s20
	s_mul_hi_u32 s5, s6, s3
	s_mul_i32 s7, s7, s3
	s_add_i32 s4, s5, s4
	s_add_i32 s5, s4, s7
	s_mul_i32 s4, s6, s3
	s_lshl_b64 s[34:35], s[4:5], 1
	s_add_u32 s26, s30, s34
	s_addc_u32 s27, s31, s35
	s_lshr_b32 s4, s3, 31
	s_add_i32 s3, s3, s4
	s_ashr_i32 s28, s3, 1
	s_mul_i32 s3, s28, s21
	v_cmp_gt_i32_e32 vcc, s3, v0
	s_and_saveexec_b64 s[20:21], vcc
	s_cbranch_execz .LBB104_4
; %bb.2:
	s_load_dwordx2 s[4:5], s[0:1], 0x8
	s_mul_i32 s6, s2, s9
	s_mul_hi_u32 s7, s2, s8
	s_add_i32 s7, s7, s6
	s_mul_i32 s6, s2, s8
	s_load_dword s8, s[0:1], 0x8c
	s_ashr_i32 s29, s28, 31
	s_lshl_b64 s[6:7], s[6:7], 1
	s_waitcnt lgkmcnt(0)
	s_add_u32 s22, s4, s6
	s_addc_u32 s23, s5, s7
	s_abs_i32 s33, s28
	v_cvt_f32_u32_e32 v1, s33
	s_sub_i32 s4, 0, s33
	s_mov_b64 s[38:39], 0
	s_and_b32 s42, s8, 0xffff
	v_rcp_iflag_f32_e32 v1, v1
	s_sub_i32 s43, 0, s28
	s_lshl_b64 s[40:41], s[28:29], 1
	s_movk_i32 s44, 0x7fff
	v_mul_f32_e32 v1, 0x4f7ffffe, v1
	v_cvt_u32_f32_e32 v1, v1
	v_mov_b32_e32 v3, 0x7fc00000
	v_mov_b32_e32 v4, 0x7fc0
	v_mul_lo_u32 v2, s4, v1
	v_mul_hi_u32 v2, v1, v2
	v_add_u32_e32 v1, v1, v2
	v_mov_b32_e32 v2, v0
.LBB104_3:                              ; =>This Inner Loop Header: Depth=1
	v_sub_u32_e32 v6, 0, v2
	v_max_i32_e32 v6, v2, v6
	v_mul_hi_u32 v7, v6, v1
	v_mul_lo_u32 v8, v7, s33
	v_sub_u32_e32 v6, v6, v8
	v_add_u32_e32 v9, 1, v7
	v_cmp_le_u32_e32 vcc, s33, v6
	v_subrev_u32_e32 v8, s33, v6
	v_ashrrev_i32_e32 v5, 31, v2
	v_cndmask_b32_e32 v7, v7, v9, vcc
	v_cndmask_b32_e32 v6, v6, v8, vcc
	v_add_u32_e32 v8, 1, v7
	v_cmp_le_u32_e32 vcc, s33, v6
	v_xor_b32_e32 v5, s29, v5
	s_nop 0
	v_cndmask_b32_e32 v6, v7, v8, vcc
	v_xor_b32_e32 v6, v6, v5
	v_sub_u32_e32 v5, v6, v5
	v_mad_u64_u32 v[6:7], s[4:5], s43, v5, v[2:3]
	v_ashrrev_i32_e32 v10, 31, v5
	v_ashrrev_i32_e32 v7, 31, v6
	v_mul_lo_u32 v11, v5, s11
	v_mad_u64_u32 v[8:9], s[4:5], v5, s10, 0
	v_mul_lo_u32 v5, v10, s10
	v_lshlrev_b64 v[6:7], 1, v[6:7]
	v_add3_u32 v9, v9, v11, v5
	v_lshl_add_u64 v[10:11], s[26:27], 0, v[6:7]
	v_lshl_add_u64 v[12:13], v[10:11], 0, s[40:41]
	global_load_ushort v5, v[10:11], off
	global_load_ushort v15, v[12:13], off
	v_lshl_add_u64 v[8:9], v[8:9], 1, s[22:23]
	v_lshl_add_u64 v[6:7], v[8:9], 0, v[6:7]
	;; [unrolled: 1-line block ×3, first 2 shown]
	global_load_ushort v10, v[6:7], off
	global_load_ushort v12, v[8:9], off
	v_add_u32_e32 v2, s42, v2
	v_cmp_le_i32_e32 vcc, s3, v2
	s_or_b64 s[38:39], vcc, s[38:39]
	s_waitcnt vmcnt(3)
	v_cvt_f32_f16_e32 v14, v5
	s_waitcnt vmcnt(2)
	v_cvt_f32_f16_e32 v16, v15
	v_cmp_o_f16_e32 vcc, v5, v5
	v_bfe_u32 v17, v14, 16, 1
	v_bfe_u32 v18, v16, 16, 1
	v_add3_u32 v14, v14, v17, s44
	v_add3_u32 v16, v16, v18, s44
	v_and_b32_e32 v14, 0xffff0000, v14
	s_waitcnt vmcnt(1)
	v_lshlrev_b32_e32 v11, 16, v10
	s_waitcnt vmcnt(0)
	v_lshlrev_b32_e32 v10, 16, v12
	v_and_b32_e32 v5, 0xffff0000, v16
	v_cndmask_b32_e32 v14, v3, v14, vcc
	v_cmp_o_f16_e32 vcc, v15, v15
	v_mov_b32_e32 v12, v11
	v_mov_b32_e32 v13, v10
	v_cndmask_b32_e32 v15, v3, v5, vcc
	v_pk_mul_f32 v[12:13], v[14:15], v[12:13]
	v_pk_mul_f32 v[10:11], v[14:15], v[10:11]
	v_bfe_u32 v5, v12, 16, 1
	v_bfe_u32 v14, v13, 16, 1
	;; [unrolled: 1-line block ×4, first 2 shown]
	v_add3_u32 v14, v13, v14, s44
	v_add3_u32 v5, v12, v5, s44
	;; [unrolled: 1-line block ×4, first 2 shown]
	v_and_b32_e32 v5, 0xffff0000, v5
	v_and_b32_e32 v14, 0xffff0000, v14
	v_cmp_o_f32_e32 vcc, v12, v12
	v_cmp_o_f32_e64 s[8:9], v13, v13
	v_and_b32_e32 v12, 0xffff0000, v15
	v_and_b32_e32 v15, 0xffff0000, v16
	v_cmp_o_f32_e64 s[4:5], v11, v11
	v_cmp_o_f32_e64 s[6:7], v10, v10
	v_cndmask_b32_e64 v10, v3, v14, s[8:9]
	v_cndmask_b32_e32 v5, v3, v5, vcc
	v_cndmask_b32_e64 v11, v3, v15, s[4:5]
	v_cndmask_b32_e64 v12, v3, v12, s[6:7]
	v_sub_f32_e32 v5, v5, v10
	v_add_f32_e32 v10, v12, v11
	v_bfe_u32 v11, v5, 16, 1
	v_bfe_u32 v12, v10, 16, 1
	v_add3_u32 v11, v5, v11, s44
	v_add3_u32 v12, v10, v12, s44
	v_lshrrev_b32_e32 v11, 16, v11
	v_cmp_o_f32_e64 s[4:5], v5, v5
	v_lshrrev_b32_e32 v12, 16, v12
	v_cmp_o_f32_e32 vcc, v10, v10
	v_cndmask_b32_e64 v5, v4, v11, s[4:5]
	s_nop 0
	v_cndmask_b32_e32 v10, v4, v12, vcc
	global_store_short v[6:7], v5, off
	global_store_short v[8:9], v10, off
	s_andn2_b64 exec, exec, s[38:39]
	s_cbranch_execnz .LBB104_3
.LBB104_4:
	s_or_b64 exec, exec, s[20:21]
	s_load_dwordx4 s[20:23], s[0:1], 0x68
	s_waitcnt lgkmcnt(0)
	s_ashr_i32 s7, s23, 31
	s_mov_b32 s6, s23
	s_or_b64 s[4:5], s[36:37], s[6:7]
	s_mov_b32 s4, 0
	s_cmp_lg_u64 s[4:5], 0
	s_cbranch_scc0 .LBB104_14
; %bb.5:
	s_add_u32 s4, s6, s7
	s_mov_b32 s10, s7
	s_mov_b32 s11, s7
	s_addc_u32 s5, s7, s7
	s_xor_b64 s[38:39], s[4:5], s[10:11]
	v_cvt_f32_u32_e32 v1, s38
	v_cvt_f32_u32_e32 v2, s39
	s_sub_u32 s3, 0, s38
	s_subb_u32 s4, 0, s39
	v_fmamk_f32 v1, v2, 0x4f800000, v1
	v_rcp_f32_e32 v1, v1
	s_nop 0
	v_mul_f32_e32 v1, 0x5f7ffffc, v1
	v_mul_f32_e32 v2, 0x2f800000, v1
	v_trunc_f32_e32 v2, v2
	v_fmamk_f32 v1, v2, 0xcf800000, v1
	v_cvt_u32_f32_e32 v2, v2
	v_cvt_u32_f32_e32 v1, v1
	v_readfirstlane_b32 s5, v2
	v_readfirstlane_b32 s23, v1
	s_mul_i32 s29, s3, s5
	s_mul_hi_u32 s40, s3, s23
	s_mul_i32 s33, s4, s23
	s_add_i32 s29, s40, s29
	s_add_i32 s29, s29, s33
	s_mul_i32 s41, s3, s23
	s_mul_hi_u32 s33, s23, s29
	s_mul_i32 s40, s23, s29
	s_mul_hi_u32 s23, s23, s41
	s_add_u32 s23, s23, s40
	s_addc_u32 s33, 0, s33
	s_mul_hi_u32 s42, s5, s41
	s_mul_i32 s41, s5, s41
	s_add_u32 s23, s23, s41
	s_mul_hi_u32 s40, s5, s29
	s_addc_u32 s23, s33, s42
	s_addc_u32 s33, s40, 0
	s_mul_i32 s29, s5, s29
	s_add_u32 s23, s23, s29
	s_addc_u32 s29, 0, s33
	v_add_co_u32_e32 v1, vcc, s23, v1
	s_cmp_lg_u64 vcc, 0
	s_addc_u32 s5, s5, s29
	v_readfirstlane_b32 s29, v1
	s_mul_i32 s23, s3, s5
	s_mul_hi_u32 s33, s3, s29
	s_add_i32 s23, s33, s23
	s_mul_i32 s4, s4, s29
	s_add_i32 s23, s23, s4
	s_mul_i32 s3, s3, s29
	s_mul_hi_u32 s33, s5, s3
	s_mul_i32 s40, s5, s3
	s_mul_i32 s42, s29, s23
	s_mul_hi_u32 s3, s29, s3
	s_mul_hi_u32 s41, s29, s23
	s_add_u32 s3, s3, s42
	s_addc_u32 s29, 0, s41
	s_add_u32 s3, s3, s40
	s_mul_hi_u32 s4, s5, s23
	s_addc_u32 s3, s29, s33
	s_addc_u32 s4, s4, 0
	s_mul_i32 s23, s5, s23
	s_add_u32 s3, s3, s23
	s_addc_u32 s4, 0, s4
	v_add_co_u32_e32 v1, vcc, s3, v1
	s_cmp_lg_u64 vcc, 0
	s_addc_u32 s3, s5, s4
	s_ashr_i32 s40, s37, 31
	s_add_u32 s4, s36, s40
	s_mov_b32 s41, s40
	s_addc_u32 s5, s37, s40
	s_xor_b64 s[42:43], s[4:5], s[40:41]
	v_readfirstlane_b32 s23, v1
	s_mul_i32 s5, s42, s3
	s_mul_hi_u32 s29, s42, s23
	s_mul_hi_u32 s4, s42, s3
	s_add_u32 s5, s29, s5
	s_addc_u32 s4, 0, s4
	s_mul_hi_u32 s33, s43, s23
	s_mul_i32 s23, s43, s23
	s_add_u32 s5, s5, s23
	s_mul_hi_u32 s29, s43, s3
	s_addc_u32 s4, s4, s33
	s_addc_u32 s5, s29, 0
	s_mul_i32 s3, s43, s3
	s_add_u32 s3, s4, s3
	s_addc_u32 s23, 0, s5
	s_mul_i32 s4, s38, s23
	s_mul_hi_u32 s5, s38, s3
	s_add_i32 s4, s5, s4
	s_mul_i32 s5, s39, s3
	s_add_i32 s29, s4, s5
	s_mul_i32 s5, s38, s3
	v_mov_b32_e32 v1, s5
	s_sub_i32 s4, s43, s29
	v_sub_co_u32_e32 v1, vcc, s42, v1
	s_cmp_lg_u64 vcc, 0
	s_subb_u32 s33, s4, s39
	v_subrev_co_u32_e64 v2, s[4:5], s38, v1
	s_cmp_lg_u64 s[4:5], 0
	s_subb_u32 s4, s33, 0
	s_cmp_ge_u32 s4, s39
	v_readfirstlane_b32 s33, v2
	s_cselect_b32 s5, -1, 0
	s_cmp_ge_u32 s33, s38
	s_cselect_b32 s33, -1, 0
	s_cmp_eq_u32 s4, s39
	s_cselect_b32 s4, s33, s5
	s_add_u32 s5, s3, 1
	s_addc_u32 s33, s23, 0
	s_add_u32 s42, s3, 2
	s_addc_u32 s44, s23, 0
	s_cmp_lg_u32 s4, 0
	s_cselect_b32 s4, s42, s5
	s_cselect_b32 s5, s44, s33
	s_cmp_lg_u64 vcc, 0
	s_subb_u32 s29, s43, s29
	s_cmp_ge_u32 s29, s39
	v_readfirstlane_b32 s42, v1
	s_cselect_b32 s33, -1, 0
	s_cmp_ge_u32 s42, s38
	s_cselect_b32 s38, -1, 0
	s_cmp_eq_u32 s29, s39
	s_cselect_b32 s29, s38, s33
	s_cmp_lg_u32 s29, 0
	s_cselect_b32 s5, s5, s23
	s_cselect_b32 s4, s4, s3
	s_xor_b64 s[10:11], s[40:41], s[10:11]
	s_xor_b64 s[4:5], s[4:5], s[10:11]
	s_sub_u32 s10, s4, s10
	s_subb_u32 s11, s5, s11
	s_cbranch_execnz .LBB104_7
.LBB104_6:
	v_cvt_f32_u32_e32 v1, s6
	s_sub_i32 s3, 0, s6
	s_mov_b32 s11, 0
	v_rcp_iflag_f32_e32 v1, v1
	s_nop 0
	v_mul_f32_e32 v1, 0x4f7ffffe, v1
	v_cvt_u32_f32_e32 v1, v1
	s_nop 0
	v_readfirstlane_b32 s4, v1
	s_mul_i32 s3, s3, s4
	s_mul_hi_u32 s3, s4, s3
	s_add_i32 s4, s4, s3
	s_mul_hi_u32 s3, s36, s4
	s_mul_i32 s5, s3, s6
	s_sub_i32 s5, s36, s5
	s_add_i32 s4, s3, 1
	s_sub_i32 s8, s5, s6
	s_cmp_ge_u32 s5, s6
	s_cselect_b32 s3, s4, s3
	s_cselect_b32 s5, s8, s5
	s_add_i32 s4, s3, 1
	s_cmp_ge_u32 s5, s6
	s_cselect_b32 s10, s4, s3
.LBB104_7:
	s_mul_i32 s3, s10, s7
	s_mul_hi_u32 s4, s10, s6
	s_load_dwordx2 s[38:39], s[0:1], 0x78
	s_add_i32 s3, s4, s3
	s_mul_i32 s4, s11, s6
	s_add_i32 s3, s3, s4
	s_mul_i32 s4, s10, s6
	s_sub_u32 s33, s36, s4
	s_subb_u32 s3, s37, s3
	v_cmp_gt_i32_e32 vcc, s28, v0
	s_mul_hi_u32 s43, s10, s20
	s_mul_i32 s44, s11, s20
	s_mul_i32 s45, s10, s20
	s_mul_hi_u32 s42, s33, s21
	s_mul_i32 s11, s3, s21
	s_mul_i32 s23, s33, s21
	s_and_saveexec_b64 s[36:37], vcc
	s_cbranch_execz .LBB104_10
; %bb.8:
	s_mul_i32 s3, s2, s13
	s_mul_hi_u32 s4, s2, s12
	s_add_i32 s5, s4, s3
	s_mul_i32 s4, s2, s12
	s_ashr_i32 s29, s28, 31
	s_lshl_b64 s[4:5], s[4:5], 1
	s_add_u32 s12, s16, s4
	s_addc_u32 s13, s17, s5
	s_ashr_i32 s3, s20, 31
	s_load_dword s6, s[0:1], 0x8c
	s_mul_i32 s3, s10, s3
	s_add_i32 s3, s43, s3
	s_add_i32 s8, s3, s44
	s_ashr_i32 s3, s21, 31
	s_mul_i32 s3, s33, s3
	s_add_i32 s3, s42, s3
	s_waitcnt lgkmcnt(0)
	s_and_b32 s40, s6, 0xffff
	s_add_i32 s9, s3, s11
	s_ashr_i32 s47, s22, 31
	s_lshl_b32 s46, s40, 1
	s_lshl_b64 s[6:7], s[28:29], 1
	s_add_u32 s34, s34, s6
	s_addc_u32 s35, s35, s7
	s_add_u32 s30, s30, s34
	s_addc_u32 s31, s31, s35
	;; [unrolled: 2-line block ×5, first 2 shown]
	s_load_dword s3, s[38:39], 0x0
	s_add_u32 s4, s4, s22
	s_addc_u32 s5, s5, s47
	s_add_u32 s4, s24, s4
	v_mov_b32_e32 v1, 0
	s_addc_u32 s5, s25, s5
	s_mov_b32 s41, 0
	v_lshlrev_b32_e32 v2, 1, v0
	v_mov_b32_e32 v3, v1
	v_lshl_add_u64 v[4:5], s[4:5], 0, v[0:1]
	s_mov_b64 s[34:35], 0
	s_movk_i32 s47, 0x7fff
	v_mov_b32_e32 v1, 0x7fc00000
	v_mov_b32_e32 v10, 0x7fc0
	s_mov_b32 s48, 0x7f800000
	s_mov_b32 s49, 0x43700000
	v_mov_b32_e32 v11, 0xc3700000
	v_mov_b32_e32 v12, v0
.LBB104_9:                              ; =>This Inner Loop Header: Depth=1
	v_lshl_add_u64 v[16:17], s[30:31], 0, v[2:3]
	v_lshl_add_u64 v[14:15], s[26:27], 0, v[2:3]
	;; [unrolled: 1-line block ×4, first 2 shown]
	global_load_ushort v13, v[16:17], off
	global_load_ushort v20, v[14:15], off
	;; [unrolled: 1-line block ×4, first 2 shown]
	s_add_u32 s26, s26, s46
	s_addc_u32 s27, s27, 0
	s_add_u32 s30, s30, s46
	s_addc_u32 s31, s31, 0
	;; [unrolled: 2-line block ×3, first 2 shown]
	v_add_u32_e32 v12, s40, v12
	s_add_u32 s12, s12, s46
	v_cmp_le_i32_e32 vcc, s28, v12
	s_addc_u32 s13, s13, 0
	s_or_b64 s[34:35], vcc, s[34:35]
	v_mov_b32_e32 v22, 0
	v_mov_b32_e32 v23, 0
	v_lshl_add_u64 v[14:15], v[4:5], 0, s[28:29]
	s_waitcnt vmcnt(3)
	v_cvt_f32_f16_e32 v21, v13
	s_waitcnt vmcnt(2)
	v_cvt_f32_f16_e32 v24, v20
	s_waitcnt vmcnt(1)
	v_lshlrev_b32_e32 v17, 16, v18
	s_waitcnt vmcnt(0)
	v_lshlrev_b32_e32 v16, 16, v19
	v_bfe_u32 v26, v21, 16, 1
	v_bfe_u32 v25, v24, 16, 1
	v_add3_u32 v21, v21, v26, s47
	v_add3_u32 v24, v24, v25, s47
	v_and_b32_e32 v24, 0xffff0000, v24
	v_and_b32_e32 v21, 0xffff0000, v21
	v_cmp_o_f16_e32 vcc, v20, v20
	v_cmp_o_f16_e64 s[4:5], v13, v13
	v_mov_b32_e32 v18, v17
	v_mov_b32_e32 v19, v16
	v_cndmask_b32_e64 v21, v1, v21, s[4:5]
	v_cndmask_b32_e32 v20, v1, v24, vcc
	v_pk_mul_f32 v[18:19], v[20:21], v[18:19]
	v_pk_mul_f32 v[16:17], v[20:21], v[16:17]
	v_bfe_u32 v13, v18, 16, 1
	v_bfe_u32 v20, v19, 16, 1
	;; [unrolled: 1-line block ×4, first 2 shown]
	v_add3_u32 v20, v19, v20, s47
	v_add3_u32 v13, v18, v13, s47
	;; [unrolled: 1-line block ×4, first 2 shown]
	v_and_b32_e32 v13, 0xffff0000, v13
	v_and_b32_e32 v20, 0xffff0000, v20
	v_cmp_o_f32_e32 vcc, v18, v18
	v_cmp_o_f32_e64 s[8:9], v19, v19
	v_and_b32_e32 v18, 0xffff0000, v21
	v_and_b32_e32 v21, 0xffff0000, v24
	v_cmp_o_f32_e64 s[4:5], v17, v17
	v_cmp_o_f32_e64 s[6:7], v16, v16
	v_cndmask_b32_e64 v16, v1, v20, s[8:9]
	v_cndmask_b32_e32 v13, v1, v13, vcc
	v_cndmask_b32_e64 v17, v1, v21, s[4:5]
	v_cndmask_b32_e64 v18, v1, v18, s[6:7]
	v_sub_f32_e32 v13, v13, v16
	v_add_f32_e32 v16, v18, v17
	v_bfe_u32 v17, v13, 16, 1
	v_bfe_u32 v18, v16, 16, 1
	v_add3_u32 v17, v13, v17, s47
	v_add3_u32 v18, v16, v18, s47
	v_lshrrev_b32_e32 v17, 16, v17
	v_cmp_o_f32_e64 s[4:5], v13, v13
	v_lshrrev_b32_e32 v18, 16, v18
	v_cmp_o_f32_e32 vcc, v16, v16
	v_cndmask_b32_e64 v13, v10, v17, s[4:5]
	global_store_short v[8:9], v13, off
	v_cndmask_b32_e32 v16, v10, v18, vcc
	v_lshlrev_b32_e32 v8, 16, v13
	v_lshlrev_b32_e32 v9, 16, v16
	s_waitcnt lgkmcnt(0)
	v_div_scale_f32 v13, s[4:5], s3, s3, v8
	v_div_scale_f32 v18, s[4:5], s3, s3, v9
	v_rcp_f32_e32 v20, v13
	v_rcp_f32_e32 v21, v18
	v_div_scale_f32 v17, vcc, v8, s3, v8
	v_fma_f32 v24, -v13, v20, 1.0
	v_fma_f32 v25, -v18, v21, 1.0
	v_fmac_f32_e32 v20, v24, v20
	v_div_scale_f32 v19, s[4:5], v9, s3, v9
	v_fmac_f32_e32 v21, v25, v21
	v_mul_f32_e32 v24, v17, v20
	v_mul_f32_e32 v25, v19, v21
	v_fma_f32 v26, -v13, v24, v17
	v_fma_f32 v27, -v18, v25, v19
	v_fmac_f32_e32 v24, v26, v20
	v_fmac_f32_e32 v25, v27, v21
	v_fma_f32 v13, -v13, v24, v17
	v_fma_f32 v17, -v18, v25, v19
	v_div_fmas_f32 v13, v13, v20, v24
	s_mov_b64 vcc, s[4:5]
	v_div_fixup_f32 v8, v13, s3, v8
	v_div_fmas_f32 v13, v17, v21, v25
	v_med3_f32 v17, v8, s49, v11
	v_div_fixup_f32 v9, v13, s3, v9
	v_cmp_nlg_f32_e64 vcc, |v8|, s48
	v_med3_f32 v13, v9, s49, v11
	s_nop 0
	v_cndmask_b32_e32 v8, v17, v8, vcc
	v_cmp_nlg_f32_e64 vcc, |v9|, s48
	v_cvt_pk_fp8_f32 v22, v8, v8
	global_store_short v[6:7], v16, off
	global_store_byte v[4:5], v22, off
	v_cndmask_b32_e32 v8, v13, v9, vcc
	v_cvt_pk_fp8_f32 v23, v8, v8
	v_lshl_add_u64 v[4:5], v[4:5], 0, s[40:41]
	global_store_byte v[14:15], v23, off
	s_andn2_b64 exec, exec, s[34:35]
	s_cbranch_execnz .LBB104_9
.LBB104_10:
	s_or_b64 exec, exec, s[36:37]
	v_cmp_gt_i32_e32 vcc, s22, v0
	s_and_saveexec_b64 s[4:5], vcc
	s_cbranch_execz .LBB104_13
; %bb.11:
	s_mul_i32 s3, s2, s15
	s_mul_hi_u32 s4, s2, s14
	s_add_i32 s3, s4, s3
	s_mul_i32 s2, s2, s14
	s_lshl_b64 s[2:3], s[2:3], 1
	s_add_u32 s2, s18, s2
	s_addc_u32 s3, s19, s3
	s_ashr_i32 s4, s20, 31
	s_mul_i32 s4, s10, s4
	s_add_i32 s4, s43, s4
	s_add_i32 s4, s4, s44
	s_add_u32 s5, s24, s45
	s_addc_u32 s4, s25, s4
	s_ashr_i32 s6, s21, 31
	s_mul_i32 s33, s33, s6
	s_add_i32 s6, s42, s33
	s_add_i32 s6, s6, s11
	s_load_dword s7, s[0:1], 0x8c
	s_add_u32 s0, s5, s23
	s_addc_u32 s1, s4, s6
	s_waitcnt lgkmcnt(0)
	s_load_dword s6, s[38:39], 0x0
	s_mov_b64 s[4:5], 0
	s_and_b32 s7, s7, 0xffff
	s_mov_b32 s8, 0x7f800000
	s_mov_b32 s9, 0x43700000
	v_mov_b32_e32 v2, 0xc3700000
.LBB104_12:                             ; =>This Inner Loop Header: Depth=1
	v_ashrrev_i32_e32 v1, 31, v0
	v_lshl_add_u64 v[4:5], v[0:1], 1, s[2:3]
	global_load_ushort v3, v[4:5], off
	v_mov_b32_e32 v6, 0
	s_waitcnt vmcnt(0)
	v_lshlrev_b32_e32 v3, 16, v3
	s_waitcnt lgkmcnt(0)
	v_div_scale_f32 v4, s[10:11], s6, s6, v3
	v_rcp_f32_e32 v5, v4
	v_div_scale_f32 v7, vcc, v3, s6, v3
	v_fma_f32 v8, -v4, v5, 1.0
	v_fmac_f32_e32 v5, v8, v5
	v_mul_f32_e32 v8, v7, v5
	v_fma_f32 v9, -v4, v8, v7
	v_fmac_f32_e32 v8, v9, v5
	v_fma_f32 v4, -v4, v8, v7
	v_div_fmas_f32 v4, v4, v5, v8
	v_div_fixup_f32 v3, v4, s6, v3
	v_med3_f32 v4, v3, s9, v2
	v_cmp_nlg_f32_e64 vcc, |v3|, s8
	s_nop 1
	v_cndmask_b32_e32 v3, v4, v3, vcc
	v_cvt_pk_fp8_f32 v6, v3, v3
	v_lshl_add_u64 v[4:5], s[0:1], 0, v[0:1]
	v_add_u32_e32 v0, s7, v0
	v_cmp_le_i32_e32 vcc, s22, v0
	s_or_b64 s[4:5], vcc, s[4:5]
	global_store_byte v[4:5], v6, off
	s_andn2_b64 exec, exec, s[4:5]
	s_cbranch_execnz .LBB104_12
.LBB104_13:
	s_endpgm
.LBB104_14:
                                        ; implicit-def: $sgpr10_sgpr11
	s_branch .LBB104_6
	.section	.rodata,"a",@progbits
	.p2align	6, 0x0
	.amdhsa_kernel _ZN4vllm38concat_and_cache_mla_rope_fused_kernelIN3c108BFloat16ENS1_4HalfELb1E14__hip_bfloat16hLNS_18Fp8KVCacheDataTypeE1EEEvPKlPT_S9_PKS8_PKT0_illlliPT3_S7_iiiiPKf
		.amdhsa_group_segment_fixed_size 0
		.amdhsa_private_segment_fixed_size 0
		.amdhsa_kernarg_size 384
		.amdhsa_user_sgpr_count 2
		.amdhsa_user_sgpr_dispatch_ptr 0
		.amdhsa_user_sgpr_queue_ptr 0
		.amdhsa_user_sgpr_kernarg_segment_ptr 1
		.amdhsa_user_sgpr_dispatch_id 0
		.amdhsa_user_sgpr_kernarg_preload_length 0
		.amdhsa_user_sgpr_kernarg_preload_offset 0
		.amdhsa_user_sgpr_private_segment_size 0
		.amdhsa_uses_dynamic_stack 0
		.amdhsa_enable_private_segment 0
		.amdhsa_system_sgpr_workgroup_id_x 1
		.amdhsa_system_sgpr_workgroup_id_y 0
		.amdhsa_system_sgpr_workgroup_id_z 0
		.amdhsa_system_sgpr_workgroup_info 0
		.amdhsa_system_vgpr_workitem_id 0
		.amdhsa_next_free_vgpr 28
		.amdhsa_next_free_sgpr 50
		.amdhsa_accum_offset 28
		.amdhsa_reserve_vcc 1
		.amdhsa_float_round_mode_32 0
		.amdhsa_float_round_mode_16_64 0
		.amdhsa_float_denorm_mode_32 3
		.amdhsa_float_denorm_mode_16_64 3
		.amdhsa_dx10_clamp 1
		.amdhsa_ieee_mode 1
		.amdhsa_fp16_overflow 0
		.amdhsa_tg_split 0
		.amdhsa_exception_fp_ieee_invalid_op 0
		.amdhsa_exception_fp_denorm_src 0
		.amdhsa_exception_fp_ieee_div_zero 0
		.amdhsa_exception_fp_ieee_overflow 0
		.amdhsa_exception_fp_ieee_underflow 0
		.amdhsa_exception_fp_ieee_inexact 0
		.amdhsa_exception_int_div_zero 0
	.end_amdhsa_kernel
	.section	.text._ZN4vllm38concat_and_cache_mla_rope_fused_kernelIN3c108BFloat16ENS1_4HalfELb1E14__hip_bfloat16hLNS_18Fp8KVCacheDataTypeE1EEEvPKlPT_S9_PKS8_PKT0_illlliPT3_S7_iiiiPKf,"axG",@progbits,_ZN4vllm38concat_and_cache_mla_rope_fused_kernelIN3c108BFloat16ENS1_4HalfELb1E14__hip_bfloat16hLNS_18Fp8KVCacheDataTypeE1EEEvPKlPT_S9_PKS8_PKT0_illlliPT3_S7_iiiiPKf,comdat
.Lfunc_end104:
	.size	_ZN4vllm38concat_and_cache_mla_rope_fused_kernelIN3c108BFloat16ENS1_4HalfELb1E14__hip_bfloat16hLNS_18Fp8KVCacheDataTypeE1EEEvPKlPT_S9_PKS8_PKT0_illlliPT3_S7_iiiiPKf, .Lfunc_end104-_ZN4vllm38concat_and_cache_mla_rope_fused_kernelIN3c108BFloat16ENS1_4HalfELb1E14__hip_bfloat16hLNS_18Fp8KVCacheDataTypeE1EEEvPKlPT_S9_PKS8_PKT0_illlliPT3_S7_iiiiPKf
                                        ; -- End function
	.section	.AMDGPU.csdata,"",@progbits
; Kernel info:
; codeLenInByte = 3012
; NumSgprs: 56
; NumVgprs: 28
; NumAgprs: 0
; TotalNumVgprs: 28
; ScratchSize: 0
; MemoryBound: 0
; FloatMode: 240
; IeeeMode: 1
; LDSByteSize: 0 bytes/workgroup (compile time only)
; SGPRBlocks: 6
; VGPRBlocks: 3
; NumSGPRsForWavesPerEU: 56
; NumVGPRsForWavesPerEU: 28
; AccumOffset: 28
; Occupancy: 8
; WaveLimiterHint : 1
; COMPUTE_PGM_RSRC2:SCRATCH_EN: 0
; COMPUTE_PGM_RSRC2:USER_SGPR: 2
; COMPUTE_PGM_RSRC2:TRAP_HANDLER: 0
; COMPUTE_PGM_RSRC2:TGID_X_EN: 1
; COMPUTE_PGM_RSRC2:TGID_Y_EN: 0
; COMPUTE_PGM_RSRC2:TGID_Z_EN: 0
; COMPUTE_PGM_RSRC2:TIDIG_COMP_CNT: 0
; COMPUTE_PGM_RSRC3_GFX90A:ACCUM_OFFSET: 6
; COMPUTE_PGM_RSRC3_GFX90A:TG_SPLIT: 0
	.section	.text._ZN4vllm38concat_and_cache_mla_rope_fused_kernelIN3c108BFloat16ENS1_4HalfELb0E14__hip_bfloat16hLNS_18Fp8KVCacheDataTypeE1EEEvPKlPT_S9_PKS8_PKT0_illlliPT3_S7_iiiiPKf,"axG",@progbits,_ZN4vllm38concat_and_cache_mla_rope_fused_kernelIN3c108BFloat16ENS1_4HalfELb0E14__hip_bfloat16hLNS_18Fp8KVCacheDataTypeE1EEEvPKlPT_S9_PKS8_PKT0_illlliPT3_S7_iiiiPKf,comdat
	.protected	_ZN4vllm38concat_and_cache_mla_rope_fused_kernelIN3c108BFloat16ENS1_4HalfELb0E14__hip_bfloat16hLNS_18Fp8KVCacheDataTypeE1EEEvPKlPT_S9_PKS8_PKT0_illlliPT3_S7_iiiiPKf ; -- Begin function _ZN4vllm38concat_and_cache_mla_rope_fused_kernelIN3c108BFloat16ENS1_4HalfELb0E14__hip_bfloat16hLNS_18Fp8KVCacheDataTypeE1EEEvPKlPT_S9_PKS8_PKT0_illlliPT3_S7_iiiiPKf
	.globl	_ZN4vllm38concat_and_cache_mla_rope_fused_kernelIN3c108BFloat16ENS1_4HalfELb0E14__hip_bfloat16hLNS_18Fp8KVCacheDataTypeE1EEEvPKlPT_S9_PKS8_PKT0_illlliPT3_S7_iiiiPKf
	.p2align	8
	.type	_ZN4vllm38concat_and_cache_mla_rope_fused_kernelIN3c108BFloat16ENS1_4HalfELb0E14__hip_bfloat16hLNS_18Fp8KVCacheDataTypeE1EEEvPKlPT_S9_PKS8_PKT0_illlliPT3_S7_iiiiPKf,@function
_ZN4vllm38concat_and_cache_mla_rope_fused_kernelIN3c108BFloat16ENS1_4HalfELb0E14__hip_bfloat16hLNS_18Fp8KVCacheDataTypeE1EEEvPKlPT_S9_PKS8_PKT0_illlliPT3_S7_iiiiPKf: ; @_ZN4vllm38concat_and_cache_mla_rope_fused_kernelIN3c108BFloat16ENS1_4HalfELb0E14__hip_bfloat16hLNS_18Fp8KVCacheDataTypeE1EEEvPKlPT_S9_PKS8_PKT0_illlliPT3_S7_iiiiPKf
; %bb.0:
	s_load_dwordx2 s[6:7], s[0:1], 0x60
	s_mov_b32 s3, 0
	s_lshl_b64 s[4:5], s[2:3], 3
	s_waitcnt lgkmcnt(0)
	s_add_u32 s6, s6, s4
	s_addc_u32 s7, s7, s5
	s_load_dwordx2 s[26:27], s[6:7], 0x0
	s_waitcnt lgkmcnt(0)
	v_cmp_lt_i64_e64 s[6:7], s[26:27], 0
	s_and_b64 vcc, exec, s[6:7]
	s_cbranch_vccnz .LBB105_13
; %bb.1:
	s_load_dword s3, s[0:1], 0x28
	s_load_dwordx2 s[6:7], s[0:1], 0x0
	s_load_dwordx4 s[12:15], s[0:1], 0x10
	v_lshlrev_b32_e32 v2, 1, v0
	s_waitcnt lgkmcnt(0)
	s_ashr_i32 s22, s3, 31
	s_add_u32 s16, s6, s4
	s_addc_u32 s17, s7, s5
	s_load_dwordx2 s[18:19], s[16:17], 0x0
	s_load_dwordx2 s[24:25], s[0:1], 0x20
	s_load_dwordx8 s[4:11], s[0:1], 0x30
	s_load_dwordx2 s[20:21], s[0:1], 0x58
	s_load_dword s23, s[0:1], 0x50
	s_waitcnt lgkmcnt(0)
	s_mul_i32 s16, s18, s22
	s_mul_hi_u32 s17, s18, s3
	s_mul_i32 s19, s19, s3
	s_add_i32 s16, s17, s16
	s_add_i32 s29, s16, s19
	s_lshr_b32 s16, s3, 31
	s_mul_i32 s28, s18, s3
	s_add_i32 s3, s3, s16
	s_ashr_i32 s22, s3, 1
	s_mul_i32 s3, s22, s23
	v_cmp_gt_i32_e32 vcc, s3, v0
	s_and_saveexec_b64 s[16:17], vcc
	s_cbranch_execz .LBB105_4
; %bb.2:
	s_load_dwordx2 s[30:31], s[0:1], 0x8
	s_load_dword s34, s[0:1], 0x8c
	s_lshl_b64 s[18:19], s[28:29], 1
	s_add_u32 s18, s24, s18
	s_mul_i32 s5, s2, s5
	s_mul_hi_u32 s33, s2, s4
	s_addc_u32 s19, s25, s19
	s_add_i32 s5, s33, s5
	s_mul_i32 s4, s2, s4
	s_ashr_i32 s23, s22, 31
	s_lshl_b64 s[4:5], s[4:5], 1
	s_waitcnt lgkmcnt(0)
	s_add_u32 s30, s30, s4
	s_addc_u32 s31, s31, s5
	s_abs_i32 s33, s22
	v_cvt_f32_u32_e32 v1, s33
	s_sub_i32 s4, 0, s33
	s_and_b32 s36, s34, 0xffff
	s_sub_i32 s37, 0, s22
	v_rcp_iflag_f32_e32 v1, v1
	s_lshl_b32 s39, s36, 1
	s_mov_b64 s[34:35], 0
	s_movk_i32 s40, 0x7fff
	v_mul_f32_e32 v1, 0x4f7ffffe, v1
	v_cvt_u32_f32_e32 v1, v1
	v_mov_b32_e32 v5, 0x7fc0
	s_mov_b32 s41, 0x5040100
	v_mov_b32_e32 v4, v2
	v_mul_lo_u32 v3, s4, v1
	v_mul_hi_u32 v3, v1, v3
	s_lshl_b32 s4, s22, 1
	v_add_u32_e32 v1, v1, v3
	s_sub_i32 s38, 0, s4
	v_mov_b32_e32 v3, 0x7fc00000
	v_mov_b32_e32 v6, v0
.LBB105_3:                              ; =>This Inner Loop Header: Depth=1
	v_sub_u32_e32 v8, 0, v6
	v_max_i32_e32 v8, v6, v8
	v_mul_hi_u32 v9, v8, v1
	v_mul_lo_u32 v10, v9, s33
	v_sub_u32_e32 v8, v8, v10
	v_add_u32_e32 v11, 1, v9
	v_cmp_le_u32_e32 vcc, s33, v8
	v_subrev_u32_e32 v10, s33, v8
	v_ashrrev_i32_e32 v7, 31, v6
	v_cndmask_b32_e32 v9, v9, v11, vcc
	v_cndmask_b32_e32 v8, v8, v10, vcc
	v_add_u32_e32 v10, 1, v9
	v_cmp_le_u32_e32 vcc, s33, v8
	v_xor_b32_e32 v7, s23, v7
	s_nop 0
	v_cndmask_b32_e32 v8, v9, v10, vcc
	v_xor_b32_e32 v8, v8, v7
	v_sub_u32_e32 v7, v8, v7
	v_mad_u64_u32 v[8:9], s[4:5], s37, v7, v[6:7]
	v_ashrrev_i32_e32 v14, 31, v7
	v_ashrrev_i32_e32 v9, 31, v8
	v_mul_lo_u32 v15, v7, s7
	v_mad_u64_u32 v[10:11], s[4:5], v7, s6, 0
	v_mad_u64_u32 v[12:13], s[4:5], s38, v7, v[4:5]
	v_mul_lo_u32 v7, v14, s6
	v_lshl_add_u64 v[8:9], v[8:9], 1, s[18:19]
	v_add3_u32 v11, v11, v15, v7
	v_lshl_add_u64 v[14:15], s[22:23], 1, v[8:9]
	global_load_ushort v7, v[8:9], off
	global_load_ushort v16, v[14:15], off
	v_ashrrev_i32_e32 v13, 31, v12
	v_lshl_add_u64 v[10:11], v[10:11], 1, s[30:31]
	v_lshl_add_u64 v[8:9], v[12:13], 1, v[10:11]
	global_load_dword v10, v[8:9], off
	v_add_u32_e32 v6, s36, v6
	v_cmp_le_i32_e32 vcc, s3, v6
	s_or_b64 s[34:35], vcc, s[34:35]
	v_add_u32_e32 v4, s39, v4
	s_waitcnt vmcnt(2)
	v_cvt_f32_f16_e32 v12, v7
	s_waitcnt vmcnt(1)
	v_cvt_f32_f16_e32 v13, v16
	v_cmp_o_f16_e32 vcc, v7, v7
	v_bfe_u32 v14, v12, 16, 1
	v_add3_u32 v12, v12, v14, s40
	v_bfe_u32 v14, v13, 16, 1
	v_and_b32_e32 v12, 0xffff0000, v12
	s_waitcnt vmcnt(0)
	v_and_b32_e32 v11, 0xffff0000, v10
	v_lshlrev_b32_e32 v10, 16, v10
	v_add3_u32 v13, v13, v14, s40
	v_cndmask_b32_e32 v12, v3, v12, vcc
	v_and_b32_e32 v7, 0xffff0000, v13
	v_cmp_o_f16_e32 vcc, v16, v16
	v_pk_mul_f32 v[12:13], v[12:13], v[10:11] op_sel_hi:[0,1]
	v_bfe_u32 v15, v13, 16, 1
	v_cndmask_b32_e32 v14, v3, v7, vcc
	v_bfe_u32 v7, v12, 16, 1
	v_pk_mul_f32 v[10:11], v[14:15], v[10:11] op_sel_hi:[0,1]
	v_add3_u32 v14, v13, v15, s40
	v_add3_u32 v7, v12, v7, s40
	v_bfe_u32 v15, v11, 16, 1
	v_bfe_u32 v16, v10, 16, 1
	v_and_b32_e32 v7, 0xffff0000, v7
	v_and_b32_e32 v14, 0xffff0000, v14
	v_add3_u32 v16, v10, v16, s40
	v_add3_u32 v15, v11, v15, s40
	v_cmp_o_f32_e32 vcc, v12, v12
	v_cmp_o_f32_e64 s[4:5], v13, v13
	v_and_b32_e32 v15, 0xffff0000, v15
	v_and_b32_e32 v16, 0xffff0000, v16
	v_cndmask_b32_e64 v13, v3, v14, s[4:5]
	v_cndmask_b32_e32 v12, v3, v7, vcc
	v_cmp_o_f32_e32 vcc, v11, v11
	v_cmp_o_f32_e64 s[4:5], v10, v10
	s_nop 0
	v_cndmask_b32_e32 v10, v3, v15, vcc
	v_cndmask_b32_e64 v11, v3, v16, s[4:5]
	v_pk_add_f32 v[14:15], v[12:13], v[10:11] neg_lo:[0,1] neg_hi:[0,1]
	v_pk_add_f32 v[10:11], v[12:13], v[10:11]
	v_bfe_u32 v7, v14, 16, 1
	v_bfe_u32 v10, v11, 16, 1
	v_add3_u32 v10, v11, v10, s40
	v_add3_u32 v7, v14, v7, s40
	v_lshrrev_b32_e32 v7, 16, v7
	v_lshrrev_b32_e32 v10, 16, v10
	v_cmp_o_f32_e32 vcc, v11, v11
	v_cmp_o_f32_e64 s[4:5], v14, v14
	s_nop 0
	v_cndmask_b32_e32 v10, v5, v10, vcc
	v_cndmask_b32_e64 v7, v5, v7, s[4:5]
	v_perm_b32 v7, v10, v7, s41
	global_store_dword v[8:9], v7, off
	s_andn2_b64 exec, exec, s[34:35]
	s_cbranch_execnz .LBB105_3
.LBB105_4:
	s_or_b64 exec, exec, s[16:17]
	s_load_dwordx4 s[16:19], s[0:1], 0x68
	s_waitcnt lgkmcnt(0)
	s_ashr_i32 s7, s19, 31
	s_mov_b32 s6, s19
	s_or_b64 s[4:5], s[26:27], s[6:7]
	s_mov_b32 s4, 0
	s_cmp_lg_u64 s[4:5], 0
	s_cbranch_scc0 .LBB105_14
; %bb.5:
	s_add_u32 s4, s6, s7
	s_mov_b32 s30, s7
	s_mov_b32 s31, s7
	s_addc_u32 s5, s7, s7
	s_xor_b64 s[36:37], s[4:5], s[30:31]
	v_cvt_f32_u32_e32 v1, s36
	v_cvt_f32_u32_e32 v3, s37
	s_sub_u32 s3, 0, s36
	s_subb_u32 s4, 0, s37
	v_fmamk_f32 v1, v3, 0x4f800000, v1
	v_rcp_f32_e32 v1, v1
	s_nop 0
	v_mul_f32_e32 v1, 0x5f7ffffc, v1
	v_mul_f32_e32 v3, 0x2f800000, v1
	v_trunc_f32_e32 v3, v3
	v_fmamk_f32 v1, v3, 0xcf800000, v1
	v_cvt_u32_f32_e32 v3, v3
	v_cvt_u32_f32_e32 v1, v1
	v_readfirstlane_b32 s5, v3
	v_readfirstlane_b32 s19, v1
	s_mul_i32 s23, s3, s5
	s_mul_hi_u32 s38, s3, s19
	s_mul_i32 s33, s4, s19
	s_add_i32 s23, s38, s23
	s_add_i32 s23, s23, s33
	s_mul_i32 s39, s3, s19
	s_mul_hi_u32 s33, s19, s23
	s_mul_i32 s38, s19, s23
	s_mul_hi_u32 s19, s19, s39
	s_add_u32 s19, s19, s38
	s_addc_u32 s33, 0, s33
	s_mul_hi_u32 s40, s5, s39
	s_mul_i32 s39, s5, s39
	s_add_u32 s19, s19, s39
	s_mul_hi_u32 s38, s5, s23
	s_addc_u32 s19, s33, s40
	s_addc_u32 s33, s38, 0
	s_mul_i32 s23, s5, s23
	s_add_u32 s19, s19, s23
	s_addc_u32 s23, 0, s33
	v_add_co_u32_e32 v1, vcc, s19, v1
	s_cmp_lg_u64 vcc, 0
	s_addc_u32 s5, s5, s23
	v_readfirstlane_b32 s23, v1
	s_mul_i32 s19, s3, s5
	s_mul_hi_u32 s33, s3, s23
	s_add_i32 s19, s33, s19
	s_mul_i32 s4, s4, s23
	s_add_i32 s19, s19, s4
	s_mul_i32 s3, s3, s23
	s_mul_hi_u32 s33, s5, s3
	s_mul_i32 s38, s5, s3
	s_mul_i32 s40, s23, s19
	s_mul_hi_u32 s3, s23, s3
	s_mul_hi_u32 s39, s23, s19
	s_add_u32 s3, s3, s40
	s_addc_u32 s23, 0, s39
	s_add_u32 s3, s3, s38
	s_mul_hi_u32 s4, s5, s19
	s_addc_u32 s3, s23, s33
	s_addc_u32 s4, s4, 0
	s_mul_i32 s19, s5, s19
	s_add_u32 s3, s3, s19
	s_addc_u32 s4, 0, s4
	v_add_co_u32_e32 v1, vcc, s3, v1
	s_cmp_lg_u64 vcc, 0
	s_addc_u32 s3, s5, s4
	s_ashr_i32 s38, s27, 31
	s_add_u32 s4, s26, s38
	s_mov_b32 s39, s38
	s_addc_u32 s5, s27, s38
	s_xor_b64 s[40:41], s[4:5], s[38:39]
	v_readfirstlane_b32 s19, v1
	s_mul_i32 s5, s40, s3
	s_mul_hi_u32 s23, s40, s19
	s_mul_hi_u32 s4, s40, s3
	s_add_u32 s5, s23, s5
	s_addc_u32 s4, 0, s4
	s_mul_hi_u32 s33, s41, s19
	s_mul_i32 s19, s41, s19
	s_add_u32 s5, s5, s19
	s_mul_hi_u32 s23, s41, s3
	s_addc_u32 s4, s4, s33
	s_addc_u32 s5, s23, 0
	s_mul_i32 s3, s41, s3
	s_add_u32 s3, s4, s3
	s_addc_u32 s19, 0, s5
	s_mul_i32 s4, s36, s19
	s_mul_hi_u32 s5, s36, s3
	s_add_i32 s4, s5, s4
	s_mul_i32 s5, s37, s3
	s_add_i32 s23, s4, s5
	s_mul_i32 s5, s36, s3
	v_mov_b32_e32 v1, s5
	s_sub_i32 s4, s41, s23
	v_sub_co_u32_e32 v1, vcc, s40, v1
	s_cmp_lg_u64 vcc, 0
	s_subb_u32 s33, s4, s37
	v_subrev_co_u32_e64 v3, s[4:5], s36, v1
	s_cmp_lg_u64 s[4:5], 0
	s_subb_u32 s4, s33, 0
	s_cmp_ge_u32 s4, s37
	v_readfirstlane_b32 s33, v3
	s_cselect_b32 s5, -1, 0
	s_cmp_ge_u32 s33, s36
	s_cselect_b32 s33, -1, 0
	s_cmp_eq_u32 s4, s37
	s_cselect_b32 s4, s33, s5
	s_add_u32 s5, s3, 1
	s_addc_u32 s33, s19, 0
	s_add_u32 s40, s3, 2
	s_addc_u32 s42, s19, 0
	s_cmp_lg_u32 s4, 0
	s_cselect_b32 s4, s40, s5
	s_cselect_b32 s5, s42, s33
	s_cmp_lg_u64 vcc, 0
	s_subb_u32 s23, s41, s23
	s_cmp_ge_u32 s23, s37
	v_readfirstlane_b32 s40, v1
	s_cselect_b32 s33, -1, 0
	s_cmp_ge_u32 s40, s36
	s_cselect_b32 s36, -1, 0
	s_cmp_eq_u32 s23, s37
	s_cselect_b32 s23, s36, s33
	s_cmp_lg_u32 s23, 0
	s_cselect_b32 s5, s5, s19
	s_cselect_b32 s4, s4, s3
	s_xor_b64 s[30:31], s[38:39], s[30:31]
	s_xor_b64 s[4:5], s[4:5], s[30:31]
	s_sub_u32 s30, s4, s30
	s_subb_u32 s31, s5, s31
	s_cbranch_execnz .LBB105_7
.LBB105_6:
	v_cvt_f32_u32_e32 v1, s6
	s_sub_i32 s3, 0, s6
	s_mov_b32 s31, 0
	v_rcp_iflag_f32_e32 v1, v1
	s_nop 0
	v_mul_f32_e32 v1, 0x4f7ffffe, v1
	v_cvt_u32_f32_e32 v1, v1
	s_nop 0
	v_readfirstlane_b32 s4, v1
	s_mul_i32 s3, s3, s4
	s_mul_hi_u32 s3, s4, s3
	s_add_i32 s4, s4, s3
	s_mul_hi_u32 s3, s26, s4
	s_mul_i32 s5, s3, s6
	s_sub_i32 s5, s26, s5
	s_add_i32 s4, s3, 1
	s_sub_i32 s19, s5, s6
	s_cmp_ge_u32 s5, s6
	s_cselect_b32 s3, s4, s3
	s_cselect_b32 s5, s19, s5
	s_add_i32 s4, s3, 1
	s_cmp_ge_u32 s5, s6
	s_cselect_b32 s30, s4, s3
.LBB105_7:
	s_mul_i32 s3, s30, s7
	s_mul_hi_u32 s4, s30, s6
	s_load_dwordx2 s[34:35], s[0:1], 0x78
	s_add_i32 s3, s4, s3
	s_mul_i32 s4, s31, s6
	s_add_i32 s3, s3, s4
	s_mul_i32 s4, s30, s6
	s_sub_u32 s33, s26, s4
	s_subb_u32 s19, s27, s3
	v_cmp_gt_i32_e32 vcc, s22, v0
	s_mul_hi_u32 s37, s30, s16
	s_mul_i32 s38, s31, s16
	s_mul_i32 s39, s30, s16
	s_mul_hi_u32 s36, s33, s17
	s_mul_i32 s19, s19, s17
	s_mul_i32 s31, s33, s17
	s_and_saveexec_b64 s[26:27], vcc
	s_cbranch_execz .LBB105_10
; %bb.8:
	s_ashr_i32 s3, s16, 31
	s_mul_i32 s3, s30, s3
	s_load_dword s4, s[0:1], 0x8c
	s_add_i32 s3, s37, s3
	s_add_i32 s6, s3, s38
	s_ashr_i32 s3, s17, 31
	s_mul_i32 s3, s33, s3
	s_add_i32 s3, s36, s3
	s_ashr_i32 s23, s22, 31
	s_add_i32 s7, s3, s19
	s_ashr_i32 s42, s18, 31
	s_waitcnt lgkmcnt(0)
	s_and_b32 s40, s4, 0xffff
	s_lshl_b64 s[4:5], s[28:29], 1
	s_add_u32 s4, s24, s4
	v_mov_b32_e32 v3, 0
	s_addc_u32 s5, s25, s5
	v_lshl_add_u64 v[4:5], s[4:5], 0, v[2:3]
	s_mul_i32 s4, s9, s2
	s_mul_hi_u32 s5, s8, s2
	s_add_i32 s5, s5, s4
	s_mul_i32 s4, s8, s2
	s_lshl_b32 s41, s40, 1
	s_lshl_b64 s[4:5], s[4:5], 1
	s_add_u32 s4, s12, s4
	v_lshlrev_b32_e32 v8, 2, v0
	v_mov_b32_e32 v9, v3
	s_addc_u32 s5, s13, s5
	s_lshl_b32 s28, s40, 2
	v_lshl_add_u64 v[8:9], s[4:5], 0, v[8:9]
	s_add_u32 s4, s39, s31
	s_addc_u32 s5, s6, s7
	s_load_dword s3, s[34:35], 0x0
	s_add_u32 s6, s20, s18
	s_addc_u32 s7, s21, s42
	s_add_u32 s4, s6, s4
	s_addc_u32 s5, s7, s5
	s_mov_b32 s29, 0
	v_lshl_add_u64 v[6:7], s[22:23], 1, v[4:5]
	v_lshl_add_u64 v[2:3], s[4:5], 0, v[2:3]
	s_mov_b64 s[12:13], 0
	s_movk_i32 s23, 0x7fff
	v_mov_b32_e32 v1, 0x7fc00000
	v_mov_b32_e32 v10, 0x7fc0
	s_mov_b32 s42, 0x5040100
	s_mov_b32 s43, 0x7f800000
	;; [unrolled: 1-line block ×3, first 2 shown]
	v_mov_b32_e32 v11, 0xc3700000
	s_mov_b64 s[24:25], 0
	v_mov_b32_e32 v12, v0
.LBB105_9:                              ; =>This Inner Loop Header: Depth=1
	v_lshl_add_u64 v[14:15], v[4:5], 0, s[24:25]
	v_lshl_add_u64 v[16:17], v[6:7], 0, s[24:25]
	global_load_ushort v13, v[14:15], off
	global_load_ushort v18, v[16:17], off
	global_load_dword v19, v[8:9], off
	v_lshl_add_u64 v[14:15], v[2:3], 0, s[24:25]
	v_add_u32_e32 v12, s40, v12
	s_add_u32 s24, s24, s41
	s_addc_u32 s25, s25, 0
	v_cmp_le_i32_e32 vcc, s22, v12
	s_or_b64 s[12:13], vcc, s[12:13]
	v_mov_b32_e32 v23, 0
	v_mov_b32_e32 v22, 0
	s_waitcnt vmcnt(2)
	v_cmp_o_f16_e64 s[4:5], v13, v13
	s_waitcnt vmcnt(1)
	v_cvt_f32_f16_e32 v20, v18
	s_waitcnt vmcnt(0)
	v_and_b32_e32 v17, 0xffff0000, v19
	v_lshlrev_b32_e32 v16, 16, v19
	v_cvt_f32_f16_e32 v19, v13
	v_bfe_u32 v24, v20, 16, 1
	v_add3_u32 v20, v20, v24, s23
	v_and_b32_e32 v20, 0xffff0000, v20
	v_bfe_u32 v21, v19, 16, 1
	v_add3_u32 v19, v19, v21, s23
	v_and_b32_e32 v19, 0xffff0000, v19
	v_cmp_o_f16_e32 vcc, v18, v18
	v_cndmask_b32_e64 v18, v1, v19, s[4:5]
	v_pk_mul_f32 v[18:19], v[18:19], v[16:17] op_sel_hi:[0,1]
	v_cndmask_b32_e32 v20, v1, v20, vcc
	v_pk_mul_f32 v[16:17], v[20:21], v[16:17] op_sel_hi:[0,1]
	v_bfe_u32 v13, v18, 16, 1
	v_bfe_u32 v20, v19, 16, 1
	;; [unrolled: 1-line block ×4, first 2 shown]
	v_add3_u32 v20, v19, v20, s23
	v_add3_u32 v13, v18, v13, s23
	;; [unrolled: 1-line block ×4, first 2 shown]
	v_and_b32_e32 v13, 0xffff0000, v13
	v_and_b32_e32 v20, 0xffff0000, v20
	;; [unrolled: 1-line block ×4, first 2 shown]
	v_cmp_o_f32_e32 vcc, v18, v18
	v_cmp_o_f32_e64 s[4:5], v16, v16
	v_cmp_o_f32_e64 s[6:7], v17, v17
	;; [unrolled: 1-line block ×3, first 2 shown]
	v_cndmask_b32_e32 v16, v1, v13, vcc
	v_cndmask_b32_e64 v19, v1, v24, s[4:5]
	v_cndmask_b32_e64 v17, v1, v20, s[8:9]
	;; [unrolled: 1-line block ×3, first 2 shown]
	v_pk_add_f32 v[20:21], v[16:17], v[18:19] neg_lo:[0,1] neg_hi:[0,1]
	v_pk_add_f32 v[16:17], v[16:17], v[18:19]
	v_bfe_u32 v13, v20, 16, 1
	v_bfe_u32 v16, v17, 16, 1
	v_add3_u32 v16, v17, v16, s23
	v_add3_u32 v13, v20, v13, s23
	v_lshrrev_b32_e32 v13, 16, v13
	v_lshrrev_b32_e32 v16, 16, v16
	v_cmp_o_f32_e32 vcc, v17, v17
	v_cmp_o_f32_e64 s[4:5], v20, v20
	s_nop 0
	v_cndmask_b32_e32 v16, v10, v16, vcc
	v_cndmask_b32_e64 v13, v10, v13, s[4:5]
	v_perm_b32 v17, v16, v13, s42
	v_lshlrev_b32_e32 v13, 16, v13
	v_lshlrev_b32_e32 v16, 16, v16
	s_waitcnt lgkmcnt(0)
	v_div_scale_f32 v18, s[4:5], s3, s3, v13
	v_div_scale_f32 v20, s[4:5], s3, s3, v16
	v_rcp_f32_e32 v24, v18
	v_rcp_f32_e32 v25, v20
	v_div_scale_f32 v19, vcc, v13, s3, v13
	v_fma_f32 v26, -v18, v24, 1.0
	v_fma_f32 v27, -v20, v25, 1.0
	v_fmac_f32_e32 v24, v26, v24
	v_div_scale_f32 v21, s[4:5], v16, s3, v16
	v_fmac_f32_e32 v25, v27, v25
	v_mul_f32_e32 v26, v19, v24
	v_mul_f32_e32 v27, v21, v25
	v_fma_f32 v28, -v18, v26, v19
	v_fma_f32 v29, -v20, v27, v21
	v_fmac_f32_e32 v26, v28, v24
	v_fmac_f32_e32 v27, v29, v25
	v_fma_f32 v18, -v18, v26, v19
	v_fma_f32 v19, -v20, v27, v21
	v_div_fmas_f32 v18, v18, v24, v26
	s_mov_b64 vcc, s[4:5]
	v_div_fixup_f32 v13, v18, s3, v13
	v_div_fmas_f32 v18, v19, v25, v27
	v_med3_f32 v19, v13, s44, v11
	v_div_fixup_f32 v16, v18, s3, v16
	v_cmp_nlg_f32_e64 vcc, |v13|, s43
	v_med3_f32 v18, v16, s44, v11
	global_store_dword v[8:9], v17, off
	v_cndmask_b32_e32 v13, v19, v13, vcc
	v_cmp_nlg_f32_e64 vcc, |v16|, s43
	v_cvt_pk_fp8_f32 v22, v13, v13
	v_lshl_add_u64 v[8:9], v[8:9], 0, s[28:29]
	v_cndmask_b32_e32 v16, v18, v16, vcc
	v_cvt_pk_fp8_f32 v23, v16, v16
	v_lshlrev_b16_e32 v13, 8, v23
	v_or_b32_sdwa v13, v22, v13 dst_sel:DWORD dst_unused:UNUSED_PAD src0_sel:BYTE_0 src1_sel:DWORD
	global_store_short v[14:15], v13, off
	s_andn2_b64 exec, exec, s[12:13]
	s_cbranch_execnz .LBB105_9
.LBB105_10:
	s_or_b64 exec, exec, s[26:27]
	v_cmp_gt_i32_e32 vcc, s18, v0
	s_and_saveexec_b64 s[4:5], vcc
	s_cbranch_execz .LBB105_13
; %bb.11:
	s_mul_i32 s3, s2, s11
	s_mul_hi_u32 s4, s2, s10
	s_add_i32 s3, s4, s3
	s_mul_i32 s2, s2, s10
	s_lshl_b64 s[2:3], s[2:3], 1
	s_add_u32 s2, s14, s2
	s_addc_u32 s3, s15, s3
	s_ashr_i32 s4, s16, 31
	s_mul_i32 s4, s30, s4
	s_add_i32 s4, s37, s4
	s_add_i32 s4, s4, s38
	s_add_u32 s5, s20, s39
	s_addc_u32 s4, s21, s4
	s_ashr_i32 s6, s17, 31
	s_mul_i32 s33, s33, s6
	s_add_i32 s6, s36, s33
	s_add_i32 s6, s6, s19
	s_load_dword s7, s[0:1], 0x8c
	s_add_u32 s0, s5, s31
	s_addc_u32 s1, s4, s6
	s_waitcnt lgkmcnt(0)
	s_load_dword s6, s[34:35], 0x0
	s_mov_b64 s[4:5], 0
	s_and_b32 s7, s7, 0xffff
	s_mov_b32 s8, 0x7f800000
	s_mov_b32 s9, 0x43700000
	v_mov_b32_e32 v2, 0xc3700000
.LBB105_12:                             ; =>This Inner Loop Header: Depth=1
	v_ashrrev_i32_e32 v1, 31, v0
	v_lshl_add_u64 v[4:5], v[0:1], 1, s[2:3]
	global_load_ushort v3, v[4:5], off
	v_mov_b32_e32 v6, 0
	s_waitcnt vmcnt(0)
	v_lshlrev_b32_e32 v3, 16, v3
	s_waitcnt lgkmcnt(0)
	v_div_scale_f32 v4, s[10:11], s6, s6, v3
	v_rcp_f32_e32 v5, v4
	v_div_scale_f32 v7, vcc, v3, s6, v3
	v_fma_f32 v8, -v4, v5, 1.0
	v_fmac_f32_e32 v5, v8, v5
	v_mul_f32_e32 v8, v7, v5
	v_fma_f32 v9, -v4, v8, v7
	v_fmac_f32_e32 v8, v9, v5
	v_fma_f32 v4, -v4, v8, v7
	v_div_fmas_f32 v4, v4, v5, v8
	v_div_fixup_f32 v3, v4, s6, v3
	v_med3_f32 v4, v3, s9, v2
	v_cmp_nlg_f32_e64 vcc, |v3|, s8
	s_nop 1
	v_cndmask_b32_e32 v3, v4, v3, vcc
	v_cvt_pk_fp8_f32 v6, v3, v3
	v_lshl_add_u64 v[4:5], s[0:1], 0, v[0:1]
	v_add_u32_e32 v0, s7, v0
	v_cmp_le_i32_e32 vcc, s18, v0
	s_or_b64 s[4:5], vcc, s[4:5]
	global_store_byte v[4:5], v6, off
	s_andn2_b64 exec, exec, s[4:5]
	s_cbranch_execnz .LBB105_12
.LBB105_13:
	s_endpgm
.LBB105_14:
                                        ; implicit-def: $sgpr30_sgpr31
	s_branch .LBB105_6
	.section	.rodata,"a",@progbits
	.p2align	6, 0x0
	.amdhsa_kernel _ZN4vllm38concat_and_cache_mla_rope_fused_kernelIN3c108BFloat16ENS1_4HalfELb0E14__hip_bfloat16hLNS_18Fp8KVCacheDataTypeE1EEEvPKlPT_S9_PKS8_PKT0_illlliPT3_S7_iiiiPKf
		.amdhsa_group_segment_fixed_size 0
		.amdhsa_private_segment_fixed_size 0
		.amdhsa_kernarg_size 384
		.amdhsa_user_sgpr_count 2
		.amdhsa_user_sgpr_dispatch_ptr 0
		.amdhsa_user_sgpr_queue_ptr 0
		.amdhsa_user_sgpr_kernarg_segment_ptr 1
		.amdhsa_user_sgpr_dispatch_id 0
		.amdhsa_user_sgpr_kernarg_preload_length 0
		.amdhsa_user_sgpr_kernarg_preload_offset 0
		.amdhsa_user_sgpr_private_segment_size 0
		.amdhsa_uses_dynamic_stack 0
		.amdhsa_enable_private_segment 0
		.amdhsa_system_sgpr_workgroup_id_x 1
		.amdhsa_system_sgpr_workgroup_id_y 0
		.amdhsa_system_sgpr_workgroup_id_z 0
		.amdhsa_system_sgpr_workgroup_info 0
		.amdhsa_system_vgpr_workitem_id 0
		.amdhsa_next_free_vgpr 30
		.amdhsa_next_free_sgpr 45
		.amdhsa_accum_offset 32
		.amdhsa_reserve_vcc 1
		.amdhsa_float_round_mode_32 0
		.amdhsa_float_round_mode_16_64 0
		.amdhsa_float_denorm_mode_32 3
		.amdhsa_float_denorm_mode_16_64 3
		.amdhsa_dx10_clamp 1
		.amdhsa_ieee_mode 1
		.amdhsa_fp16_overflow 0
		.amdhsa_tg_split 0
		.amdhsa_exception_fp_ieee_invalid_op 0
		.amdhsa_exception_fp_denorm_src 0
		.amdhsa_exception_fp_ieee_div_zero 0
		.amdhsa_exception_fp_ieee_overflow 0
		.amdhsa_exception_fp_ieee_underflow 0
		.amdhsa_exception_fp_ieee_inexact 0
		.amdhsa_exception_int_div_zero 0
	.end_amdhsa_kernel
	.section	.text._ZN4vllm38concat_and_cache_mla_rope_fused_kernelIN3c108BFloat16ENS1_4HalfELb0E14__hip_bfloat16hLNS_18Fp8KVCacheDataTypeE1EEEvPKlPT_S9_PKS8_PKT0_illlliPT3_S7_iiiiPKf,"axG",@progbits,_ZN4vllm38concat_and_cache_mla_rope_fused_kernelIN3c108BFloat16ENS1_4HalfELb0E14__hip_bfloat16hLNS_18Fp8KVCacheDataTypeE1EEEvPKlPT_S9_PKS8_PKT0_illlliPT3_S7_iiiiPKf,comdat
.Lfunc_end105:
	.size	_ZN4vllm38concat_and_cache_mla_rope_fused_kernelIN3c108BFloat16ENS1_4HalfELb0E14__hip_bfloat16hLNS_18Fp8KVCacheDataTypeE1EEEvPKlPT_S9_PKS8_PKT0_illlliPT3_S7_iiiiPKf, .Lfunc_end105-_ZN4vllm38concat_and_cache_mla_rope_fused_kernelIN3c108BFloat16ENS1_4HalfELb0E14__hip_bfloat16hLNS_18Fp8KVCacheDataTypeE1EEEvPKlPT_S9_PKS8_PKT0_illlliPT3_S7_iiiiPKf
                                        ; -- End function
	.section	.AMDGPU.csdata,"",@progbits
; Kernel info:
; codeLenInByte = 2996
; NumSgprs: 51
; NumVgprs: 30
; NumAgprs: 0
; TotalNumVgprs: 30
; ScratchSize: 0
; MemoryBound: 0
; FloatMode: 240
; IeeeMode: 1
; LDSByteSize: 0 bytes/workgroup (compile time only)
; SGPRBlocks: 6
; VGPRBlocks: 3
; NumSGPRsForWavesPerEU: 51
; NumVGPRsForWavesPerEU: 30
; AccumOffset: 32
; Occupancy: 8
; WaveLimiterHint : 1
; COMPUTE_PGM_RSRC2:SCRATCH_EN: 0
; COMPUTE_PGM_RSRC2:USER_SGPR: 2
; COMPUTE_PGM_RSRC2:TRAP_HANDLER: 0
; COMPUTE_PGM_RSRC2:TGID_X_EN: 1
; COMPUTE_PGM_RSRC2:TGID_Y_EN: 0
; COMPUTE_PGM_RSRC2:TGID_Z_EN: 0
; COMPUTE_PGM_RSRC2:TIDIG_COMP_CNT: 0
; COMPUTE_PGM_RSRC3_GFX90A:ACCUM_OFFSET: 7
; COMPUTE_PGM_RSRC3_GFX90A:TG_SPLIT: 0
	.section	.text._ZN4vllm38concat_and_cache_mla_rope_fused_kernelIN3c108BFloat16ES2_Lb1E14__hip_bfloat16hLNS_18Fp8KVCacheDataTypeE1EEEvPKlPT_S8_PKS7_PKT0_illlliPT3_S6_iiiiPKf,"axG",@progbits,_ZN4vllm38concat_and_cache_mla_rope_fused_kernelIN3c108BFloat16ES2_Lb1E14__hip_bfloat16hLNS_18Fp8KVCacheDataTypeE1EEEvPKlPT_S8_PKS7_PKT0_illlliPT3_S6_iiiiPKf,comdat
	.protected	_ZN4vllm38concat_and_cache_mla_rope_fused_kernelIN3c108BFloat16ES2_Lb1E14__hip_bfloat16hLNS_18Fp8KVCacheDataTypeE1EEEvPKlPT_S8_PKS7_PKT0_illlliPT3_S6_iiiiPKf ; -- Begin function _ZN4vllm38concat_and_cache_mla_rope_fused_kernelIN3c108BFloat16ES2_Lb1E14__hip_bfloat16hLNS_18Fp8KVCacheDataTypeE1EEEvPKlPT_S8_PKS7_PKT0_illlliPT3_S6_iiiiPKf
	.globl	_ZN4vllm38concat_and_cache_mla_rope_fused_kernelIN3c108BFloat16ES2_Lb1E14__hip_bfloat16hLNS_18Fp8KVCacheDataTypeE1EEEvPKlPT_S8_PKS7_PKT0_illlliPT3_S6_iiiiPKf
	.p2align	8
	.type	_ZN4vllm38concat_and_cache_mla_rope_fused_kernelIN3c108BFloat16ES2_Lb1E14__hip_bfloat16hLNS_18Fp8KVCacheDataTypeE1EEEvPKlPT_S8_PKS7_PKT0_illlliPT3_S6_iiiiPKf,@function
_ZN4vllm38concat_and_cache_mla_rope_fused_kernelIN3c108BFloat16ES2_Lb1E14__hip_bfloat16hLNS_18Fp8KVCacheDataTypeE1EEEvPKlPT_S8_PKS7_PKT0_illlliPT3_S6_iiiiPKf: ; @_ZN4vllm38concat_and_cache_mla_rope_fused_kernelIN3c108BFloat16ES2_Lb1E14__hip_bfloat16hLNS_18Fp8KVCacheDataTypeE1EEEvPKlPT_S8_PKS7_PKT0_illlliPT3_S6_iiiiPKf
; %bb.0:
	s_load_dwordx2 s[6:7], s[0:1], 0x60
	s_mov_b32 s3, 0
	s_lshl_b64 s[4:5], s[2:3], 3
	s_waitcnt lgkmcnt(0)
	s_add_u32 s6, s6, s4
	s_addc_u32 s7, s7, s5
	s_load_dwordx2 s[30:31], s[6:7], 0x0
	s_waitcnt lgkmcnt(0)
	v_cmp_lt_i64_e64 s[6:7], s[30:31], 0
	s_and_b64 vcc, exec, s[6:7]
	s_cbranch_vccnz .LBB106_13
; %bb.1:
	s_load_dword s3, s[0:1], 0x28
	s_load_dwordx2 s[6:7], s[0:1], 0x0
	s_load_dwordx4 s[16:19], s[0:1], 0x10
	s_waitcnt lgkmcnt(0)
	s_ashr_i32 s22, s3, 31
	s_add_u32 s4, s6, s4
	s_addc_u32 s5, s7, s5
	s_load_dwordx2 s[6:7], s[4:5], 0x0
	s_load_dwordx2 s[26:27], s[0:1], 0x20
	s_load_dwordx8 s[8:15], s[0:1], 0x30
	s_load_dwordx2 s[20:21], s[0:1], 0x58
	s_load_dword s25, s[0:1], 0x50
	s_waitcnt lgkmcnt(0)
	s_mul_i32 s4, s6, s22
	s_mul_hi_u32 s5, s6, s3
	s_mul_i32 s7, s7, s3
	s_add_i32 s4, s5, s4
	s_add_i32 s5, s4, s7
	s_mul_i32 s4, s6, s3
	s_lshl_b64 s[28:29], s[4:5], 1
	s_add_u32 s22, s26, s28
	s_addc_u32 s23, s27, s29
	s_lshr_b32 s4, s3, 31
	s_add_i32 s3, s3, s4
	s_ashr_i32 s24, s3, 1
	s_mul_i32 s3, s24, s25
	v_cmp_gt_i32_e32 vcc, s3, v0
	s_and_saveexec_b64 s[34:35], vcc
	s_cbranch_execz .LBB106_4
; %bb.2:
	s_load_dwordx2 s[4:5], s[0:1], 0x8
	s_mul_i32 s6, s2, s9
	s_mul_hi_u32 s7, s2, s8
	s_add_i32 s7, s7, s6
	s_mul_i32 s6, s2, s8
	s_load_dword s8, s[0:1], 0x8c
	s_ashr_i32 s25, s24, 31
	s_lshl_b64 s[6:7], s[6:7], 1
	s_waitcnt lgkmcnt(0)
	s_add_u32 s36, s4, s6
	s_addc_u32 s37, s5, s7
	s_abs_i32 s33, s24
	v_cvt_f32_u32_e32 v1, s33
	s_sub_i32 s4, 0, s33
	s_mov_b64 s[38:39], 0
	s_and_b32 s42, s8, 0xffff
	v_rcp_iflag_f32_e32 v1, v1
	s_sub_i32 s43, 0, s24
	s_lshl_b64 s[40:41], s[24:25], 1
	s_movk_i32 s44, 0x7fff
	v_mul_f32_e32 v1, 0x4f7ffffe, v1
	v_cvt_u32_f32_e32 v1, v1
	v_mov_b32_e32 v3, 0x7fc00000
	v_mov_b32_e32 v4, 0x7fc0
	v_mul_lo_u32 v2, s4, v1
	v_mul_hi_u32 v2, v1, v2
	v_add_u32_e32 v1, v1, v2
	v_mov_b32_e32 v2, v0
.LBB106_3:                              ; =>This Inner Loop Header: Depth=1
	v_sub_u32_e32 v6, 0, v2
	v_max_i32_e32 v6, v2, v6
	v_mul_hi_u32 v7, v6, v1
	v_mul_lo_u32 v8, v7, s33
	v_sub_u32_e32 v6, v6, v8
	v_add_u32_e32 v9, 1, v7
	v_cmp_le_u32_e32 vcc, s33, v6
	v_subrev_u32_e32 v8, s33, v6
	v_ashrrev_i32_e32 v5, 31, v2
	v_cndmask_b32_e32 v7, v7, v9, vcc
	v_cndmask_b32_e32 v6, v6, v8, vcc
	v_add_u32_e32 v8, 1, v7
	v_cmp_le_u32_e32 vcc, s33, v6
	v_xor_b32_e32 v5, s25, v5
	s_nop 0
	v_cndmask_b32_e32 v6, v7, v8, vcc
	v_xor_b32_e32 v6, v6, v5
	v_sub_u32_e32 v5, v6, v5
	v_mad_u64_u32 v[6:7], s[4:5], s43, v5, v[2:3]
	v_ashrrev_i32_e32 v10, 31, v5
	v_ashrrev_i32_e32 v7, 31, v6
	v_mul_lo_u32 v11, v5, s11
	v_mad_u64_u32 v[8:9], s[4:5], v5, s10, 0
	v_mul_lo_u32 v5, v10, s10
	v_lshlrev_b64 v[6:7], 1, v[6:7]
	v_add3_u32 v9, v9, v11, v5
	v_lshl_add_u64 v[10:11], s[22:23], 0, v[6:7]
	v_lshl_add_u64 v[8:9], v[8:9], 1, s[36:37]
	;; [unrolled: 1-line block ×4, first 2 shown]
	global_load_ushort v5, v[12:13], off
	global_load_ushort v14, v[10:11], off
	v_lshl_add_u64 v[8:9], v[6:7], 0, s[40:41]
	global_load_ushort v12, v[6:7], off
	global_load_ushort v13, v[8:9], off
	v_add_u32_e32 v2, s42, v2
	v_cmp_le_i32_e32 vcc, s3, v2
	s_or_b64 s[38:39], vcc, s[38:39]
	s_waitcnt vmcnt(3)
	v_lshlrev_b32_e32 v10, 16, v5
	s_waitcnt vmcnt(2)
	v_lshlrev_b32_e32 v11, 16, v14
	;; [unrolled: 2-line block ×4, first 2 shown]
	v_mov_b32_e32 v14, v11
	v_mov_b32_e32 v15, v10
	v_pk_mul_f32 v[14:15], v[14:15], v[12:13]
	v_pk_mul_f32 v[10:11], v[10:11], v[12:13]
	v_bfe_u32 v5, v14, 16, 1
	v_bfe_u32 v12, v15, 16, 1
	;; [unrolled: 1-line block ×4, first 2 shown]
	v_add3_u32 v12, v15, v12, s44
	v_add3_u32 v5, v14, v5, s44
	;; [unrolled: 1-line block ×4, first 2 shown]
	v_and_b32_e32 v5, 0xffff0000, v5
	v_and_b32_e32 v12, 0xffff0000, v12
	v_cmp_o_f32_e32 vcc, v14, v14
	v_cmp_o_f32_e64 s[8:9], v15, v15
	v_and_b32_e32 v13, 0xffff0000, v13
	v_and_b32_e32 v14, 0xffff0000, v16
	v_cmp_o_f32_e64 s[4:5], v11, v11
	v_cmp_o_f32_e64 s[6:7], v10, v10
	v_cndmask_b32_e64 v10, v3, v12, s[8:9]
	v_cndmask_b32_e32 v5, v3, v5, vcc
	v_cndmask_b32_e64 v11, v3, v14, s[4:5]
	v_cndmask_b32_e64 v12, v3, v13, s[6:7]
	v_sub_f32_e32 v5, v5, v10
	v_add_f32_e32 v10, v12, v11
	v_bfe_u32 v11, v5, 16, 1
	v_bfe_u32 v12, v10, 16, 1
	v_add3_u32 v11, v5, v11, s44
	v_add3_u32 v12, v10, v12, s44
	v_lshrrev_b32_e32 v11, 16, v11
	v_cmp_o_f32_e64 s[4:5], v5, v5
	v_lshrrev_b32_e32 v12, 16, v12
	v_cmp_o_f32_e32 vcc, v10, v10
	v_cndmask_b32_e64 v5, v4, v11, s[4:5]
	s_nop 0
	v_cndmask_b32_e32 v10, v4, v12, vcc
	global_store_short v[6:7], v5, off
	global_store_short v[8:9], v10, off
	s_andn2_b64 exec, exec, s[38:39]
	s_cbranch_execnz .LBB106_3
.LBB106_4:
	s_or_b64 exec, exec, s[34:35]
	s_load_dwordx4 s[8:11], s[0:1], 0x68
	s_waitcnt lgkmcnt(0)
	s_ashr_i32 s7, s11, 31
	s_mov_b32 s6, s11
	s_or_b64 s[4:5], s[30:31], s[6:7]
	s_mov_b32 s4, 0
	s_cmp_lg_u64 s[4:5], 0
	s_cbranch_scc0 .LBB106_14
; %bb.5:
	s_add_u32 s4, s6, s7
	s_mov_b32 s34, s7
	s_mov_b32 s35, s7
	s_addc_u32 s5, s7, s7
	s_xor_b64 s[38:39], s[4:5], s[34:35]
	v_cvt_f32_u32_e32 v1, s38
	v_cvt_f32_u32_e32 v2, s39
	s_sub_u32 s3, 0, s38
	s_subb_u32 s4, 0, s39
	v_fmamk_f32 v1, v2, 0x4f800000, v1
	v_rcp_f32_e32 v1, v1
	s_nop 0
	v_mul_f32_e32 v1, 0x5f7ffffc, v1
	v_mul_f32_e32 v2, 0x2f800000, v1
	v_trunc_f32_e32 v2, v2
	v_fmamk_f32 v1, v2, 0xcf800000, v1
	v_cvt_u32_f32_e32 v2, v2
	v_cvt_u32_f32_e32 v1, v1
	v_readfirstlane_b32 s5, v2
	v_readfirstlane_b32 s11, v1
	s_mul_i32 s25, s3, s5
	s_mul_hi_u32 s40, s3, s11
	s_mul_i32 s33, s4, s11
	s_add_i32 s25, s40, s25
	s_add_i32 s25, s25, s33
	s_mul_i32 s41, s3, s11
	s_mul_hi_u32 s33, s11, s25
	s_mul_i32 s40, s11, s25
	s_mul_hi_u32 s11, s11, s41
	s_add_u32 s11, s11, s40
	s_addc_u32 s33, 0, s33
	s_mul_hi_u32 s42, s5, s41
	s_mul_i32 s41, s5, s41
	s_add_u32 s11, s11, s41
	s_mul_hi_u32 s40, s5, s25
	s_addc_u32 s11, s33, s42
	s_addc_u32 s33, s40, 0
	s_mul_i32 s25, s5, s25
	s_add_u32 s11, s11, s25
	s_addc_u32 s25, 0, s33
	v_add_co_u32_e32 v1, vcc, s11, v1
	s_cmp_lg_u64 vcc, 0
	s_addc_u32 s5, s5, s25
	v_readfirstlane_b32 s25, v1
	s_mul_i32 s11, s3, s5
	s_mul_hi_u32 s33, s3, s25
	s_add_i32 s11, s33, s11
	s_mul_i32 s4, s4, s25
	s_add_i32 s11, s11, s4
	s_mul_i32 s3, s3, s25
	s_mul_hi_u32 s33, s5, s3
	s_mul_i32 s40, s5, s3
	s_mul_i32 s42, s25, s11
	s_mul_hi_u32 s3, s25, s3
	s_mul_hi_u32 s41, s25, s11
	s_add_u32 s3, s3, s42
	s_addc_u32 s25, 0, s41
	s_add_u32 s3, s3, s40
	s_mul_hi_u32 s4, s5, s11
	s_addc_u32 s3, s25, s33
	s_addc_u32 s4, s4, 0
	s_mul_i32 s11, s5, s11
	s_add_u32 s3, s3, s11
	s_addc_u32 s4, 0, s4
	v_add_co_u32_e32 v1, vcc, s3, v1
	s_cmp_lg_u64 vcc, 0
	s_addc_u32 s3, s5, s4
	s_ashr_i32 s40, s31, 31
	s_add_u32 s4, s30, s40
	s_mov_b32 s41, s40
	s_addc_u32 s5, s31, s40
	s_xor_b64 s[42:43], s[4:5], s[40:41]
	v_readfirstlane_b32 s11, v1
	s_mul_i32 s5, s42, s3
	s_mul_hi_u32 s25, s42, s11
	s_mul_hi_u32 s4, s42, s3
	s_add_u32 s5, s25, s5
	s_addc_u32 s4, 0, s4
	s_mul_hi_u32 s33, s43, s11
	s_mul_i32 s11, s43, s11
	s_add_u32 s5, s5, s11
	s_mul_hi_u32 s25, s43, s3
	s_addc_u32 s4, s4, s33
	s_addc_u32 s5, s25, 0
	s_mul_i32 s3, s43, s3
	s_add_u32 s3, s4, s3
	s_addc_u32 s11, 0, s5
	s_mul_i32 s4, s38, s11
	s_mul_hi_u32 s5, s38, s3
	s_add_i32 s4, s5, s4
	s_mul_i32 s5, s39, s3
	s_add_i32 s25, s4, s5
	s_mul_i32 s5, s38, s3
	v_mov_b32_e32 v1, s5
	s_sub_i32 s4, s43, s25
	v_sub_co_u32_e32 v1, vcc, s42, v1
	s_cmp_lg_u64 vcc, 0
	s_subb_u32 s33, s4, s39
	v_subrev_co_u32_e64 v2, s[4:5], s38, v1
	s_cmp_lg_u64 s[4:5], 0
	s_subb_u32 s4, s33, 0
	s_cmp_ge_u32 s4, s39
	v_readfirstlane_b32 s33, v2
	s_cselect_b32 s5, -1, 0
	s_cmp_ge_u32 s33, s38
	s_cselect_b32 s33, -1, 0
	s_cmp_eq_u32 s4, s39
	s_cselect_b32 s4, s33, s5
	s_add_u32 s5, s3, 1
	s_addc_u32 s33, s11, 0
	s_add_u32 s42, s3, 2
	s_addc_u32 s44, s11, 0
	s_cmp_lg_u32 s4, 0
	s_cselect_b32 s4, s42, s5
	s_cselect_b32 s5, s44, s33
	s_cmp_lg_u64 vcc, 0
	s_subb_u32 s25, s43, s25
	s_cmp_ge_u32 s25, s39
	v_readfirstlane_b32 s42, v1
	s_cselect_b32 s33, -1, 0
	s_cmp_ge_u32 s42, s38
	s_cselect_b32 s38, -1, 0
	s_cmp_eq_u32 s25, s39
	s_cselect_b32 s25, s38, s33
	s_cmp_lg_u32 s25, 0
	s_cselect_b32 s5, s5, s11
	s_cselect_b32 s4, s4, s3
	s_xor_b64 s[34:35], s[40:41], s[34:35]
	s_xor_b64 s[4:5], s[4:5], s[34:35]
	s_sub_u32 s34, s4, s34
	s_subb_u32 s35, s5, s35
	s_cbranch_execnz .LBB106_7
.LBB106_6:
	v_cvt_f32_u32_e32 v1, s6
	s_sub_i32 s3, 0, s6
	s_mov_b32 s35, 0
	v_rcp_iflag_f32_e32 v1, v1
	s_nop 0
	v_mul_f32_e32 v1, 0x4f7ffffe, v1
	v_cvt_u32_f32_e32 v1, v1
	s_nop 0
	v_readfirstlane_b32 s4, v1
	s_mul_i32 s3, s3, s4
	s_mul_hi_u32 s3, s4, s3
	s_add_i32 s4, s4, s3
	s_mul_hi_u32 s3, s30, s4
	s_mul_i32 s5, s3, s6
	s_sub_i32 s5, s30, s5
	s_add_i32 s4, s3, 1
	s_sub_i32 s11, s5, s6
	s_cmp_ge_u32 s5, s6
	s_cselect_b32 s3, s4, s3
	s_cselect_b32 s5, s11, s5
	s_add_i32 s4, s3, 1
	s_cmp_ge_u32 s5, s6
	s_cselect_b32 s34, s4, s3
.LBB106_7:
	s_mul_i32 s3, s34, s7
	s_mul_hi_u32 s4, s34, s6
	s_load_dwordx2 s[36:37], s[0:1], 0x78
	s_add_i32 s3, s4, s3
	s_mul_i32 s4, s35, s6
	s_add_i32 s3, s3, s4
	s_mul_i32 s4, s34, s6
	s_sub_u32 s40, s30, s4
	s_subb_u32 s11, s31, s3
	v_cmp_gt_i32_e32 vcc, s24, v0
	s_mul_hi_u32 s41, s34, s8
	s_mul_i32 s42, s35, s8
	s_mul_i32 s43, s34, s8
	s_mul_hi_u32 s35, s40, s9
	s_mul_i32 s11, s11, s9
	s_mul_i32 s33, s40, s9
	s_and_saveexec_b64 s[30:31], vcc
	s_cbranch_execz .LBB106_10
; %bb.8:
	s_mul_i32 s3, s2, s13
	s_mul_hi_u32 s4, s2, s12
	s_add_i32 s5, s4, s3
	s_mul_i32 s4, s2, s12
	s_ashr_i32 s25, s24, 31
	s_lshl_b64 s[4:5], s[4:5], 1
	s_add_u32 s12, s16, s4
	s_addc_u32 s13, s17, s5
	s_ashr_i32 s3, s8, 31
	s_load_dword s6, s[0:1], 0x8c
	s_mul_i32 s3, s34, s3
	s_add_i32 s3, s41, s3
	s_add_i32 s45, s3, s42
	s_ashr_i32 s3, s9, 31
	s_mul_i32 s3, s40, s3
	s_add_i32 s3, s35, s3
	s_waitcnt lgkmcnt(0)
	s_and_b32 s38, s6, 0xffff
	s_add_i32 s46, s3, s11
	s_ashr_i32 s47, s10, 31
	s_lshl_b32 s44, s38, 1
	s_lshl_b64 s[6:7], s[24:25], 1
	s_add_u32 s28, s28, s6
	s_addc_u32 s29, s29, s7
	s_add_u32 s26, s26, s28
	s_addc_u32 s27, s27, s29
	;; [unrolled: 2-line block ×5, first 2 shown]
	s_load_dword s3, s[36:37], 0x0
	s_add_u32 s4, s4, s10
	s_addc_u32 s5, s5, s47
	s_add_u32 s4, s20, s4
	v_mov_b32_e32 v1, 0
	s_addc_u32 s5, s21, s5
	s_mov_b32 s39, 0
	v_lshlrev_b32_e32 v2, 1, v0
	v_mov_b32_e32 v3, v1
	v_lshl_add_u64 v[4:5], s[4:5], 0, v[0:1]
	s_mov_b64 s[28:29], 0
	s_movk_i32 s45, 0x7fff
	v_mov_b32_e32 v1, 0x7fc00000
	v_mov_b32_e32 v10, 0x7fc0
	s_mov_b32 s46, 0x7f800000
	s_mov_b32 s47, 0x43700000
	v_mov_b32_e32 v11, 0xc3700000
	v_mov_b32_e32 v12, v0
.LBB106_9:                              ; =>This Inner Loop Header: Depth=1
	v_lshl_add_u64 v[6:7], s[16:17], 0, v[2:3]
	v_lshl_add_u64 v[14:15], s[22:23], 0, v[2:3]
	;; [unrolled: 1-line block ×4, first 2 shown]
	global_load_ushort v13, v[6:7], off
	global_load_ushort v18, v[16:17], off
	;; [unrolled: 1-line block ×4, first 2 shown]
	s_add_u32 s22, s22, s44
	s_addc_u32 s23, s23, 0
	s_add_u32 s26, s26, s44
	s_addc_u32 s27, s27, 0
	;; [unrolled: 2-line block ×3, first 2 shown]
	v_add_u32_e32 v12, s38, v12
	s_add_u32 s12, s12, s44
	v_cmp_le_i32_e32 vcc, s24, v12
	s_addc_u32 s13, s13, 0
	s_or_b64 s[28:29], vcc, s[28:29]
	v_mov_b32_e32 v22, 0
	v_mov_b32_e32 v23, 0
	v_lshl_add_u64 v[14:15], v[4:5], 0, s[24:25]
	s_waitcnt vmcnt(3)
	v_lshlrev_b32_e32 v17, 16, v13
	s_waitcnt vmcnt(2)
	v_lshlrev_b32_e32 v18, 16, v18
	;; [unrolled: 2-line block ×4, first 2 shown]
	v_mov_b32_e32 v20, v19
	v_mov_b32_e32 v21, v18
	v_pk_mul_f32 v[18:19], v[18:19], v[16:17]
	v_pk_mul_f32 v[16:17], v[20:21], v[16:17]
	v_bfe_u32 v13, v18, 16, 1
	v_bfe_u32 v20, v19, 16, 1
	;; [unrolled: 1-line block ×4, first 2 shown]
	v_add3_u32 v20, v19, v20, s45
	v_add3_u32 v13, v18, v13, s45
	;; [unrolled: 1-line block ×4, first 2 shown]
	v_and_b32_e32 v13, 0xffff0000, v13
	v_and_b32_e32 v20, 0xffff0000, v20
	v_cmp_o_f32_e32 vcc, v18, v18
	v_cmp_o_f32_e64 s[4:5], v19, v19
	v_and_b32_e32 v18, 0xffff0000, v21
	v_and_b32_e32 v19, 0xffff0000, v24
	v_cmp_o_f32_e64 s[6:7], v16, v16
	v_cndmask_b32_e64 v16, v1, v20, s[4:5]
	v_cndmask_b32_e32 v13, v1, v13, vcc
	v_cmp_o_f32_e32 vcc, v17, v17
	v_cndmask_b32_e64 v18, v1, v18, s[6:7]
	v_add_f32_e32 v13, v13, v16
	v_cndmask_b32_e32 v17, v1, v19, vcc
	v_sub_f32_e32 v16, v18, v17
	v_bfe_u32 v17, v13, 16, 1
	v_bfe_u32 v18, v16, 16, 1
	v_add3_u32 v17, v13, v17, s45
	v_add3_u32 v18, v16, v18, s45
	v_lshrrev_b32_e32 v17, 16, v17
	v_cmp_o_f32_e32 vcc, v13, v13
	v_lshrrev_b32_e32 v13, 16, v18
	s_nop 0
	v_cndmask_b32_e32 v17, v10, v17, vcc
	v_cmp_o_f32_e32 vcc, v16, v16
	v_lshlrev_b32_e32 v16, 16, v17
	s_nop 0
	v_cndmask_b32_e32 v13, v10, v13, vcc
	global_store_short v[8:9], v13, off
	v_lshlrev_b32_e32 v8, 16, v13
	s_waitcnt lgkmcnt(0)
	v_div_scale_f32 v9, s[4:5], s3, s3, v16
	v_div_scale_f32 v18, s[6:7], s3, s3, v8
	v_rcp_f32_e32 v20, v9
	v_rcp_f32_e32 v21, v18
	v_div_scale_f32 v13, s[4:5], v16, s3, v16
	v_fma_f32 v24, -v9, v20, 1.0
	v_fma_f32 v25, -v18, v21, 1.0
	v_div_scale_f32 v19, vcc, v8, s3, v8
	v_fmac_f32_e32 v20, v24, v20
	v_fmac_f32_e32 v21, v25, v21
	v_mul_f32_e32 v24, v13, v20
	v_mul_f32_e32 v25, v19, v21
	v_fma_f32 v26, -v9, v24, v13
	v_fma_f32 v27, -v18, v25, v19
	v_fmac_f32_e32 v24, v26, v20
	v_fmac_f32_e32 v25, v27, v21
	v_fma_f32 v9, -v9, v24, v13
	v_fma_f32 v13, -v18, v25, v19
	v_div_fmas_f32 v13, v13, v21, v25
	s_mov_b64 vcc, s[4:5]
	v_div_fixup_f32 v8, v13, s3, v8
	v_div_fmas_f32 v9, v9, v20, v24
	v_med3_f32 v13, v8, s47, v11
	v_div_fixup_f32 v9, v9, s3, v16
	v_cmp_nlg_f32_e64 vcc, |v8|, s46
	s_nop 1
	v_cndmask_b32_e32 v8, v13, v8, vcc
	v_med3_f32 v13, v9, s47, v11
	v_cmp_nlg_f32_e64 vcc, |v9|, s46
	v_cvt_pk_fp8_f32 v22, v8, v8
	global_store_short v[6:7], v17, off
	global_store_byte v[4:5], v22, off
	v_cndmask_b32_e32 v8, v13, v9, vcc
	v_cvt_pk_fp8_f32 v23, v8, v8
	v_lshl_add_u64 v[4:5], v[4:5], 0, s[38:39]
	global_store_byte v[14:15], v23, off
	s_andn2_b64 exec, exec, s[28:29]
	s_cbranch_execnz .LBB106_9
.LBB106_10:
	s_or_b64 exec, exec, s[30:31]
	v_cmp_gt_i32_e32 vcc, s10, v0
	s_and_saveexec_b64 s[4:5], vcc
	s_cbranch_execz .LBB106_13
; %bb.11:
	s_mul_i32 s3, s2, s15
	s_mul_hi_u32 s4, s2, s14
	s_add_i32 s3, s4, s3
	s_mul_i32 s2, s2, s14
	s_lshl_b64 s[2:3], s[2:3], 1
	s_add_u32 s2, s18, s2
	s_addc_u32 s3, s19, s3
	s_ashr_i32 s4, s8, 31
	s_mul_i32 s4, s34, s4
	s_add_i32 s4, s41, s4
	s_add_i32 s4, s4, s42
	s_add_u32 s5, s20, s43
	s_addc_u32 s4, s21, s4
	s_ashr_i32 s6, s9, 31
	s_mul_i32 s40, s40, s6
	s_add_i32 s6, s35, s40
	s_add_i32 s6, s6, s11
	s_load_dword s7, s[0:1], 0x8c
	s_add_u32 s0, s5, s33
	s_addc_u32 s1, s4, s6
	s_waitcnt lgkmcnt(0)
	s_load_dword s6, s[36:37], 0x0
	s_mov_b64 s[4:5], 0
	s_and_b32 s7, s7, 0xffff
	s_mov_b32 s8, 0x7f800000
	s_mov_b32 s9, 0x43700000
	v_mov_b32_e32 v2, 0xc3700000
.LBB106_12:                             ; =>This Inner Loop Header: Depth=1
	v_ashrrev_i32_e32 v1, 31, v0
	v_lshl_add_u64 v[4:5], v[0:1], 1, s[2:3]
	global_load_ushort v3, v[4:5], off
	v_mov_b32_e32 v6, 0
	s_waitcnt vmcnt(0)
	v_lshlrev_b32_e32 v3, 16, v3
	s_waitcnt lgkmcnt(0)
	v_div_scale_f32 v4, s[12:13], s6, s6, v3
	v_rcp_f32_e32 v5, v4
	v_div_scale_f32 v7, vcc, v3, s6, v3
	v_fma_f32 v8, -v4, v5, 1.0
	v_fmac_f32_e32 v5, v8, v5
	v_mul_f32_e32 v8, v7, v5
	v_fma_f32 v9, -v4, v8, v7
	v_fmac_f32_e32 v8, v9, v5
	v_fma_f32 v4, -v4, v8, v7
	v_div_fmas_f32 v4, v4, v5, v8
	v_div_fixup_f32 v3, v4, s6, v3
	v_med3_f32 v4, v3, s9, v2
	v_cmp_nlg_f32_e64 vcc, |v3|, s8
	s_nop 1
	v_cndmask_b32_e32 v3, v4, v3, vcc
	v_cvt_pk_fp8_f32 v6, v3, v3
	v_lshl_add_u64 v[4:5], s[0:1], 0, v[0:1]
	v_add_u32_e32 v0, s7, v0
	v_cmp_le_i32_e32 vcc, s10, v0
	s_or_b64 s[4:5], vcc, s[4:5]
	global_store_byte v[4:5], v6, off
	s_andn2_b64 exec, exec, s[4:5]
	s_cbranch_execnz .LBB106_12
.LBB106_13:
	s_endpgm
.LBB106_14:
                                        ; implicit-def: $sgpr34_sgpr35
	s_branch .LBB106_6
	.section	.rodata,"a",@progbits
	.p2align	6, 0x0
	.amdhsa_kernel _ZN4vllm38concat_and_cache_mla_rope_fused_kernelIN3c108BFloat16ES2_Lb1E14__hip_bfloat16hLNS_18Fp8KVCacheDataTypeE1EEEvPKlPT_S8_PKS7_PKT0_illlliPT3_S6_iiiiPKf
		.amdhsa_group_segment_fixed_size 0
		.amdhsa_private_segment_fixed_size 0
		.amdhsa_kernarg_size 384
		.amdhsa_user_sgpr_count 2
		.amdhsa_user_sgpr_dispatch_ptr 0
		.amdhsa_user_sgpr_queue_ptr 0
		.amdhsa_user_sgpr_kernarg_segment_ptr 1
		.amdhsa_user_sgpr_dispatch_id 0
		.amdhsa_user_sgpr_kernarg_preload_length 0
		.amdhsa_user_sgpr_kernarg_preload_offset 0
		.amdhsa_user_sgpr_private_segment_size 0
		.amdhsa_uses_dynamic_stack 0
		.amdhsa_enable_private_segment 0
		.amdhsa_system_sgpr_workgroup_id_x 1
		.amdhsa_system_sgpr_workgroup_id_y 0
		.amdhsa_system_sgpr_workgroup_id_z 0
		.amdhsa_system_sgpr_workgroup_info 0
		.amdhsa_system_vgpr_workitem_id 0
		.amdhsa_next_free_vgpr 28
		.amdhsa_next_free_sgpr 48
		.amdhsa_accum_offset 28
		.amdhsa_reserve_vcc 1
		.amdhsa_float_round_mode_32 0
		.amdhsa_float_round_mode_16_64 0
		.amdhsa_float_denorm_mode_32 3
		.amdhsa_float_denorm_mode_16_64 3
		.amdhsa_dx10_clamp 1
		.amdhsa_ieee_mode 1
		.amdhsa_fp16_overflow 0
		.amdhsa_tg_split 0
		.amdhsa_exception_fp_ieee_invalid_op 0
		.amdhsa_exception_fp_denorm_src 0
		.amdhsa_exception_fp_ieee_div_zero 0
		.amdhsa_exception_fp_ieee_overflow 0
		.amdhsa_exception_fp_ieee_underflow 0
		.amdhsa_exception_fp_ieee_inexact 0
		.amdhsa_exception_int_div_zero 0
	.end_amdhsa_kernel
	.section	.text._ZN4vllm38concat_and_cache_mla_rope_fused_kernelIN3c108BFloat16ES2_Lb1E14__hip_bfloat16hLNS_18Fp8KVCacheDataTypeE1EEEvPKlPT_S8_PKS7_PKT0_illlliPT3_S6_iiiiPKf,"axG",@progbits,_ZN4vllm38concat_and_cache_mla_rope_fused_kernelIN3c108BFloat16ES2_Lb1E14__hip_bfloat16hLNS_18Fp8KVCacheDataTypeE1EEEvPKlPT_S8_PKS7_PKT0_illlliPT3_S6_iiiiPKf,comdat
.Lfunc_end106:
	.size	_ZN4vllm38concat_and_cache_mla_rope_fused_kernelIN3c108BFloat16ES2_Lb1E14__hip_bfloat16hLNS_18Fp8KVCacheDataTypeE1EEEvPKlPT_S8_PKS7_PKT0_illlliPT3_S6_iiiiPKf, .Lfunc_end106-_ZN4vllm38concat_and_cache_mla_rope_fused_kernelIN3c108BFloat16ES2_Lb1E14__hip_bfloat16hLNS_18Fp8KVCacheDataTypeE1EEEvPKlPT_S8_PKS7_PKT0_illlliPT3_S6_iiiiPKf
                                        ; -- End function
	.section	.AMDGPU.csdata,"",@progbits
; Kernel info:
; codeLenInByte = 2868
; NumSgprs: 54
; NumVgprs: 28
; NumAgprs: 0
; TotalNumVgprs: 28
; ScratchSize: 0
; MemoryBound: 0
; FloatMode: 240
; IeeeMode: 1
; LDSByteSize: 0 bytes/workgroup (compile time only)
; SGPRBlocks: 6
; VGPRBlocks: 3
; NumSGPRsForWavesPerEU: 54
; NumVGPRsForWavesPerEU: 28
; AccumOffset: 28
; Occupancy: 8
; WaveLimiterHint : 1
; COMPUTE_PGM_RSRC2:SCRATCH_EN: 0
; COMPUTE_PGM_RSRC2:USER_SGPR: 2
; COMPUTE_PGM_RSRC2:TRAP_HANDLER: 0
; COMPUTE_PGM_RSRC2:TGID_X_EN: 1
; COMPUTE_PGM_RSRC2:TGID_Y_EN: 0
; COMPUTE_PGM_RSRC2:TGID_Z_EN: 0
; COMPUTE_PGM_RSRC2:TIDIG_COMP_CNT: 0
; COMPUTE_PGM_RSRC3_GFX90A:ACCUM_OFFSET: 6
; COMPUTE_PGM_RSRC3_GFX90A:TG_SPLIT: 0
	.section	.text._ZN4vllm38concat_and_cache_mla_rope_fused_kernelIN3c108BFloat16ES2_Lb0E14__hip_bfloat16hLNS_18Fp8KVCacheDataTypeE1EEEvPKlPT_S8_PKS7_PKT0_illlliPT3_S6_iiiiPKf,"axG",@progbits,_ZN4vllm38concat_and_cache_mla_rope_fused_kernelIN3c108BFloat16ES2_Lb0E14__hip_bfloat16hLNS_18Fp8KVCacheDataTypeE1EEEvPKlPT_S8_PKS7_PKT0_illlliPT3_S6_iiiiPKf,comdat
	.protected	_ZN4vllm38concat_and_cache_mla_rope_fused_kernelIN3c108BFloat16ES2_Lb0E14__hip_bfloat16hLNS_18Fp8KVCacheDataTypeE1EEEvPKlPT_S8_PKS7_PKT0_illlliPT3_S6_iiiiPKf ; -- Begin function _ZN4vllm38concat_and_cache_mla_rope_fused_kernelIN3c108BFloat16ES2_Lb0E14__hip_bfloat16hLNS_18Fp8KVCacheDataTypeE1EEEvPKlPT_S8_PKS7_PKT0_illlliPT3_S6_iiiiPKf
	.globl	_ZN4vllm38concat_and_cache_mla_rope_fused_kernelIN3c108BFloat16ES2_Lb0E14__hip_bfloat16hLNS_18Fp8KVCacheDataTypeE1EEEvPKlPT_S8_PKS7_PKT0_illlliPT3_S6_iiiiPKf
	.p2align	8
	.type	_ZN4vllm38concat_and_cache_mla_rope_fused_kernelIN3c108BFloat16ES2_Lb0E14__hip_bfloat16hLNS_18Fp8KVCacheDataTypeE1EEEvPKlPT_S8_PKS7_PKT0_illlliPT3_S6_iiiiPKf,@function
_ZN4vllm38concat_and_cache_mla_rope_fused_kernelIN3c108BFloat16ES2_Lb0E14__hip_bfloat16hLNS_18Fp8KVCacheDataTypeE1EEEvPKlPT_S8_PKS7_PKT0_illlliPT3_S6_iiiiPKf: ; @_ZN4vllm38concat_and_cache_mla_rope_fused_kernelIN3c108BFloat16ES2_Lb0E14__hip_bfloat16hLNS_18Fp8KVCacheDataTypeE1EEEvPKlPT_S8_PKS7_PKT0_illlliPT3_S6_iiiiPKf
; %bb.0:
	s_load_dwordx2 s[6:7], s[0:1], 0x60
	s_mov_b32 s3, 0
	s_lshl_b64 s[4:5], s[2:3], 3
	s_waitcnt lgkmcnt(0)
	s_add_u32 s6, s6, s4
	s_addc_u32 s7, s7, s5
	s_load_dwordx2 s[26:27], s[6:7], 0x0
	s_waitcnt lgkmcnt(0)
	v_cmp_lt_i64_e64 s[6:7], s[26:27], 0
	s_and_b64 vcc, exec, s[6:7]
	s_cbranch_vccnz .LBB107_13
; %bb.1:
	s_load_dword s3, s[0:1], 0x28
	s_load_dwordx2 s[6:7], s[0:1], 0x0
	s_load_dwordx4 s[12:15], s[0:1], 0x10
	v_lshlrev_b32_e32 v2, 1, v0
	s_waitcnt lgkmcnt(0)
	s_ashr_i32 s22, s3, 31
	s_add_u32 s16, s6, s4
	s_addc_u32 s17, s7, s5
	s_load_dwordx2 s[18:19], s[16:17], 0x0
	s_load_dwordx2 s[24:25], s[0:1], 0x20
	s_load_dwordx8 s[4:11], s[0:1], 0x30
	s_load_dwordx2 s[20:21], s[0:1], 0x58
	s_load_dword s23, s[0:1], 0x50
	s_waitcnt lgkmcnt(0)
	s_mul_i32 s16, s18, s22
	s_mul_hi_u32 s17, s18, s3
	s_mul_i32 s19, s19, s3
	s_add_i32 s16, s17, s16
	s_add_i32 s29, s16, s19
	s_lshr_b32 s16, s3, 31
	s_mul_i32 s28, s18, s3
	s_add_i32 s3, s3, s16
	s_ashr_i32 s22, s3, 1
	s_mul_i32 s3, s22, s23
	v_cmp_gt_i32_e32 vcc, s3, v0
	s_and_saveexec_b64 s[16:17], vcc
	s_cbranch_execz .LBB107_4
; %bb.2:
	s_load_dwordx2 s[30:31], s[0:1], 0x8
	s_load_dword s34, s[0:1], 0x8c
	s_lshl_b64 s[18:19], s[28:29], 1
	s_add_u32 s18, s24, s18
	s_mul_i32 s5, s2, s5
	s_mul_hi_u32 s33, s2, s4
	s_addc_u32 s19, s25, s19
	s_add_i32 s5, s33, s5
	s_mul_i32 s4, s2, s4
	s_ashr_i32 s23, s22, 31
	s_lshl_b64 s[4:5], s[4:5], 1
	s_waitcnt lgkmcnt(0)
	s_add_u32 s30, s30, s4
	s_addc_u32 s31, s31, s5
	s_abs_i32 s33, s22
	v_cvt_f32_u32_e32 v1, s33
	s_sub_i32 s4, 0, s33
	s_and_b32 s36, s34, 0xffff
	s_sub_i32 s37, 0, s22
	v_rcp_iflag_f32_e32 v1, v1
	s_lshl_b32 s39, s36, 1
	s_mov_b64 s[34:35], 0
	s_movk_i32 s40, 0x7fff
	v_mul_f32_e32 v1, 0x4f7ffffe, v1
	v_cvt_u32_f32_e32 v1, v1
	v_mov_b32_e32 v5, 0x7fc0
	s_mov_b32 s41, 0x5040100
	v_mov_b32_e32 v4, v2
	v_mul_lo_u32 v3, s4, v1
	v_mul_hi_u32 v3, v1, v3
	s_lshl_b32 s4, s22, 1
	v_add_u32_e32 v1, v1, v3
	s_sub_i32 s38, 0, s4
	v_mov_b32_e32 v3, 0x7fc00000
	v_mov_b32_e32 v6, v0
.LBB107_3:                              ; =>This Inner Loop Header: Depth=1
	v_sub_u32_e32 v8, 0, v6
	v_max_i32_e32 v8, v6, v8
	v_mul_hi_u32 v9, v8, v1
	v_mul_lo_u32 v10, v9, s33
	v_sub_u32_e32 v8, v8, v10
	v_add_u32_e32 v11, 1, v9
	v_cmp_le_u32_e32 vcc, s33, v8
	v_subrev_u32_e32 v10, s33, v8
	v_ashrrev_i32_e32 v7, 31, v6
	v_cndmask_b32_e32 v9, v9, v11, vcc
	v_cndmask_b32_e32 v8, v8, v10, vcc
	v_add_u32_e32 v10, 1, v9
	v_cmp_le_u32_e32 vcc, s33, v8
	v_xor_b32_e32 v7, s23, v7
	s_nop 0
	v_cndmask_b32_e32 v8, v9, v10, vcc
	v_xor_b32_e32 v8, v8, v7
	v_sub_u32_e32 v7, v8, v7
	v_ashrrev_i32_e32 v14, 31, v7
	v_mad_u64_u32 v[8:9], s[4:5], s37, v7, v[6:7]
	v_mul_lo_u32 v15, v7, s7
	v_mad_u64_u32 v[10:11], s[4:5], v7, s6, 0
	v_mad_u64_u32 v[12:13], s[4:5], s38, v7, v[4:5]
	v_mul_lo_u32 v7, v14, s6
	v_ashrrev_i32_e32 v9, 31, v8
	v_add3_u32 v11, v11, v15, v7
	v_ashrrev_i32_e32 v13, 31, v12
	v_lshl_add_u64 v[8:9], v[8:9], 1, s[18:19]
	v_lshl_add_u64 v[10:11], v[10:11], 1, s[30:31]
	;; [unrolled: 1-line block ×3, first 2 shown]
	global_load_ushort v7, v[8:9], off
	global_load_ushort v16, v[14:15], off
	v_lshl_add_u64 v[8:9], v[12:13], 1, v[10:11]
	global_load_dword v10, v[8:9], off
	v_add_u32_e32 v6, s36, v6
	v_cmp_le_i32_e32 vcc, s3, v6
	s_or_b64 s[34:35], vcc, s[34:35]
	v_add_u32_e32 v4, s39, v4
	s_waitcnt vmcnt(2)
	v_lshlrev_b32_e32 v11, 16, v7
	s_waitcnt vmcnt(1)
	v_lshlrev_b32_e32 v13, 16, v16
	v_mov_b32_e32 v14, v11
	s_waitcnt vmcnt(0)
	v_and_b32_e32 v16, 0xffff0000, v10
	v_lshlrev_b32_e32 v12, 16, v10
	v_mov_b32_e32 v10, v13
	v_pk_mul_f32 v[10:11], v[10:11], v[16:17] op_sel_hi:[1,0]
	v_mov_b32_e32 v15, v12
	v_bfe_u32 v7, v10, 16, 1
	v_bfe_u32 v16, v11, 16, 1
	v_pk_mul_f32 v[12:13], v[14:15], v[12:13]
	v_add3_u32 v14, v11, v16, s40
	v_add3_u32 v7, v10, v7, s40
	v_bfe_u32 v15, v12, 16, 1
	v_bfe_u32 v16, v13, 16, 1
	v_and_b32_e32 v7, 0xffff0000, v7
	v_and_b32_e32 v14, 0xffff0000, v14
	v_add3_u32 v16, v13, v16, s40
	v_add3_u32 v15, v12, v15, s40
	v_cmp_o_f32_e32 vcc, v10, v10
	v_cmp_o_f32_e64 s[4:5], v11, v11
	v_and_b32_e32 v15, 0xffff0000, v15
	v_and_b32_e32 v16, 0xffff0000, v16
	v_cndmask_b32_e64 v11, v3, v14, s[4:5]
	v_cndmask_b32_e32 v10, v3, v7, vcc
	v_cmp_o_f32_e32 vcc, v12, v12
	v_cmp_o_f32_e64 s[4:5], v13, v13
	s_nop 0
	v_cndmask_b32_e32 v12, v3, v15, vcc
	v_cndmask_b32_e64 v13, v3, v16, s[4:5]
	v_pk_add_f32 v[14:15], v[12:13], v[10:11] neg_lo:[0,1] neg_hi:[0,1]
	v_pk_add_f32 v[10:11], v[12:13], v[10:11]
	v_bfe_u32 v7, v14, 16, 1
	v_bfe_u32 v10, v11, 16, 1
	v_add3_u32 v10, v11, v10, s40
	v_add3_u32 v7, v14, v7, s40
	v_lshrrev_b32_e32 v7, 16, v7
	v_lshrrev_b32_e32 v10, 16, v10
	v_cmp_o_f32_e32 vcc, v11, v11
	v_cmp_o_f32_e64 s[4:5], v14, v14
	s_nop 0
	v_cndmask_b32_e32 v10, v5, v10, vcc
	v_cndmask_b32_e64 v7, v5, v7, s[4:5]
	v_perm_b32 v7, v10, v7, s41
	global_store_dword v[8:9], v7, off
	s_andn2_b64 exec, exec, s[34:35]
	s_cbranch_execnz .LBB107_3
.LBB107_4:
	s_or_b64 exec, exec, s[16:17]
	s_load_dwordx4 s[16:19], s[0:1], 0x68
	s_waitcnt lgkmcnt(0)
	s_ashr_i32 s7, s19, 31
	s_mov_b32 s6, s19
	s_or_b64 s[4:5], s[26:27], s[6:7]
	s_mov_b32 s4, 0
	s_cmp_lg_u64 s[4:5], 0
	s_cbranch_scc0 .LBB107_14
; %bb.5:
	s_add_u32 s4, s6, s7
	s_mov_b32 s30, s7
	s_mov_b32 s31, s7
	s_addc_u32 s5, s7, s7
	s_xor_b64 s[36:37], s[4:5], s[30:31]
	v_cvt_f32_u32_e32 v1, s36
	v_cvt_f32_u32_e32 v3, s37
	s_sub_u32 s3, 0, s36
	s_subb_u32 s4, 0, s37
	v_fmamk_f32 v1, v3, 0x4f800000, v1
	v_rcp_f32_e32 v1, v1
	s_nop 0
	v_mul_f32_e32 v1, 0x5f7ffffc, v1
	v_mul_f32_e32 v3, 0x2f800000, v1
	v_trunc_f32_e32 v3, v3
	v_fmamk_f32 v1, v3, 0xcf800000, v1
	v_cvt_u32_f32_e32 v3, v3
	v_cvt_u32_f32_e32 v1, v1
	v_readfirstlane_b32 s5, v3
	v_readfirstlane_b32 s19, v1
	s_mul_i32 s23, s3, s5
	s_mul_hi_u32 s38, s3, s19
	s_mul_i32 s33, s4, s19
	s_add_i32 s23, s38, s23
	s_add_i32 s23, s23, s33
	s_mul_i32 s39, s3, s19
	s_mul_hi_u32 s33, s19, s23
	s_mul_i32 s38, s19, s23
	s_mul_hi_u32 s19, s19, s39
	s_add_u32 s19, s19, s38
	s_addc_u32 s33, 0, s33
	s_mul_hi_u32 s40, s5, s39
	s_mul_i32 s39, s5, s39
	s_add_u32 s19, s19, s39
	s_mul_hi_u32 s38, s5, s23
	s_addc_u32 s19, s33, s40
	s_addc_u32 s33, s38, 0
	s_mul_i32 s23, s5, s23
	s_add_u32 s19, s19, s23
	s_addc_u32 s23, 0, s33
	v_add_co_u32_e32 v1, vcc, s19, v1
	s_cmp_lg_u64 vcc, 0
	s_addc_u32 s5, s5, s23
	v_readfirstlane_b32 s23, v1
	s_mul_i32 s19, s3, s5
	s_mul_hi_u32 s33, s3, s23
	s_add_i32 s19, s33, s19
	s_mul_i32 s4, s4, s23
	s_add_i32 s19, s19, s4
	s_mul_i32 s3, s3, s23
	s_mul_hi_u32 s33, s5, s3
	s_mul_i32 s38, s5, s3
	s_mul_i32 s40, s23, s19
	s_mul_hi_u32 s3, s23, s3
	s_mul_hi_u32 s39, s23, s19
	s_add_u32 s3, s3, s40
	s_addc_u32 s23, 0, s39
	s_add_u32 s3, s3, s38
	s_mul_hi_u32 s4, s5, s19
	s_addc_u32 s3, s23, s33
	s_addc_u32 s4, s4, 0
	s_mul_i32 s19, s5, s19
	s_add_u32 s3, s3, s19
	s_addc_u32 s4, 0, s4
	v_add_co_u32_e32 v1, vcc, s3, v1
	s_cmp_lg_u64 vcc, 0
	s_addc_u32 s3, s5, s4
	s_ashr_i32 s38, s27, 31
	s_add_u32 s4, s26, s38
	s_mov_b32 s39, s38
	s_addc_u32 s5, s27, s38
	s_xor_b64 s[40:41], s[4:5], s[38:39]
	v_readfirstlane_b32 s19, v1
	s_mul_i32 s5, s40, s3
	s_mul_hi_u32 s23, s40, s19
	s_mul_hi_u32 s4, s40, s3
	s_add_u32 s5, s23, s5
	s_addc_u32 s4, 0, s4
	s_mul_hi_u32 s33, s41, s19
	s_mul_i32 s19, s41, s19
	s_add_u32 s5, s5, s19
	s_mul_hi_u32 s23, s41, s3
	s_addc_u32 s4, s4, s33
	s_addc_u32 s5, s23, 0
	s_mul_i32 s3, s41, s3
	s_add_u32 s3, s4, s3
	s_addc_u32 s19, 0, s5
	s_mul_i32 s4, s36, s19
	s_mul_hi_u32 s5, s36, s3
	s_add_i32 s4, s5, s4
	s_mul_i32 s5, s37, s3
	s_add_i32 s23, s4, s5
	s_mul_i32 s5, s36, s3
	v_mov_b32_e32 v1, s5
	s_sub_i32 s4, s41, s23
	v_sub_co_u32_e32 v1, vcc, s40, v1
	s_cmp_lg_u64 vcc, 0
	s_subb_u32 s33, s4, s37
	v_subrev_co_u32_e64 v3, s[4:5], s36, v1
	s_cmp_lg_u64 s[4:5], 0
	s_subb_u32 s4, s33, 0
	s_cmp_ge_u32 s4, s37
	v_readfirstlane_b32 s33, v3
	s_cselect_b32 s5, -1, 0
	s_cmp_ge_u32 s33, s36
	s_cselect_b32 s33, -1, 0
	s_cmp_eq_u32 s4, s37
	s_cselect_b32 s4, s33, s5
	s_add_u32 s5, s3, 1
	s_addc_u32 s33, s19, 0
	s_add_u32 s40, s3, 2
	s_addc_u32 s42, s19, 0
	s_cmp_lg_u32 s4, 0
	s_cselect_b32 s4, s40, s5
	s_cselect_b32 s5, s42, s33
	s_cmp_lg_u64 vcc, 0
	s_subb_u32 s23, s41, s23
	s_cmp_ge_u32 s23, s37
	v_readfirstlane_b32 s40, v1
	s_cselect_b32 s33, -1, 0
	s_cmp_ge_u32 s40, s36
	s_cselect_b32 s36, -1, 0
	s_cmp_eq_u32 s23, s37
	s_cselect_b32 s23, s36, s33
	s_cmp_lg_u32 s23, 0
	s_cselect_b32 s5, s5, s19
	s_cselect_b32 s4, s4, s3
	s_xor_b64 s[30:31], s[38:39], s[30:31]
	s_xor_b64 s[4:5], s[4:5], s[30:31]
	s_sub_u32 s30, s4, s30
	s_subb_u32 s31, s5, s31
	s_cbranch_execnz .LBB107_7
.LBB107_6:
	v_cvt_f32_u32_e32 v1, s6
	s_sub_i32 s3, 0, s6
	s_mov_b32 s31, 0
	v_rcp_iflag_f32_e32 v1, v1
	s_nop 0
	v_mul_f32_e32 v1, 0x4f7ffffe, v1
	v_cvt_u32_f32_e32 v1, v1
	s_nop 0
	v_readfirstlane_b32 s4, v1
	s_mul_i32 s3, s3, s4
	s_mul_hi_u32 s3, s4, s3
	s_add_i32 s4, s4, s3
	s_mul_hi_u32 s3, s26, s4
	s_mul_i32 s5, s3, s6
	s_sub_i32 s5, s26, s5
	s_add_i32 s4, s3, 1
	s_sub_i32 s19, s5, s6
	s_cmp_ge_u32 s5, s6
	s_cselect_b32 s3, s4, s3
	s_cselect_b32 s5, s19, s5
	s_add_i32 s4, s3, 1
	s_cmp_ge_u32 s5, s6
	s_cselect_b32 s30, s4, s3
.LBB107_7:
	s_mul_i32 s3, s30, s7
	s_mul_hi_u32 s4, s30, s6
	s_load_dwordx2 s[34:35], s[0:1], 0x78
	s_add_i32 s3, s4, s3
	s_mul_i32 s4, s31, s6
	s_add_i32 s3, s3, s4
	s_mul_i32 s4, s30, s6
	s_sub_u32 s33, s26, s4
	s_subb_u32 s19, s27, s3
	v_cmp_gt_i32_e32 vcc, s22, v0
	s_mul_hi_u32 s37, s30, s16
	s_mul_i32 s38, s31, s16
	s_mul_i32 s39, s30, s16
	s_mul_hi_u32 s36, s33, s17
	s_mul_i32 s19, s19, s17
	s_mul_i32 s31, s33, s17
	s_and_saveexec_b64 s[26:27], vcc
	s_cbranch_execz .LBB107_10
; %bb.8:
	s_ashr_i32 s3, s16, 31
	s_mul_i32 s3, s30, s3
	s_load_dword s4, s[0:1], 0x8c
	s_add_i32 s3, s37, s3
	s_add_i32 s6, s3, s38
	s_ashr_i32 s3, s17, 31
	s_mul_i32 s3, s33, s3
	s_add_i32 s3, s36, s3
	s_ashr_i32 s23, s22, 31
	s_add_i32 s7, s3, s19
	s_ashr_i32 s41, s18, 31
	s_waitcnt lgkmcnt(0)
	s_and_b32 s40, s4, 0xffff
	s_lshl_b64 s[4:5], s[28:29], 1
	s_add_u32 s4, s24, s4
	v_mov_b32_e32 v3, 0
	s_addc_u32 s5, s25, s5
	v_lshl_add_u64 v[4:5], s[4:5], 0, v[2:3]
	s_mul_i32 s4, s9, s2
	s_mul_hi_u32 s5, s8, s2
	s_add_i32 s5, s5, s4
	s_mul_i32 s4, s8, s2
	s_lshl_b32 s28, s40, 1
	s_lshl_b64 s[24:25], s[22:23], 1
	s_lshl_b64 s[4:5], s[4:5], 1
	s_add_u32 s4, s12, s4
	v_lshlrev_b32_e32 v6, 2, v0
	v_mov_b32_e32 v7, v3
	s_addc_u32 s5, s13, s5
	s_lshl_b32 s8, s40, 2
	v_lshl_add_u64 v[6:7], s[4:5], 0, v[6:7]
	s_add_u32 s4, s39, s31
	s_addc_u32 s5, s6, s7
	s_add_u32 s6, s20, s18
	s_load_dword s3, s[34:35], 0x0
	s_addc_u32 s7, s21, s41
	s_add_u32 s4, s6, s4
	s_addc_u32 s5, s7, s5
	s_mov_b32 s29, 0
	v_lshl_add_u64 v[2:3], s[4:5], 0, v[2:3]
	v_lshl_add_u64 v[6:7], v[6:7], 0, 2
	s_mov_b32 s9, s29
	v_lshl_add_u64 v[2:3], v[2:3], 0, 1
	s_mov_b64 s[12:13], 0
	s_movk_i32 s23, 0x7fff
	v_mov_b32_e32 v1, 0x7fc00000
	v_mov_b32_e32 v8, 0x7fc0
	s_mov_b32 s41, 0x5040100
	s_mov_b32 s42, 0x7f800000
	;; [unrolled: 1-line block ×3, first 2 shown]
	v_mov_b32_e32 v9, 0xc3700000
	v_mov_b32_e32 v10, v0
.LBB107_9:                              ; =>This Inner Loop Header: Depth=1
	global_load_ushort v11, v[4:5], off
	global_load_dword v15, v[6:7], off offset:-2
	v_lshl_add_u64 v[12:13], v[4:5], 0, s[24:25]
	global_load_ushort v12, v[12:13], off
	v_add_u32_e32 v10, s40, v10
	v_cmp_le_i32_e32 vcc, s22, v10
	s_or_b64 s[12:13], vcc, s[12:13]
	v_mov_b32_e32 v21, 0
	v_mov_b32_e32 v20, 0
	v_lshl_add_u64 v[4:5], v[4:5], 0, s[28:29]
	s_waitcnt vmcnt(2)
	v_lshlrev_b32_e32 v13, 16, v11
	s_waitcnt vmcnt(1)
	v_lshlrev_b32_e32 v16, 16, v15
	v_mov_b32_e32 v18, v13
	s_waitcnt vmcnt(0)
	v_lshlrev_b32_e32 v17, 16, v12
	v_mov_b32_e32 v19, v16
	v_and_b32_e32 v14, 0xffff0000, v15
	v_mov_b32_e32 v12, v17
	v_pk_mul_f32 v[16:17], v[18:19], v[16:17]
	v_pk_mul_f32 v[12:13], v[12:13], v[14:15] op_sel_hi:[1,0]
	v_bfe_u32 v11, v16, 16, 1
	v_bfe_u32 v14, v17, 16, 1
	;; [unrolled: 1-line block ×4, first 2 shown]
	v_add3_u32 v14, v17, v14, s23
	v_add3_u32 v11, v16, v11, s23
	;; [unrolled: 1-line block ×4, first 2 shown]
	v_and_b32_e32 v11, 0xffff0000, v11
	v_and_b32_e32 v14, 0xffff0000, v14
	v_cmp_o_f32_e32 vcc, v16, v16
	v_cmp_o_f32_e64 s[4:5], v17, v17
	v_and_b32_e32 v16, 0xffff0000, v15
	v_and_b32_e32 v17, 0xffff0000, v18
	v_cmp_o_f32_e64 s[6:7], v12, v12
	v_cndmask_b32_e64 v15, v1, v14, s[4:5]
	v_cndmask_b32_e32 v14, v1, v11, vcc
	v_cmp_o_f32_e32 vcc, v13, v13
	v_cndmask_b32_e64 v12, v1, v16, s[6:7]
	s_nop 0
	v_cndmask_b32_e32 v13, v1, v17, vcc
	v_pk_add_f32 v[16:17], v[14:15], v[12:13] neg_lo:[0,1] neg_hi:[0,1]
	v_pk_add_f32 v[12:13], v[14:15], v[12:13]
	v_bfe_u32 v11, v16, 16, 1
	v_bfe_u32 v12, v13, 16, 1
	v_add3_u32 v12, v13, v12, s23
	v_add3_u32 v11, v16, v11, s23
	v_lshrrev_b32_e32 v11, 16, v11
	v_lshrrev_b32_e32 v12, 16, v12
	v_cmp_o_f32_e32 vcc, v13, v13
	v_cmp_o_f32_e64 s[4:5], v16, v16
	s_nop 0
	v_cndmask_b32_e32 v12, v8, v12, vcc
	v_cndmask_b32_e64 v11, v8, v11, s[4:5]
	v_perm_b32 v13, v12, v11, s41
	v_lshlrev_b32_e32 v11, 16, v11
	v_lshlrev_b32_e32 v12, 16, v12
	global_store_dword v[6:7], v13, off offset:-2
	s_waitcnt lgkmcnt(0)
	v_div_scale_f32 v13, s[4:5], s3, s3, v11
	v_div_scale_f32 v15, s[4:5], s3, s3, v12
	v_rcp_f32_e32 v17, v13
	v_rcp_f32_e32 v18, v15
	v_div_scale_f32 v14, vcc, v11, s3, v11
	v_fma_f32 v19, -v13, v17, 1.0
	v_fma_f32 v22, -v15, v18, 1.0
	v_fmac_f32_e32 v17, v19, v17
	v_div_scale_f32 v16, s[4:5], v12, s3, v12
	v_fmac_f32_e32 v18, v22, v18
	v_mul_f32_e32 v19, v14, v17
	v_mul_f32_e32 v22, v16, v18
	v_fma_f32 v23, -v13, v19, v14
	v_fma_f32 v24, -v15, v22, v16
	v_fmac_f32_e32 v19, v23, v17
	v_fmac_f32_e32 v22, v24, v18
	v_fma_f32 v13, -v13, v19, v14
	v_fma_f32 v14, -v15, v22, v16
	v_div_fmas_f32 v13, v13, v17, v19
	s_mov_b64 vcc, s[4:5]
	v_div_fixup_f32 v11, v13, s3, v11
	v_div_fmas_f32 v13, v14, v18, v22
	v_med3_f32 v14, v11, s43, v9
	v_div_fixup_f32 v12, v13, s3, v12
	v_cmp_nlg_f32_e64 vcc, |v11|, s42
	v_med3_f32 v13, v12, s43, v9
	v_lshl_add_u64 v[6:7], v[6:7], 0, s[8:9]
	v_cndmask_b32_e32 v11, v14, v11, vcc
	v_cmp_nlg_f32_e64 vcc, |v12|, s42
	v_cvt_pk_fp8_f32 v20, v11, v11
	s_nop 0
	v_cndmask_b32_e32 v12, v13, v12, vcc
	v_cvt_pk_fp8_f32 v21, v12, v12
	v_lshlrev_b16_e32 v11, 8, v21
	v_or_b32_sdwa v11, v20, v11 dst_sel:DWORD dst_unused:UNUSED_PAD src0_sel:BYTE_0 src1_sel:DWORD
	global_store_short v[2:3], v11, off offset:-1
	v_lshl_add_u64 v[2:3], v[2:3], 0, s[28:29]
	s_andn2_b64 exec, exec, s[12:13]
	s_cbranch_execnz .LBB107_9
.LBB107_10:
	s_or_b64 exec, exec, s[26:27]
	v_cmp_gt_i32_e32 vcc, s18, v0
	s_and_saveexec_b64 s[4:5], vcc
	s_cbranch_execz .LBB107_13
; %bb.11:
	s_mul_i32 s3, s2, s11
	s_mul_hi_u32 s4, s2, s10
	s_add_i32 s3, s4, s3
	s_mul_i32 s2, s2, s10
	s_lshl_b64 s[2:3], s[2:3], 1
	s_add_u32 s2, s14, s2
	s_addc_u32 s3, s15, s3
	s_ashr_i32 s4, s16, 31
	s_mul_i32 s4, s30, s4
	s_add_i32 s4, s37, s4
	s_add_i32 s4, s4, s38
	s_add_u32 s5, s20, s39
	s_addc_u32 s4, s21, s4
	s_ashr_i32 s6, s17, 31
	s_mul_i32 s33, s33, s6
	s_add_i32 s6, s36, s33
	s_add_i32 s6, s6, s19
	s_load_dword s7, s[0:1], 0x8c
	s_add_u32 s0, s5, s31
	s_addc_u32 s1, s4, s6
	s_waitcnt lgkmcnt(0)
	s_load_dword s6, s[34:35], 0x0
	s_mov_b64 s[4:5], 0
	s_and_b32 s7, s7, 0xffff
	s_mov_b32 s8, 0x7f800000
	s_mov_b32 s9, 0x43700000
	v_mov_b32_e32 v2, 0xc3700000
.LBB107_12:                             ; =>This Inner Loop Header: Depth=1
	v_ashrrev_i32_e32 v1, 31, v0
	v_lshl_add_u64 v[4:5], v[0:1], 1, s[2:3]
	global_load_ushort v3, v[4:5], off
	v_mov_b32_e32 v6, 0
	s_waitcnt vmcnt(0)
	v_lshlrev_b32_e32 v3, 16, v3
	s_waitcnt lgkmcnt(0)
	v_div_scale_f32 v4, s[10:11], s6, s6, v3
	v_rcp_f32_e32 v5, v4
	v_div_scale_f32 v7, vcc, v3, s6, v3
	v_fma_f32 v8, -v4, v5, 1.0
	v_fmac_f32_e32 v5, v8, v5
	v_mul_f32_e32 v8, v7, v5
	v_fma_f32 v9, -v4, v8, v7
	v_fmac_f32_e32 v8, v9, v5
	v_fma_f32 v4, -v4, v8, v7
	v_div_fmas_f32 v4, v4, v5, v8
	v_div_fixup_f32 v3, v4, s6, v3
	v_med3_f32 v4, v3, s9, v2
	v_cmp_nlg_f32_e64 vcc, |v3|, s8
	s_nop 1
	v_cndmask_b32_e32 v3, v4, v3, vcc
	v_cvt_pk_fp8_f32 v6, v3, v3
	v_lshl_add_u64 v[4:5], s[0:1], 0, v[0:1]
	v_add_u32_e32 v0, s7, v0
	v_cmp_le_i32_e32 vcc, s18, v0
	s_or_b64 s[4:5], vcc, s[4:5]
	global_store_byte v[4:5], v6, off
	s_andn2_b64 exec, exec, s[4:5]
	s_cbranch_execnz .LBB107_12
.LBB107_13:
	s_endpgm
.LBB107_14:
                                        ; implicit-def: $sgpr30_sgpr31
	s_branch .LBB107_6
	.section	.rodata,"a",@progbits
	.p2align	6, 0x0
	.amdhsa_kernel _ZN4vllm38concat_and_cache_mla_rope_fused_kernelIN3c108BFloat16ES2_Lb0E14__hip_bfloat16hLNS_18Fp8KVCacheDataTypeE1EEEvPKlPT_S8_PKS7_PKT0_illlliPT3_S6_iiiiPKf
		.amdhsa_group_segment_fixed_size 0
		.amdhsa_private_segment_fixed_size 0
		.amdhsa_kernarg_size 384
		.amdhsa_user_sgpr_count 2
		.amdhsa_user_sgpr_dispatch_ptr 0
		.amdhsa_user_sgpr_queue_ptr 0
		.amdhsa_user_sgpr_kernarg_segment_ptr 1
		.amdhsa_user_sgpr_dispatch_id 0
		.amdhsa_user_sgpr_kernarg_preload_length 0
		.amdhsa_user_sgpr_kernarg_preload_offset 0
		.amdhsa_user_sgpr_private_segment_size 0
		.amdhsa_uses_dynamic_stack 0
		.amdhsa_enable_private_segment 0
		.amdhsa_system_sgpr_workgroup_id_x 1
		.amdhsa_system_sgpr_workgroup_id_y 0
		.amdhsa_system_sgpr_workgroup_id_z 0
		.amdhsa_system_sgpr_workgroup_info 0
		.amdhsa_system_vgpr_workitem_id 0
		.amdhsa_next_free_vgpr 25
		.amdhsa_next_free_sgpr 44
		.amdhsa_accum_offset 28
		.amdhsa_reserve_vcc 1
		.amdhsa_float_round_mode_32 0
		.amdhsa_float_round_mode_16_64 0
		.amdhsa_float_denorm_mode_32 3
		.amdhsa_float_denorm_mode_16_64 3
		.amdhsa_dx10_clamp 1
		.amdhsa_ieee_mode 1
		.amdhsa_fp16_overflow 0
		.amdhsa_tg_split 0
		.amdhsa_exception_fp_ieee_invalid_op 0
		.amdhsa_exception_fp_denorm_src 0
		.amdhsa_exception_fp_ieee_div_zero 0
		.amdhsa_exception_fp_ieee_overflow 0
		.amdhsa_exception_fp_ieee_underflow 0
		.amdhsa_exception_fp_ieee_inexact 0
		.amdhsa_exception_int_div_zero 0
	.end_amdhsa_kernel
	.section	.text._ZN4vllm38concat_and_cache_mla_rope_fused_kernelIN3c108BFloat16ES2_Lb0E14__hip_bfloat16hLNS_18Fp8KVCacheDataTypeE1EEEvPKlPT_S8_PKS7_PKT0_illlliPT3_S6_iiiiPKf,"axG",@progbits,_ZN4vllm38concat_and_cache_mla_rope_fused_kernelIN3c108BFloat16ES2_Lb0E14__hip_bfloat16hLNS_18Fp8KVCacheDataTypeE1EEEvPKlPT_S8_PKS7_PKT0_illlliPT3_S6_iiiiPKf,comdat
.Lfunc_end107:
	.size	_ZN4vllm38concat_and_cache_mla_rope_fused_kernelIN3c108BFloat16ES2_Lb0E14__hip_bfloat16hLNS_18Fp8KVCacheDataTypeE1EEEvPKlPT_S8_PKS7_PKT0_illlliPT3_S6_iiiiPKf, .Lfunc_end107-_ZN4vllm38concat_and_cache_mla_rope_fused_kernelIN3c108BFloat16ES2_Lb0E14__hip_bfloat16hLNS_18Fp8KVCacheDataTypeE1EEEvPKlPT_S8_PKS7_PKT0_illlliPT3_S6_iiiiPKf
                                        ; -- End function
	.section	.AMDGPU.csdata,"",@progbits
; Kernel info:
; codeLenInByte = 2888
; NumSgprs: 50
; NumVgprs: 25
; NumAgprs: 0
; TotalNumVgprs: 25
; ScratchSize: 0
; MemoryBound: 0
; FloatMode: 240
; IeeeMode: 1
; LDSByteSize: 0 bytes/workgroup (compile time only)
; SGPRBlocks: 6
; VGPRBlocks: 3
; NumSGPRsForWavesPerEU: 50
; NumVGPRsForWavesPerEU: 25
; AccumOffset: 28
; Occupancy: 8
; WaveLimiterHint : 1
; COMPUTE_PGM_RSRC2:SCRATCH_EN: 0
; COMPUTE_PGM_RSRC2:USER_SGPR: 2
; COMPUTE_PGM_RSRC2:TRAP_HANDLER: 0
; COMPUTE_PGM_RSRC2:TGID_X_EN: 1
; COMPUTE_PGM_RSRC2:TGID_Y_EN: 0
; COMPUTE_PGM_RSRC2:TGID_Z_EN: 0
; COMPUTE_PGM_RSRC2:TIDIG_COMP_CNT: 0
; COMPUTE_PGM_RSRC3_GFX90A:ACCUM_OFFSET: 6
; COMPUTE_PGM_RSRC3_GFX90A:TG_SPLIT: 0
	.text
	.p2alignl 6, 3212836864
	.fill 256, 4, 3212836864
	.type	__hip_cuid_653c89a98338d88b,@object ; @__hip_cuid_653c89a98338d88b
	.section	.bss,"aw",@nobits
	.globl	__hip_cuid_653c89a98338d88b
__hip_cuid_653c89a98338d88b:
	.byte	0                               ; 0x0
	.size	__hip_cuid_653c89a98338d88b, 1

	.ident	"AMD clang version 19.0.0git (https://github.com/RadeonOpenCompute/llvm-project roc-6.4.0 25133 c7fe45cf4b819c5991fe208aaa96edf142730f1d)"
	.section	".note.GNU-stack","",@progbits
	.addrsig
	.addrsig_sym __hip_cuid_653c89a98338d88b
	.amdgpu_metadata
---
amdhsa.kernels:
  - .agpr_count:     0
    .args:
      - .actual_access:  read_only
        .address_space:  global
        .offset:         0
        .size:           8
        .value_kind:     global_buffer
      - .address_space:  global
        .offset:         8
        .size:           8
        .value_kind:     global_buffer
      - .address_space:  global
        .offset:         16
        .size:           8
        .value_kind:     global_buffer
      - .actual_access:  read_only
        .address_space:  global
        .offset:         24
        .size:           8
        .value_kind:     global_buffer
      - .actual_access:  read_only
        .address_space:  global
        .offset:         32
        .size:           8
        .value_kind:     global_buffer
      - .offset:         40
        .size:           4
        .value_kind:     by_value
      - .offset:         48
        .size:           8
        .value_kind:     by_value
      - .offset:         56
        .size:           8
        .value_kind:     by_value
      - .offset:         64
        .size:           8
        .value_kind:     by_value
      - .offset:         72
        .size:           8
        .value_kind:     by_value
      - .offset:         80
        .size:           4
        .value_kind:     by_value
      - .actual_access:  write_only
        .address_space:  global
        .offset:         88
        .size:           8
        .value_kind:     global_buffer
      - .actual_access:  read_only
        .address_space:  global
        .offset:         96
        .size:           8
        .value_kind:     global_buffer
      - .offset:         104
        .size:           4
        .value_kind:     by_value
      - .offset:         108
        .size:           4
        .value_kind:     by_value
      - .offset:         112
        .size:           4
        .value_kind:     by_value
      - .offset:         116
        .size:           4
        .value_kind:     by_value
      - .address_space:  global
        .offset:         120
        .size:           8
        .value_kind:     global_buffer
      - .offset:         128
        .size:           4
        .value_kind:     hidden_block_count_x
      - .offset:         132
        .size:           4
        .value_kind:     hidden_block_count_y
      - .offset:         136
        .size:           4
        .value_kind:     hidden_block_count_z
      - .offset:         140
        .size:           2
        .value_kind:     hidden_group_size_x
      - .offset:         142
        .size:           2
        .value_kind:     hidden_group_size_y
      - .offset:         144
        .size:           2
        .value_kind:     hidden_group_size_z
      - .offset:         146
        .size:           2
        .value_kind:     hidden_remainder_x
      - .offset:         148
        .size:           2
        .value_kind:     hidden_remainder_y
      - .offset:         150
        .size:           2
        .value_kind:     hidden_remainder_z
      - .offset:         168
        .size:           8
        .value_kind:     hidden_global_offset_x
      - .offset:         176
        .size:           8
        .value_kind:     hidden_global_offset_y
      - .offset:         184
        .size:           8
        .value_kind:     hidden_global_offset_z
      - .offset:         192
        .size:           2
        .value_kind:     hidden_grid_dims
    .group_segment_fixed_size: 0
    .kernarg_segment_align: 8
    .kernarg_segment_size: 384
    .language:       OpenCL C
    .language_version:
      - 2
      - 0
    .max_flat_workgroup_size: 1024
    .name:           _ZN4vllm38concat_and_cache_mla_rope_fused_kernelIffLb1EffLNS_18Fp8KVCacheDataTypeE0EEEvPKlPT_S5_PKS4_PKT0_illlliPT3_S3_iiiiPKf
    .private_segment_fixed_size: 0
    .sgpr_count:     54
    .sgpr_spill_count: 0
    .symbol:         _ZN4vllm38concat_and_cache_mla_rope_fused_kernelIffLb1EffLNS_18Fp8KVCacheDataTypeE0EEEvPKlPT_S5_PKS4_PKT0_illlliPT3_S3_iiiiPKf.kd
    .uniform_work_group_size: 1
    .uses_dynamic_stack: false
    .vgpr_count:     17
    .vgpr_spill_count: 0
    .wavefront_size: 64
  - .agpr_count:     0
    .args:
      - .actual_access:  read_only
        .address_space:  global
        .offset:         0
        .size:           8
        .value_kind:     global_buffer
      - .address_space:  global
        .offset:         8
        .size:           8
        .value_kind:     global_buffer
      - .address_space:  global
        .offset:         16
        .size:           8
        .value_kind:     global_buffer
      - .actual_access:  read_only
        .address_space:  global
        .offset:         24
        .size:           8
        .value_kind:     global_buffer
      - .actual_access:  read_only
        .address_space:  global
        .offset:         32
        .size:           8
        .value_kind:     global_buffer
      - .offset:         40
        .size:           4
        .value_kind:     by_value
      - .offset:         48
        .size:           8
        .value_kind:     by_value
      - .offset:         56
        .size:           8
        .value_kind:     by_value
      - .offset:         64
        .size:           8
        .value_kind:     by_value
      - .offset:         72
        .size:           8
        .value_kind:     by_value
      - .offset:         80
        .size:           4
        .value_kind:     by_value
      - .actual_access:  write_only
        .address_space:  global
        .offset:         88
        .size:           8
        .value_kind:     global_buffer
      - .actual_access:  read_only
        .address_space:  global
        .offset:         96
        .size:           8
        .value_kind:     global_buffer
      - .offset:         104
        .size:           4
        .value_kind:     by_value
      - .offset:         108
        .size:           4
        .value_kind:     by_value
      - .offset:         112
        .size:           4
        .value_kind:     by_value
      - .offset:         116
        .size:           4
        .value_kind:     by_value
      - .address_space:  global
        .offset:         120
        .size:           8
        .value_kind:     global_buffer
      - .offset:         128
        .size:           4
        .value_kind:     hidden_block_count_x
      - .offset:         132
        .size:           4
        .value_kind:     hidden_block_count_y
      - .offset:         136
        .size:           4
        .value_kind:     hidden_block_count_z
      - .offset:         140
        .size:           2
        .value_kind:     hidden_group_size_x
      - .offset:         142
        .size:           2
        .value_kind:     hidden_group_size_y
      - .offset:         144
        .size:           2
        .value_kind:     hidden_group_size_z
      - .offset:         146
        .size:           2
        .value_kind:     hidden_remainder_x
      - .offset:         148
        .size:           2
        .value_kind:     hidden_remainder_y
      - .offset:         150
        .size:           2
        .value_kind:     hidden_remainder_z
      - .offset:         168
        .size:           8
        .value_kind:     hidden_global_offset_x
      - .offset:         176
        .size:           8
        .value_kind:     hidden_global_offset_y
      - .offset:         184
        .size:           8
        .value_kind:     hidden_global_offset_z
      - .offset:         192
        .size:           2
        .value_kind:     hidden_grid_dims
    .group_segment_fixed_size: 0
    .kernarg_segment_align: 8
    .kernarg_segment_size: 384
    .language:       OpenCL C
    .language_version:
      - 2
      - 0
    .max_flat_workgroup_size: 1024
    .name:           _ZN4vllm38concat_and_cache_mla_rope_fused_kernelIffLb0EffLNS_18Fp8KVCacheDataTypeE0EEEvPKlPT_S5_PKS4_PKT0_illlliPT3_S3_iiiiPKf
    .private_segment_fixed_size: 0
    .sgpr_count:     49
    .sgpr_spill_count: 0
    .symbol:         _ZN4vllm38concat_and_cache_mla_rope_fused_kernelIffLb0EffLNS_18Fp8KVCacheDataTypeE0EEEvPKlPT_S5_PKS4_PKT0_illlliPT3_S3_iiiiPKf.kd
    .uniform_work_group_size: 1
    .uses_dynamic_stack: false
    .vgpr_count:     20
    .vgpr_spill_count: 0
    .wavefront_size: 64
  - .agpr_count:     0
    .args:
      - .actual_access:  read_only
        .address_space:  global
        .offset:         0
        .size:           8
        .value_kind:     global_buffer
      - .address_space:  global
        .offset:         8
        .size:           8
        .value_kind:     global_buffer
      - .address_space:  global
        .offset:         16
        .size:           8
        .value_kind:     global_buffer
      - .actual_access:  read_only
        .address_space:  global
        .offset:         24
        .size:           8
        .value_kind:     global_buffer
      - .actual_access:  read_only
        .address_space:  global
        .offset:         32
        .size:           8
        .value_kind:     global_buffer
      - .offset:         40
        .size:           4
        .value_kind:     by_value
      - .offset:         48
        .size:           8
        .value_kind:     by_value
      - .offset:         56
        .size:           8
        .value_kind:     by_value
      - .offset:         64
        .size:           8
        .value_kind:     by_value
      - .offset:         72
        .size:           8
        .value_kind:     by_value
      - .offset:         80
        .size:           4
        .value_kind:     by_value
      - .actual_access:  write_only
        .address_space:  global
        .offset:         88
        .size:           8
        .value_kind:     global_buffer
      - .actual_access:  read_only
        .address_space:  global
        .offset:         96
        .size:           8
        .value_kind:     global_buffer
      - .offset:         104
        .size:           4
        .value_kind:     by_value
      - .offset:         108
        .size:           4
        .value_kind:     by_value
      - .offset:         112
        .size:           4
        .value_kind:     by_value
      - .offset:         116
        .size:           4
        .value_kind:     by_value
      - .address_space:  global
        .offset:         120
        .size:           8
        .value_kind:     global_buffer
      - .offset:         128
        .size:           4
        .value_kind:     hidden_block_count_x
      - .offset:         132
        .size:           4
        .value_kind:     hidden_block_count_y
      - .offset:         136
        .size:           4
        .value_kind:     hidden_block_count_z
      - .offset:         140
        .size:           2
        .value_kind:     hidden_group_size_x
      - .offset:         142
        .size:           2
        .value_kind:     hidden_group_size_y
      - .offset:         144
        .size:           2
        .value_kind:     hidden_group_size_z
      - .offset:         146
        .size:           2
        .value_kind:     hidden_remainder_x
      - .offset:         148
        .size:           2
        .value_kind:     hidden_remainder_y
      - .offset:         150
        .size:           2
        .value_kind:     hidden_remainder_z
      - .offset:         168
        .size:           8
        .value_kind:     hidden_global_offset_x
      - .offset:         176
        .size:           8
        .value_kind:     hidden_global_offset_y
      - .offset:         184
        .size:           8
        .value_kind:     hidden_global_offset_z
      - .offset:         192
        .size:           2
        .value_kind:     hidden_grid_dims
    .group_segment_fixed_size: 0
    .kernarg_segment_align: 8
    .kernarg_segment_size: 384
    .language:       OpenCL C
    .language_version:
      - 2
      - 0
    .max_flat_workgroup_size: 1024
    .name:           _ZN4vllm38concat_and_cache_mla_rope_fused_kernelIfN3c104HalfELb1EffLNS_18Fp8KVCacheDataTypeE0EEEvPKlPT_S7_PKS6_PKT0_illlliPT3_S5_iiiiPKf
    .private_segment_fixed_size: 0
    .sgpr_count:     52
    .sgpr_spill_count: 0
    .symbol:         _ZN4vllm38concat_and_cache_mla_rope_fused_kernelIfN3c104HalfELb1EffLNS_18Fp8KVCacheDataTypeE0EEEvPKlPT_S7_PKS6_PKT0_illlliPT3_S5_iiiiPKf.kd
    .uniform_work_group_size: 1
    .uses_dynamic_stack: false
    .vgpr_count:     20
    .vgpr_spill_count: 0
    .wavefront_size: 64
  - .agpr_count:     0
    .args:
      - .actual_access:  read_only
        .address_space:  global
        .offset:         0
        .size:           8
        .value_kind:     global_buffer
      - .address_space:  global
        .offset:         8
        .size:           8
        .value_kind:     global_buffer
      - .address_space:  global
        .offset:         16
        .size:           8
        .value_kind:     global_buffer
      - .actual_access:  read_only
        .address_space:  global
        .offset:         24
        .size:           8
        .value_kind:     global_buffer
      - .actual_access:  read_only
        .address_space:  global
        .offset:         32
        .size:           8
        .value_kind:     global_buffer
      - .offset:         40
        .size:           4
        .value_kind:     by_value
      - .offset:         48
        .size:           8
        .value_kind:     by_value
      - .offset:         56
        .size:           8
        .value_kind:     by_value
      - .offset:         64
        .size:           8
        .value_kind:     by_value
      - .offset:         72
        .size:           8
        .value_kind:     by_value
      - .offset:         80
        .size:           4
        .value_kind:     by_value
      - .actual_access:  write_only
        .address_space:  global
        .offset:         88
        .size:           8
        .value_kind:     global_buffer
      - .actual_access:  read_only
        .address_space:  global
        .offset:         96
        .size:           8
        .value_kind:     global_buffer
      - .offset:         104
        .size:           4
        .value_kind:     by_value
      - .offset:         108
        .size:           4
        .value_kind:     by_value
      - .offset:         112
        .size:           4
        .value_kind:     by_value
      - .offset:         116
        .size:           4
        .value_kind:     by_value
      - .address_space:  global
        .offset:         120
        .size:           8
        .value_kind:     global_buffer
      - .offset:         128
        .size:           4
        .value_kind:     hidden_block_count_x
      - .offset:         132
        .size:           4
        .value_kind:     hidden_block_count_y
      - .offset:         136
        .size:           4
        .value_kind:     hidden_block_count_z
      - .offset:         140
        .size:           2
        .value_kind:     hidden_group_size_x
      - .offset:         142
        .size:           2
        .value_kind:     hidden_group_size_y
      - .offset:         144
        .size:           2
        .value_kind:     hidden_group_size_z
      - .offset:         146
        .size:           2
        .value_kind:     hidden_remainder_x
      - .offset:         148
        .size:           2
        .value_kind:     hidden_remainder_y
      - .offset:         150
        .size:           2
        .value_kind:     hidden_remainder_z
      - .offset:         168
        .size:           8
        .value_kind:     hidden_global_offset_x
      - .offset:         176
        .size:           8
        .value_kind:     hidden_global_offset_y
      - .offset:         184
        .size:           8
        .value_kind:     hidden_global_offset_z
      - .offset:         192
        .size:           2
        .value_kind:     hidden_grid_dims
    .group_segment_fixed_size: 0
    .kernarg_segment_align: 8
    .kernarg_segment_size: 384
    .language:       OpenCL C
    .language_version:
      - 2
      - 0
    .max_flat_workgroup_size: 1024
    .name:           _ZN4vllm38concat_and_cache_mla_rope_fused_kernelIfN3c104HalfELb0EffLNS_18Fp8KVCacheDataTypeE0EEEvPKlPT_S7_PKS6_PKT0_illlliPT3_S5_iiiiPKf
    .private_segment_fixed_size: 0
    .sgpr_count:     49
    .sgpr_spill_count: 0
    .symbol:         _ZN4vllm38concat_and_cache_mla_rope_fused_kernelIfN3c104HalfELb0EffLNS_18Fp8KVCacheDataTypeE0EEEvPKlPT_S7_PKS6_PKT0_illlliPT3_S5_iiiiPKf.kd
    .uniform_work_group_size: 1
    .uses_dynamic_stack: false
    .vgpr_count:     20
    .vgpr_spill_count: 0
    .wavefront_size: 64
  - .agpr_count:     0
    .args:
      - .actual_access:  read_only
        .address_space:  global
        .offset:         0
        .size:           8
        .value_kind:     global_buffer
      - .address_space:  global
        .offset:         8
        .size:           8
        .value_kind:     global_buffer
      - .address_space:  global
        .offset:         16
        .size:           8
        .value_kind:     global_buffer
      - .actual_access:  read_only
        .address_space:  global
        .offset:         24
        .size:           8
        .value_kind:     global_buffer
      - .actual_access:  read_only
        .address_space:  global
        .offset:         32
        .size:           8
        .value_kind:     global_buffer
      - .offset:         40
        .size:           4
        .value_kind:     by_value
      - .offset:         48
        .size:           8
        .value_kind:     by_value
      - .offset:         56
        .size:           8
        .value_kind:     by_value
      - .offset:         64
        .size:           8
        .value_kind:     by_value
      - .offset:         72
        .size:           8
        .value_kind:     by_value
      - .offset:         80
        .size:           4
        .value_kind:     by_value
      - .actual_access:  write_only
        .address_space:  global
        .offset:         88
        .size:           8
        .value_kind:     global_buffer
      - .actual_access:  read_only
        .address_space:  global
        .offset:         96
        .size:           8
        .value_kind:     global_buffer
      - .offset:         104
        .size:           4
        .value_kind:     by_value
      - .offset:         108
        .size:           4
        .value_kind:     by_value
      - .offset:         112
        .size:           4
        .value_kind:     by_value
      - .offset:         116
        .size:           4
        .value_kind:     by_value
      - .address_space:  global
        .offset:         120
        .size:           8
        .value_kind:     global_buffer
      - .offset:         128
        .size:           4
        .value_kind:     hidden_block_count_x
      - .offset:         132
        .size:           4
        .value_kind:     hidden_block_count_y
      - .offset:         136
        .size:           4
        .value_kind:     hidden_block_count_z
      - .offset:         140
        .size:           2
        .value_kind:     hidden_group_size_x
      - .offset:         142
        .size:           2
        .value_kind:     hidden_group_size_y
      - .offset:         144
        .size:           2
        .value_kind:     hidden_group_size_z
      - .offset:         146
        .size:           2
        .value_kind:     hidden_remainder_x
      - .offset:         148
        .size:           2
        .value_kind:     hidden_remainder_y
      - .offset:         150
        .size:           2
        .value_kind:     hidden_remainder_z
      - .offset:         168
        .size:           8
        .value_kind:     hidden_global_offset_x
      - .offset:         176
        .size:           8
        .value_kind:     hidden_global_offset_y
      - .offset:         184
        .size:           8
        .value_kind:     hidden_global_offset_z
      - .offset:         192
        .size:           2
        .value_kind:     hidden_grid_dims
    .group_segment_fixed_size: 0
    .kernarg_segment_align: 8
    .kernarg_segment_size: 384
    .language:       OpenCL C
    .language_version:
      - 2
      - 0
    .max_flat_workgroup_size: 1024
    .name:           _ZN4vllm38concat_and_cache_mla_rope_fused_kernelIfN3c108BFloat16ELb1EffLNS_18Fp8KVCacheDataTypeE0EEEvPKlPT_S7_PKS6_PKT0_illlliPT3_S5_iiiiPKf
    .private_segment_fixed_size: 0
    .sgpr_count:     52
    .sgpr_spill_count: 0
    .symbol:         _ZN4vllm38concat_and_cache_mla_rope_fused_kernelIfN3c108BFloat16ELb1EffLNS_18Fp8KVCacheDataTypeE0EEEvPKlPT_S7_PKS6_PKT0_illlliPT3_S5_iiiiPKf.kd
    .uniform_work_group_size: 1
    .uses_dynamic_stack: false
    .vgpr_count:     19
    .vgpr_spill_count: 0
    .wavefront_size: 64
  - .agpr_count:     0
    .args:
      - .actual_access:  read_only
        .address_space:  global
        .offset:         0
        .size:           8
        .value_kind:     global_buffer
      - .address_space:  global
        .offset:         8
        .size:           8
        .value_kind:     global_buffer
      - .address_space:  global
        .offset:         16
        .size:           8
        .value_kind:     global_buffer
      - .actual_access:  read_only
        .address_space:  global
        .offset:         24
        .size:           8
        .value_kind:     global_buffer
      - .actual_access:  read_only
        .address_space:  global
        .offset:         32
        .size:           8
        .value_kind:     global_buffer
      - .offset:         40
        .size:           4
        .value_kind:     by_value
      - .offset:         48
        .size:           8
        .value_kind:     by_value
      - .offset:         56
        .size:           8
        .value_kind:     by_value
      - .offset:         64
        .size:           8
        .value_kind:     by_value
      - .offset:         72
        .size:           8
        .value_kind:     by_value
      - .offset:         80
        .size:           4
        .value_kind:     by_value
      - .actual_access:  write_only
        .address_space:  global
        .offset:         88
        .size:           8
        .value_kind:     global_buffer
      - .actual_access:  read_only
        .address_space:  global
        .offset:         96
        .size:           8
        .value_kind:     global_buffer
      - .offset:         104
        .size:           4
        .value_kind:     by_value
      - .offset:         108
        .size:           4
        .value_kind:     by_value
      - .offset:         112
        .size:           4
        .value_kind:     by_value
      - .offset:         116
        .size:           4
        .value_kind:     by_value
      - .address_space:  global
        .offset:         120
        .size:           8
        .value_kind:     global_buffer
      - .offset:         128
        .size:           4
        .value_kind:     hidden_block_count_x
      - .offset:         132
        .size:           4
        .value_kind:     hidden_block_count_y
      - .offset:         136
        .size:           4
        .value_kind:     hidden_block_count_z
      - .offset:         140
        .size:           2
        .value_kind:     hidden_group_size_x
      - .offset:         142
        .size:           2
        .value_kind:     hidden_group_size_y
      - .offset:         144
        .size:           2
        .value_kind:     hidden_group_size_z
      - .offset:         146
        .size:           2
        .value_kind:     hidden_remainder_x
      - .offset:         148
        .size:           2
        .value_kind:     hidden_remainder_y
      - .offset:         150
        .size:           2
        .value_kind:     hidden_remainder_z
      - .offset:         168
        .size:           8
        .value_kind:     hidden_global_offset_x
      - .offset:         176
        .size:           8
        .value_kind:     hidden_global_offset_y
      - .offset:         184
        .size:           8
        .value_kind:     hidden_global_offset_z
      - .offset:         192
        .size:           2
        .value_kind:     hidden_grid_dims
    .group_segment_fixed_size: 0
    .kernarg_segment_align: 8
    .kernarg_segment_size: 384
    .language:       OpenCL C
    .language_version:
      - 2
      - 0
    .max_flat_workgroup_size: 1024
    .name:           _ZN4vllm38concat_and_cache_mla_rope_fused_kernelIfN3c108BFloat16ELb0EffLNS_18Fp8KVCacheDataTypeE0EEEvPKlPT_S7_PKS6_PKT0_illlliPT3_S5_iiiiPKf
    .private_segment_fixed_size: 0
    .sgpr_count:     49
    .sgpr_spill_count: 0
    .symbol:         _ZN4vllm38concat_and_cache_mla_rope_fused_kernelIfN3c108BFloat16ELb0EffLNS_18Fp8KVCacheDataTypeE0EEEvPKlPT_S7_PKS6_PKT0_illlliPT3_S5_iiiiPKf.kd
    .uniform_work_group_size: 1
    .uses_dynamic_stack: false
    .vgpr_count:     20
    .vgpr_spill_count: 0
    .wavefront_size: 64
  - .agpr_count:     0
    .args:
      - .actual_access:  read_only
        .address_space:  global
        .offset:         0
        .size:           8
        .value_kind:     global_buffer
      - .address_space:  global
        .offset:         8
        .size:           8
        .value_kind:     global_buffer
      - .address_space:  global
        .offset:         16
        .size:           8
        .value_kind:     global_buffer
      - .actual_access:  read_only
        .address_space:  global
        .offset:         24
        .size:           8
        .value_kind:     global_buffer
      - .actual_access:  read_only
        .address_space:  global
        .offset:         32
        .size:           8
        .value_kind:     global_buffer
      - .offset:         40
        .size:           4
        .value_kind:     by_value
      - .offset:         48
        .size:           8
        .value_kind:     by_value
      - .offset:         56
        .size:           8
        .value_kind:     by_value
      - .offset:         64
        .size:           8
        .value_kind:     by_value
      - .offset:         72
        .size:           8
        .value_kind:     by_value
      - .offset:         80
        .size:           4
        .value_kind:     by_value
      - .actual_access:  write_only
        .address_space:  global
        .offset:         88
        .size:           8
        .value_kind:     global_buffer
      - .actual_access:  read_only
        .address_space:  global
        .offset:         96
        .size:           8
        .value_kind:     global_buffer
      - .offset:         104
        .size:           4
        .value_kind:     by_value
      - .offset:         108
        .size:           4
        .value_kind:     by_value
      - .offset:         112
        .size:           4
        .value_kind:     by_value
      - .offset:         116
        .size:           4
        .value_kind:     by_value
      - .address_space:  global
        .offset:         120
        .size:           8
        .value_kind:     global_buffer
      - .offset:         128
        .size:           4
        .value_kind:     hidden_block_count_x
      - .offset:         132
        .size:           4
        .value_kind:     hidden_block_count_y
      - .offset:         136
        .size:           4
        .value_kind:     hidden_block_count_z
      - .offset:         140
        .size:           2
        .value_kind:     hidden_group_size_x
      - .offset:         142
        .size:           2
        .value_kind:     hidden_group_size_y
      - .offset:         144
        .size:           2
        .value_kind:     hidden_group_size_z
      - .offset:         146
        .size:           2
        .value_kind:     hidden_remainder_x
      - .offset:         148
        .size:           2
        .value_kind:     hidden_remainder_y
      - .offset:         150
        .size:           2
        .value_kind:     hidden_remainder_z
      - .offset:         168
        .size:           8
        .value_kind:     hidden_global_offset_x
      - .offset:         176
        .size:           8
        .value_kind:     hidden_global_offset_y
      - .offset:         184
        .size:           8
        .value_kind:     hidden_global_offset_z
      - .offset:         192
        .size:           2
        .value_kind:     hidden_grid_dims
    .group_segment_fixed_size: 4096
    .kernarg_segment_align: 8
    .kernarg_segment_size: 384
    .language:       OpenCL C
    .language_version:
      - 2
      - 0
    .max_flat_workgroup_size: 1024
    .name:           _ZN4vllm38concat_and_cache_mla_rope_fused_kernelIN3c104HalfEfLb1EffLNS_18Fp8KVCacheDataTypeE0EEEvPKlPT_S7_PKS6_PKT0_illlliPT3_S5_iiiiPKf
    .private_segment_fixed_size: 0
    .sgpr_count:     53
    .sgpr_spill_count: 0
    .symbol:         _ZN4vllm38concat_and_cache_mla_rope_fused_kernelIN3c104HalfEfLb1EffLNS_18Fp8KVCacheDataTypeE0EEEvPKlPT_S7_PKS6_PKT0_illlliPT3_S5_iiiiPKf.kd
    .uniform_work_group_size: 1
    .uses_dynamic_stack: false
    .vgpr_count:     19
    .vgpr_spill_count: 0
    .wavefront_size: 64
  - .agpr_count:     0
    .args:
      - .actual_access:  read_only
        .address_space:  global
        .offset:         0
        .size:           8
        .value_kind:     global_buffer
      - .address_space:  global
        .offset:         8
        .size:           8
        .value_kind:     global_buffer
      - .address_space:  global
        .offset:         16
        .size:           8
        .value_kind:     global_buffer
      - .actual_access:  read_only
        .address_space:  global
        .offset:         24
        .size:           8
        .value_kind:     global_buffer
      - .actual_access:  read_only
        .address_space:  global
        .offset:         32
        .size:           8
        .value_kind:     global_buffer
      - .offset:         40
        .size:           4
        .value_kind:     by_value
      - .offset:         48
        .size:           8
        .value_kind:     by_value
      - .offset:         56
        .size:           8
        .value_kind:     by_value
      - .offset:         64
        .size:           8
        .value_kind:     by_value
      - .offset:         72
        .size:           8
        .value_kind:     by_value
      - .offset:         80
        .size:           4
        .value_kind:     by_value
      - .actual_access:  write_only
        .address_space:  global
        .offset:         88
        .size:           8
        .value_kind:     global_buffer
      - .actual_access:  read_only
        .address_space:  global
        .offset:         96
        .size:           8
        .value_kind:     global_buffer
      - .offset:         104
        .size:           4
        .value_kind:     by_value
      - .offset:         108
        .size:           4
        .value_kind:     by_value
      - .offset:         112
        .size:           4
        .value_kind:     by_value
      - .offset:         116
        .size:           4
        .value_kind:     by_value
      - .address_space:  global
        .offset:         120
        .size:           8
        .value_kind:     global_buffer
      - .offset:         128
        .size:           4
        .value_kind:     hidden_block_count_x
      - .offset:         132
        .size:           4
        .value_kind:     hidden_block_count_y
      - .offset:         136
        .size:           4
        .value_kind:     hidden_block_count_z
      - .offset:         140
        .size:           2
        .value_kind:     hidden_group_size_x
      - .offset:         142
        .size:           2
        .value_kind:     hidden_group_size_y
      - .offset:         144
        .size:           2
        .value_kind:     hidden_group_size_z
      - .offset:         146
        .size:           2
        .value_kind:     hidden_remainder_x
      - .offset:         148
        .size:           2
        .value_kind:     hidden_remainder_y
      - .offset:         150
        .size:           2
        .value_kind:     hidden_remainder_z
      - .offset:         168
        .size:           8
        .value_kind:     hidden_global_offset_x
      - .offset:         176
        .size:           8
        .value_kind:     hidden_global_offset_y
      - .offset:         184
        .size:           8
        .value_kind:     hidden_global_offset_z
      - .offset:         192
        .size:           2
        .value_kind:     hidden_grid_dims
    .group_segment_fixed_size: 4096
    .kernarg_segment_align: 8
    .kernarg_segment_size: 384
    .language:       OpenCL C
    .language_version:
      - 2
      - 0
    .max_flat_workgroup_size: 1024
    .name:           _ZN4vllm38concat_and_cache_mla_rope_fused_kernelIN3c104HalfEfLb0EffLNS_18Fp8KVCacheDataTypeE0EEEvPKlPT_S7_PKS6_PKT0_illlliPT3_S5_iiiiPKf
    .private_segment_fixed_size: 0
    .sgpr_count:     51
    .sgpr_spill_count: 0
    .symbol:         _ZN4vllm38concat_and_cache_mla_rope_fused_kernelIN3c104HalfEfLb0EffLNS_18Fp8KVCacheDataTypeE0EEEvPKlPT_S7_PKS6_PKT0_illlliPT3_S5_iiiiPKf.kd
    .uniform_work_group_size: 1
    .uses_dynamic_stack: false
    .vgpr_count:     21
    .vgpr_spill_count: 0
    .wavefront_size: 64
  - .agpr_count:     0
    .args:
      - .actual_access:  read_only
        .address_space:  global
        .offset:         0
        .size:           8
        .value_kind:     global_buffer
      - .address_space:  global
        .offset:         8
        .size:           8
        .value_kind:     global_buffer
      - .address_space:  global
        .offset:         16
        .size:           8
        .value_kind:     global_buffer
      - .actual_access:  read_only
        .address_space:  global
        .offset:         24
        .size:           8
        .value_kind:     global_buffer
      - .actual_access:  read_only
        .address_space:  global
        .offset:         32
        .size:           8
        .value_kind:     global_buffer
      - .offset:         40
        .size:           4
        .value_kind:     by_value
      - .offset:         48
        .size:           8
        .value_kind:     by_value
      - .offset:         56
        .size:           8
        .value_kind:     by_value
      - .offset:         64
        .size:           8
        .value_kind:     by_value
      - .offset:         72
        .size:           8
        .value_kind:     by_value
      - .offset:         80
        .size:           4
        .value_kind:     by_value
      - .actual_access:  write_only
        .address_space:  global
        .offset:         88
        .size:           8
        .value_kind:     global_buffer
      - .actual_access:  read_only
        .address_space:  global
        .offset:         96
        .size:           8
        .value_kind:     global_buffer
      - .offset:         104
        .size:           4
        .value_kind:     by_value
      - .offset:         108
        .size:           4
        .value_kind:     by_value
      - .offset:         112
        .size:           4
        .value_kind:     by_value
      - .offset:         116
        .size:           4
        .value_kind:     by_value
      - .address_space:  global
        .offset:         120
        .size:           8
        .value_kind:     global_buffer
      - .offset:         128
        .size:           4
        .value_kind:     hidden_block_count_x
      - .offset:         132
        .size:           4
        .value_kind:     hidden_block_count_y
      - .offset:         136
        .size:           4
        .value_kind:     hidden_block_count_z
      - .offset:         140
        .size:           2
        .value_kind:     hidden_group_size_x
      - .offset:         142
        .size:           2
        .value_kind:     hidden_group_size_y
      - .offset:         144
        .size:           2
        .value_kind:     hidden_group_size_z
      - .offset:         146
        .size:           2
        .value_kind:     hidden_remainder_x
      - .offset:         148
        .size:           2
        .value_kind:     hidden_remainder_y
      - .offset:         150
        .size:           2
        .value_kind:     hidden_remainder_z
      - .offset:         168
        .size:           8
        .value_kind:     hidden_global_offset_x
      - .offset:         176
        .size:           8
        .value_kind:     hidden_global_offset_y
      - .offset:         184
        .size:           8
        .value_kind:     hidden_global_offset_z
      - .offset:         192
        .size:           2
        .value_kind:     hidden_grid_dims
    .group_segment_fixed_size: 4096
    .kernarg_segment_align: 8
    .kernarg_segment_size: 384
    .language:       OpenCL C
    .language_version:
      - 2
      - 0
    .max_flat_workgroup_size: 1024
    .name:           _ZN4vllm38concat_and_cache_mla_rope_fused_kernelIN3c104HalfES2_Lb1EffLNS_18Fp8KVCacheDataTypeE0EEEvPKlPT_S7_PKS6_PKT0_illlliPT3_S5_iiiiPKf
    .private_segment_fixed_size: 0
    .sgpr_count:     53
    .sgpr_spill_count: 0
    .symbol:         _ZN4vllm38concat_and_cache_mla_rope_fused_kernelIN3c104HalfES2_Lb1EffLNS_18Fp8KVCacheDataTypeE0EEEvPKlPT_S7_PKS6_PKT0_illlliPT3_S5_iiiiPKf.kd
    .uniform_work_group_size: 1
    .uses_dynamic_stack: false
    .vgpr_count:     20
    .vgpr_spill_count: 0
    .wavefront_size: 64
  - .agpr_count:     0
    .args:
      - .actual_access:  read_only
        .address_space:  global
        .offset:         0
        .size:           8
        .value_kind:     global_buffer
      - .address_space:  global
        .offset:         8
        .size:           8
        .value_kind:     global_buffer
      - .address_space:  global
        .offset:         16
        .size:           8
        .value_kind:     global_buffer
      - .actual_access:  read_only
        .address_space:  global
        .offset:         24
        .size:           8
        .value_kind:     global_buffer
      - .actual_access:  read_only
        .address_space:  global
        .offset:         32
        .size:           8
        .value_kind:     global_buffer
      - .offset:         40
        .size:           4
        .value_kind:     by_value
      - .offset:         48
        .size:           8
        .value_kind:     by_value
      - .offset:         56
        .size:           8
        .value_kind:     by_value
      - .offset:         64
        .size:           8
        .value_kind:     by_value
      - .offset:         72
        .size:           8
        .value_kind:     by_value
      - .offset:         80
        .size:           4
        .value_kind:     by_value
      - .actual_access:  write_only
        .address_space:  global
        .offset:         88
        .size:           8
        .value_kind:     global_buffer
      - .actual_access:  read_only
        .address_space:  global
        .offset:         96
        .size:           8
        .value_kind:     global_buffer
      - .offset:         104
        .size:           4
        .value_kind:     by_value
      - .offset:         108
        .size:           4
        .value_kind:     by_value
      - .offset:         112
        .size:           4
        .value_kind:     by_value
      - .offset:         116
        .size:           4
        .value_kind:     by_value
      - .address_space:  global
        .offset:         120
        .size:           8
        .value_kind:     global_buffer
      - .offset:         128
        .size:           4
        .value_kind:     hidden_block_count_x
      - .offset:         132
        .size:           4
        .value_kind:     hidden_block_count_y
      - .offset:         136
        .size:           4
        .value_kind:     hidden_block_count_z
      - .offset:         140
        .size:           2
        .value_kind:     hidden_group_size_x
      - .offset:         142
        .size:           2
        .value_kind:     hidden_group_size_y
      - .offset:         144
        .size:           2
        .value_kind:     hidden_group_size_z
      - .offset:         146
        .size:           2
        .value_kind:     hidden_remainder_x
      - .offset:         148
        .size:           2
        .value_kind:     hidden_remainder_y
      - .offset:         150
        .size:           2
        .value_kind:     hidden_remainder_z
      - .offset:         168
        .size:           8
        .value_kind:     hidden_global_offset_x
      - .offset:         176
        .size:           8
        .value_kind:     hidden_global_offset_y
      - .offset:         184
        .size:           8
        .value_kind:     hidden_global_offset_z
      - .offset:         192
        .size:           2
        .value_kind:     hidden_grid_dims
    .group_segment_fixed_size: 4096
    .kernarg_segment_align: 8
    .kernarg_segment_size: 384
    .language:       OpenCL C
    .language_version:
      - 2
      - 0
    .max_flat_workgroup_size: 1024
    .name:           _ZN4vllm38concat_and_cache_mla_rope_fused_kernelIN3c104HalfES2_Lb0EffLNS_18Fp8KVCacheDataTypeE0EEEvPKlPT_S7_PKS6_PKT0_illlliPT3_S5_iiiiPKf
    .private_segment_fixed_size: 0
    .sgpr_count:     51
    .sgpr_spill_count: 0
    .symbol:         _ZN4vllm38concat_and_cache_mla_rope_fused_kernelIN3c104HalfES2_Lb0EffLNS_18Fp8KVCacheDataTypeE0EEEvPKlPT_S7_PKS6_PKT0_illlliPT3_S5_iiiiPKf.kd
    .uniform_work_group_size: 1
    .uses_dynamic_stack: false
    .vgpr_count:     18
    .vgpr_spill_count: 0
    .wavefront_size: 64
  - .agpr_count:     0
    .args:
      - .actual_access:  read_only
        .address_space:  global
        .offset:         0
        .size:           8
        .value_kind:     global_buffer
      - .address_space:  global
        .offset:         8
        .size:           8
        .value_kind:     global_buffer
      - .address_space:  global
        .offset:         16
        .size:           8
        .value_kind:     global_buffer
      - .actual_access:  read_only
        .address_space:  global
        .offset:         24
        .size:           8
        .value_kind:     global_buffer
      - .actual_access:  read_only
        .address_space:  global
        .offset:         32
        .size:           8
        .value_kind:     global_buffer
      - .offset:         40
        .size:           4
        .value_kind:     by_value
      - .offset:         48
        .size:           8
        .value_kind:     by_value
      - .offset:         56
        .size:           8
        .value_kind:     by_value
      - .offset:         64
        .size:           8
        .value_kind:     by_value
      - .offset:         72
        .size:           8
        .value_kind:     by_value
      - .offset:         80
        .size:           4
        .value_kind:     by_value
      - .actual_access:  write_only
        .address_space:  global
        .offset:         88
        .size:           8
        .value_kind:     global_buffer
      - .actual_access:  read_only
        .address_space:  global
        .offset:         96
        .size:           8
        .value_kind:     global_buffer
      - .offset:         104
        .size:           4
        .value_kind:     by_value
      - .offset:         108
        .size:           4
        .value_kind:     by_value
      - .offset:         112
        .size:           4
        .value_kind:     by_value
      - .offset:         116
        .size:           4
        .value_kind:     by_value
      - .address_space:  global
        .offset:         120
        .size:           8
        .value_kind:     global_buffer
      - .offset:         128
        .size:           4
        .value_kind:     hidden_block_count_x
      - .offset:         132
        .size:           4
        .value_kind:     hidden_block_count_y
      - .offset:         136
        .size:           4
        .value_kind:     hidden_block_count_z
      - .offset:         140
        .size:           2
        .value_kind:     hidden_group_size_x
      - .offset:         142
        .size:           2
        .value_kind:     hidden_group_size_y
      - .offset:         144
        .size:           2
        .value_kind:     hidden_group_size_z
      - .offset:         146
        .size:           2
        .value_kind:     hidden_remainder_x
      - .offset:         148
        .size:           2
        .value_kind:     hidden_remainder_y
      - .offset:         150
        .size:           2
        .value_kind:     hidden_remainder_z
      - .offset:         168
        .size:           8
        .value_kind:     hidden_global_offset_x
      - .offset:         176
        .size:           8
        .value_kind:     hidden_global_offset_y
      - .offset:         184
        .size:           8
        .value_kind:     hidden_global_offset_z
      - .offset:         192
        .size:           2
        .value_kind:     hidden_grid_dims
    .group_segment_fixed_size: 4096
    .kernarg_segment_align: 8
    .kernarg_segment_size: 384
    .language:       OpenCL C
    .language_version:
      - 2
      - 0
    .max_flat_workgroup_size: 1024
    .name:           _ZN4vllm38concat_and_cache_mla_rope_fused_kernelIN3c104HalfENS1_8BFloat16ELb1EffLNS_18Fp8KVCacheDataTypeE0EEEvPKlPT_S8_PKS7_PKT0_illlliPT3_S6_iiiiPKf
    .private_segment_fixed_size: 0
    .sgpr_count:     53
    .sgpr_spill_count: 0
    .symbol:         _ZN4vllm38concat_and_cache_mla_rope_fused_kernelIN3c104HalfENS1_8BFloat16ELb1EffLNS_18Fp8KVCacheDataTypeE0EEEvPKlPT_S8_PKS7_PKT0_illlliPT3_S6_iiiiPKf.kd
    .uniform_work_group_size: 1
    .uses_dynamic_stack: false
    .vgpr_count:     20
    .vgpr_spill_count: 0
    .wavefront_size: 64
  - .agpr_count:     0
    .args:
      - .actual_access:  read_only
        .address_space:  global
        .offset:         0
        .size:           8
        .value_kind:     global_buffer
      - .address_space:  global
        .offset:         8
        .size:           8
        .value_kind:     global_buffer
      - .address_space:  global
        .offset:         16
        .size:           8
        .value_kind:     global_buffer
      - .actual_access:  read_only
        .address_space:  global
        .offset:         24
        .size:           8
        .value_kind:     global_buffer
      - .actual_access:  read_only
        .address_space:  global
        .offset:         32
        .size:           8
        .value_kind:     global_buffer
      - .offset:         40
        .size:           4
        .value_kind:     by_value
      - .offset:         48
        .size:           8
        .value_kind:     by_value
      - .offset:         56
        .size:           8
        .value_kind:     by_value
      - .offset:         64
        .size:           8
        .value_kind:     by_value
      - .offset:         72
        .size:           8
        .value_kind:     by_value
      - .offset:         80
        .size:           4
        .value_kind:     by_value
      - .actual_access:  write_only
        .address_space:  global
        .offset:         88
        .size:           8
        .value_kind:     global_buffer
      - .actual_access:  read_only
        .address_space:  global
        .offset:         96
        .size:           8
        .value_kind:     global_buffer
      - .offset:         104
        .size:           4
        .value_kind:     by_value
      - .offset:         108
        .size:           4
        .value_kind:     by_value
      - .offset:         112
        .size:           4
        .value_kind:     by_value
      - .offset:         116
        .size:           4
        .value_kind:     by_value
      - .address_space:  global
        .offset:         120
        .size:           8
        .value_kind:     global_buffer
      - .offset:         128
        .size:           4
        .value_kind:     hidden_block_count_x
      - .offset:         132
        .size:           4
        .value_kind:     hidden_block_count_y
      - .offset:         136
        .size:           4
        .value_kind:     hidden_block_count_z
      - .offset:         140
        .size:           2
        .value_kind:     hidden_group_size_x
      - .offset:         142
        .size:           2
        .value_kind:     hidden_group_size_y
      - .offset:         144
        .size:           2
        .value_kind:     hidden_group_size_z
      - .offset:         146
        .size:           2
        .value_kind:     hidden_remainder_x
      - .offset:         148
        .size:           2
        .value_kind:     hidden_remainder_y
      - .offset:         150
        .size:           2
        .value_kind:     hidden_remainder_z
      - .offset:         168
        .size:           8
        .value_kind:     hidden_global_offset_x
      - .offset:         176
        .size:           8
        .value_kind:     hidden_global_offset_y
      - .offset:         184
        .size:           8
        .value_kind:     hidden_global_offset_z
      - .offset:         192
        .size:           2
        .value_kind:     hidden_grid_dims
    .group_segment_fixed_size: 4096
    .kernarg_segment_align: 8
    .kernarg_segment_size: 384
    .language:       OpenCL C
    .language_version:
      - 2
      - 0
    .max_flat_workgroup_size: 1024
    .name:           _ZN4vllm38concat_and_cache_mla_rope_fused_kernelIN3c104HalfENS1_8BFloat16ELb0EffLNS_18Fp8KVCacheDataTypeE0EEEvPKlPT_S8_PKS7_PKT0_illlliPT3_S6_iiiiPKf
    .private_segment_fixed_size: 0
    .sgpr_count:     51
    .sgpr_spill_count: 0
    .symbol:         _ZN4vllm38concat_and_cache_mla_rope_fused_kernelIN3c104HalfENS1_8BFloat16ELb0EffLNS_18Fp8KVCacheDataTypeE0EEEvPKlPT_S8_PKS7_PKT0_illlliPT3_S6_iiiiPKf.kd
    .uniform_work_group_size: 1
    .uses_dynamic_stack: false
    .vgpr_count:     18
    .vgpr_spill_count: 0
    .wavefront_size: 64
  - .agpr_count:     0
    .args:
      - .actual_access:  read_only
        .address_space:  global
        .offset:         0
        .size:           8
        .value_kind:     global_buffer
      - .address_space:  global
        .offset:         8
        .size:           8
        .value_kind:     global_buffer
      - .address_space:  global
        .offset:         16
        .size:           8
        .value_kind:     global_buffer
      - .actual_access:  read_only
        .address_space:  global
        .offset:         24
        .size:           8
        .value_kind:     global_buffer
      - .actual_access:  read_only
        .address_space:  global
        .offset:         32
        .size:           8
        .value_kind:     global_buffer
      - .offset:         40
        .size:           4
        .value_kind:     by_value
      - .offset:         48
        .size:           8
        .value_kind:     by_value
      - .offset:         56
        .size:           8
        .value_kind:     by_value
      - .offset:         64
        .size:           8
        .value_kind:     by_value
      - .offset:         72
        .size:           8
        .value_kind:     by_value
      - .offset:         80
        .size:           4
        .value_kind:     by_value
      - .actual_access:  write_only
        .address_space:  global
        .offset:         88
        .size:           8
        .value_kind:     global_buffer
      - .actual_access:  read_only
        .address_space:  global
        .offset:         96
        .size:           8
        .value_kind:     global_buffer
      - .offset:         104
        .size:           4
        .value_kind:     by_value
      - .offset:         108
        .size:           4
        .value_kind:     by_value
      - .offset:         112
        .size:           4
        .value_kind:     by_value
      - .offset:         116
        .size:           4
        .value_kind:     by_value
      - .address_space:  global
        .offset:         120
        .size:           8
        .value_kind:     global_buffer
      - .offset:         128
        .size:           4
        .value_kind:     hidden_block_count_x
      - .offset:         132
        .size:           4
        .value_kind:     hidden_block_count_y
      - .offset:         136
        .size:           4
        .value_kind:     hidden_block_count_z
      - .offset:         140
        .size:           2
        .value_kind:     hidden_group_size_x
      - .offset:         142
        .size:           2
        .value_kind:     hidden_group_size_y
      - .offset:         144
        .size:           2
        .value_kind:     hidden_group_size_z
      - .offset:         146
        .size:           2
        .value_kind:     hidden_remainder_x
      - .offset:         148
        .size:           2
        .value_kind:     hidden_remainder_y
      - .offset:         150
        .size:           2
        .value_kind:     hidden_remainder_z
      - .offset:         168
        .size:           8
        .value_kind:     hidden_global_offset_x
      - .offset:         176
        .size:           8
        .value_kind:     hidden_global_offset_y
      - .offset:         184
        .size:           8
        .value_kind:     hidden_global_offset_z
      - .offset:         192
        .size:           2
        .value_kind:     hidden_grid_dims
    .group_segment_fixed_size: 4096
    .kernarg_segment_align: 8
    .kernarg_segment_size: 384
    .language:       OpenCL C
    .language_version:
      - 2
      - 0
    .max_flat_workgroup_size: 1024
    .name:           _ZN4vllm38concat_and_cache_mla_rope_fused_kernelIN3c108BFloat16EfLb1EffLNS_18Fp8KVCacheDataTypeE0EEEvPKlPT_S7_PKS6_PKT0_illlliPT3_S5_iiiiPKf
    .private_segment_fixed_size: 0
    .sgpr_count:     55
    .sgpr_spill_count: 0
    .symbol:         _ZN4vllm38concat_and_cache_mla_rope_fused_kernelIN3c108BFloat16EfLb1EffLNS_18Fp8KVCacheDataTypeE0EEEvPKlPT_S7_PKS6_PKT0_illlliPT3_S5_iiiiPKf.kd
    .uniform_work_group_size: 1
    .uses_dynamic_stack: false
    .vgpr_count:     24
    .vgpr_spill_count: 0
    .wavefront_size: 64
  - .agpr_count:     0
    .args:
      - .actual_access:  read_only
        .address_space:  global
        .offset:         0
        .size:           8
        .value_kind:     global_buffer
      - .address_space:  global
        .offset:         8
        .size:           8
        .value_kind:     global_buffer
      - .address_space:  global
        .offset:         16
        .size:           8
        .value_kind:     global_buffer
      - .actual_access:  read_only
        .address_space:  global
        .offset:         24
        .size:           8
        .value_kind:     global_buffer
      - .actual_access:  read_only
        .address_space:  global
        .offset:         32
        .size:           8
        .value_kind:     global_buffer
      - .offset:         40
        .size:           4
        .value_kind:     by_value
      - .offset:         48
        .size:           8
        .value_kind:     by_value
      - .offset:         56
        .size:           8
        .value_kind:     by_value
      - .offset:         64
        .size:           8
        .value_kind:     by_value
      - .offset:         72
        .size:           8
        .value_kind:     by_value
      - .offset:         80
        .size:           4
        .value_kind:     by_value
      - .actual_access:  write_only
        .address_space:  global
        .offset:         88
        .size:           8
        .value_kind:     global_buffer
      - .actual_access:  read_only
        .address_space:  global
        .offset:         96
        .size:           8
        .value_kind:     global_buffer
      - .offset:         104
        .size:           4
        .value_kind:     by_value
      - .offset:         108
        .size:           4
        .value_kind:     by_value
      - .offset:         112
        .size:           4
        .value_kind:     by_value
      - .offset:         116
        .size:           4
        .value_kind:     by_value
      - .address_space:  global
        .offset:         120
        .size:           8
        .value_kind:     global_buffer
      - .offset:         128
        .size:           4
        .value_kind:     hidden_block_count_x
      - .offset:         132
        .size:           4
        .value_kind:     hidden_block_count_y
      - .offset:         136
        .size:           4
        .value_kind:     hidden_block_count_z
      - .offset:         140
        .size:           2
        .value_kind:     hidden_group_size_x
      - .offset:         142
        .size:           2
        .value_kind:     hidden_group_size_y
      - .offset:         144
        .size:           2
        .value_kind:     hidden_group_size_z
      - .offset:         146
        .size:           2
        .value_kind:     hidden_remainder_x
      - .offset:         148
        .size:           2
        .value_kind:     hidden_remainder_y
      - .offset:         150
        .size:           2
        .value_kind:     hidden_remainder_z
      - .offset:         168
        .size:           8
        .value_kind:     hidden_global_offset_x
      - .offset:         176
        .size:           8
        .value_kind:     hidden_global_offset_y
      - .offset:         184
        .size:           8
        .value_kind:     hidden_global_offset_z
      - .offset:         192
        .size:           2
        .value_kind:     hidden_grid_dims
    .group_segment_fixed_size: 4096
    .kernarg_segment_align: 8
    .kernarg_segment_size: 384
    .language:       OpenCL C
    .language_version:
      - 2
      - 0
    .max_flat_workgroup_size: 1024
    .name:           _ZN4vllm38concat_and_cache_mla_rope_fused_kernelIN3c108BFloat16EfLb0EffLNS_18Fp8KVCacheDataTypeE0EEEvPKlPT_S7_PKS6_PKT0_illlliPT3_S5_iiiiPKf
    .private_segment_fixed_size: 0
    .sgpr_count:     51
    .sgpr_spill_count: 0
    .symbol:         _ZN4vllm38concat_and_cache_mla_rope_fused_kernelIN3c108BFloat16EfLb0EffLNS_18Fp8KVCacheDataTypeE0EEEvPKlPT_S7_PKS6_PKT0_illlliPT3_S5_iiiiPKf.kd
    .uniform_work_group_size: 1
    .uses_dynamic_stack: false
    .vgpr_count:     24
    .vgpr_spill_count: 0
    .wavefront_size: 64
  - .agpr_count:     0
    .args:
      - .actual_access:  read_only
        .address_space:  global
        .offset:         0
        .size:           8
        .value_kind:     global_buffer
      - .address_space:  global
        .offset:         8
        .size:           8
        .value_kind:     global_buffer
      - .address_space:  global
        .offset:         16
        .size:           8
        .value_kind:     global_buffer
      - .actual_access:  read_only
        .address_space:  global
        .offset:         24
        .size:           8
        .value_kind:     global_buffer
      - .actual_access:  read_only
        .address_space:  global
        .offset:         32
        .size:           8
        .value_kind:     global_buffer
      - .offset:         40
        .size:           4
        .value_kind:     by_value
      - .offset:         48
        .size:           8
        .value_kind:     by_value
      - .offset:         56
        .size:           8
        .value_kind:     by_value
      - .offset:         64
        .size:           8
        .value_kind:     by_value
      - .offset:         72
        .size:           8
        .value_kind:     by_value
      - .offset:         80
        .size:           4
        .value_kind:     by_value
      - .actual_access:  write_only
        .address_space:  global
        .offset:         88
        .size:           8
        .value_kind:     global_buffer
      - .actual_access:  read_only
        .address_space:  global
        .offset:         96
        .size:           8
        .value_kind:     global_buffer
      - .offset:         104
        .size:           4
        .value_kind:     by_value
      - .offset:         108
        .size:           4
        .value_kind:     by_value
      - .offset:         112
        .size:           4
        .value_kind:     by_value
      - .offset:         116
        .size:           4
        .value_kind:     by_value
      - .address_space:  global
        .offset:         120
        .size:           8
        .value_kind:     global_buffer
      - .offset:         128
        .size:           4
        .value_kind:     hidden_block_count_x
      - .offset:         132
        .size:           4
        .value_kind:     hidden_block_count_y
      - .offset:         136
        .size:           4
        .value_kind:     hidden_block_count_z
      - .offset:         140
        .size:           2
        .value_kind:     hidden_group_size_x
      - .offset:         142
        .size:           2
        .value_kind:     hidden_group_size_y
      - .offset:         144
        .size:           2
        .value_kind:     hidden_group_size_z
      - .offset:         146
        .size:           2
        .value_kind:     hidden_remainder_x
      - .offset:         148
        .size:           2
        .value_kind:     hidden_remainder_y
      - .offset:         150
        .size:           2
        .value_kind:     hidden_remainder_z
      - .offset:         168
        .size:           8
        .value_kind:     hidden_global_offset_x
      - .offset:         176
        .size:           8
        .value_kind:     hidden_global_offset_y
      - .offset:         184
        .size:           8
        .value_kind:     hidden_global_offset_z
      - .offset:         192
        .size:           2
        .value_kind:     hidden_grid_dims
    .group_segment_fixed_size: 4096
    .kernarg_segment_align: 8
    .kernarg_segment_size: 384
    .language:       OpenCL C
    .language_version:
      - 2
      - 0
    .max_flat_workgroup_size: 1024
    .name:           _ZN4vllm38concat_and_cache_mla_rope_fused_kernelIN3c108BFloat16ENS1_4HalfELb1EffLNS_18Fp8KVCacheDataTypeE0EEEvPKlPT_S8_PKS7_PKT0_illlliPT3_S6_iiiiPKf
    .private_segment_fixed_size: 0
    .sgpr_count:     56
    .sgpr_spill_count: 0
    .symbol:         _ZN4vllm38concat_and_cache_mla_rope_fused_kernelIN3c108BFloat16ENS1_4HalfELb1EffLNS_18Fp8KVCacheDataTypeE0EEEvPKlPT_S8_PKS7_PKT0_illlliPT3_S6_iiiiPKf.kd
    .uniform_work_group_size: 1
    .uses_dynamic_stack: false
    .vgpr_count:     26
    .vgpr_spill_count: 0
    .wavefront_size: 64
  - .agpr_count:     0
    .args:
      - .actual_access:  read_only
        .address_space:  global
        .offset:         0
        .size:           8
        .value_kind:     global_buffer
      - .address_space:  global
        .offset:         8
        .size:           8
        .value_kind:     global_buffer
      - .address_space:  global
        .offset:         16
        .size:           8
        .value_kind:     global_buffer
      - .actual_access:  read_only
        .address_space:  global
        .offset:         24
        .size:           8
        .value_kind:     global_buffer
      - .actual_access:  read_only
        .address_space:  global
        .offset:         32
        .size:           8
        .value_kind:     global_buffer
      - .offset:         40
        .size:           4
        .value_kind:     by_value
      - .offset:         48
        .size:           8
        .value_kind:     by_value
      - .offset:         56
        .size:           8
        .value_kind:     by_value
      - .offset:         64
        .size:           8
        .value_kind:     by_value
      - .offset:         72
        .size:           8
        .value_kind:     by_value
      - .offset:         80
        .size:           4
        .value_kind:     by_value
      - .actual_access:  write_only
        .address_space:  global
        .offset:         88
        .size:           8
        .value_kind:     global_buffer
      - .actual_access:  read_only
        .address_space:  global
        .offset:         96
        .size:           8
        .value_kind:     global_buffer
      - .offset:         104
        .size:           4
        .value_kind:     by_value
      - .offset:         108
        .size:           4
        .value_kind:     by_value
      - .offset:         112
        .size:           4
        .value_kind:     by_value
      - .offset:         116
        .size:           4
        .value_kind:     by_value
      - .address_space:  global
        .offset:         120
        .size:           8
        .value_kind:     global_buffer
      - .offset:         128
        .size:           4
        .value_kind:     hidden_block_count_x
      - .offset:         132
        .size:           4
        .value_kind:     hidden_block_count_y
      - .offset:         136
        .size:           4
        .value_kind:     hidden_block_count_z
      - .offset:         140
        .size:           2
        .value_kind:     hidden_group_size_x
      - .offset:         142
        .size:           2
        .value_kind:     hidden_group_size_y
      - .offset:         144
        .size:           2
        .value_kind:     hidden_group_size_z
      - .offset:         146
        .size:           2
        .value_kind:     hidden_remainder_x
      - .offset:         148
        .size:           2
        .value_kind:     hidden_remainder_y
      - .offset:         150
        .size:           2
        .value_kind:     hidden_remainder_z
      - .offset:         168
        .size:           8
        .value_kind:     hidden_global_offset_x
      - .offset:         176
        .size:           8
        .value_kind:     hidden_global_offset_y
      - .offset:         184
        .size:           8
        .value_kind:     hidden_global_offset_z
      - .offset:         192
        .size:           2
        .value_kind:     hidden_grid_dims
    .group_segment_fixed_size: 4096
    .kernarg_segment_align: 8
    .kernarg_segment_size: 384
    .language:       OpenCL C
    .language_version:
      - 2
      - 0
    .max_flat_workgroup_size: 1024
    .name:           _ZN4vllm38concat_and_cache_mla_rope_fused_kernelIN3c108BFloat16ENS1_4HalfELb0EffLNS_18Fp8KVCacheDataTypeE0EEEvPKlPT_S8_PKS7_PKT0_illlliPT3_S6_iiiiPKf
    .private_segment_fixed_size: 0
    .sgpr_count:     51
    .sgpr_spill_count: 0
    .symbol:         _ZN4vllm38concat_and_cache_mla_rope_fused_kernelIN3c108BFloat16ENS1_4HalfELb0EffLNS_18Fp8KVCacheDataTypeE0EEEvPKlPT_S8_PKS7_PKT0_illlliPT3_S6_iiiiPKf.kd
    .uniform_work_group_size: 1
    .uses_dynamic_stack: false
    .vgpr_count:     20
    .vgpr_spill_count: 0
    .wavefront_size: 64
  - .agpr_count:     0
    .args:
      - .actual_access:  read_only
        .address_space:  global
        .offset:         0
        .size:           8
        .value_kind:     global_buffer
      - .address_space:  global
        .offset:         8
        .size:           8
        .value_kind:     global_buffer
      - .address_space:  global
        .offset:         16
        .size:           8
        .value_kind:     global_buffer
      - .actual_access:  read_only
        .address_space:  global
        .offset:         24
        .size:           8
        .value_kind:     global_buffer
      - .actual_access:  read_only
        .address_space:  global
        .offset:         32
        .size:           8
        .value_kind:     global_buffer
      - .offset:         40
        .size:           4
        .value_kind:     by_value
      - .offset:         48
        .size:           8
        .value_kind:     by_value
      - .offset:         56
        .size:           8
        .value_kind:     by_value
      - .offset:         64
        .size:           8
        .value_kind:     by_value
      - .offset:         72
        .size:           8
        .value_kind:     by_value
      - .offset:         80
        .size:           4
        .value_kind:     by_value
      - .actual_access:  write_only
        .address_space:  global
        .offset:         88
        .size:           8
        .value_kind:     global_buffer
      - .actual_access:  read_only
        .address_space:  global
        .offset:         96
        .size:           8
        .value_kind:     global_buffer
      - .offset:         104
        .size:           4
        .value_kind:     by_value
      - .offset:         108
        .size:           4
        .value_kind:     by_value
      - .offset:         112
        .size:           4
        .value_kind:     by_value
      - .offset:         116
        .size:           4
        .value_kind:     by_value
      - .address_space:  global
        .offset:         120
        .size:           8
        .value_kind:     global_buffer
      - .offset:         128
        .size:           4
        .value_kind:     hidden_block_count_x
      - .offset:         132
        .size:           4
        .value_kind:     hidden_block_count_y
      - .offset:         136
        .size:           4
        .value_kind:     hidden_block_count_z
      - .offset:         140
        .size:           2
        .value_kind:     hidden_group_size_x
      - .offset:         142
        .size:           2
        .value_kind:     hidden_group_size_y
      - .offset:         144
        .size:           2
        .value_kind:     hidden_group_size_z
      - .offset:         146
        .size:           2
        .value_kind:     hidden_remainder_x
      - .offset:         148
        .size:           2
        .value_kind:     hidden_remainder_y
      - .offset:         150
        .size:           2
        .value_kind:     hidden_remainder_z
      - .offset:         168
        .size:           8
        .value_kind:     hidden_global_offset_x
      - .offset:         176
        .size:           8
        .value_kind:     hidden_global_offset_y
      - .offset:         184
        .size:           8
        .value_kind:     hidden_global_offset_z
      - .offset:         192
        .size:           2
        .value_kind:     hidden_grid_dims
    .group_segment_fixed_size: 4096
    .kernarg_segment_align: 8
    .kernarg_segment_size: 384
    .language:       OpenCL C
    .language_version:
      - 2
      - 0
    .max_flat_workgroup_size: 1024
    .name:           _ZN4vllm38concat_and_cache_mla_rope_fused_kernelIN3c108BFloat16ES2_Lb1EffLNS_18Fp8KVCacheDataTypeE0EEEvPKlPT_S7_PKS6_PKT0_illlliPT3_S5_iiiiPKf
    .private_segment_fixed_size: 0
    .sgpr_count:     54
    .sgpr_spill_count: 0
    .symbol:         _ZN4vllm38concat_and_cache_mla_rope_fused_kernelIN3c108BFloat16ES2_Lb1EffLNS_18Fp8KVCacheDataTypeE0EEEvPKlPT_S7_PKS6_PKT0_illlliPT3_S5_iiiiPKf.kd
    .uniform_work_group_size: 1
    .uses_dynamic_stack: false
    .vgpr_count:     24
    .vgpr_spill_count: 0
    .wavefront_size: 64
  - .agpr_count:     0
    .args:
      - .actual_access:  read_only
        .address_space:  global
        .offset:         0
        .size:           8
        .value_kind:     global_buffer
      - .address_space:  global
        .offset:         8
        .size:           8
        .value_kind:     global_buffer
      - .address_space:  global
        .offset:         16
        .size:           8
        .value_kind:     global_buffer
      - .actual_access:  read_only
        .address_space:  global
        .offset:         24
        .size:           8
        .value_kind:     global_buffer
      - .actual_access:  read_only
        .address_space:  global
        .offset:         32
        .size:           8
        .value_kind:     global_buffer
      - .offset:         40
        .size:           4
        .value_kind:     by_value
      - .offset:         48
        .size:           8
        .value_kind:     by_value
      - .offset:         56
        .size:           8
        .value_kind:     by_value
      - .offset:         64
        .size:           8
        .value_kind:     by_value
      - .offset:         72
        .size:           8
        .value_kind:     by_value
      - .offset:         80
        .size:           4
        .value_kind:     by_value
      - .actual_access:  write_only
        .address_space:  global
        .offset:         88
        .size:           8
        .value_kind:     global_buffer
      - .actual_access:  read_only
        .address_space:  global
        .offset:         96
        .size:           8
        .value_kind:     global_buffer
      - .offset:         104
        .size:           4
        .value_kind:     by_value
      - .offset:         108
        .size:           4
        .value_kind:     by_value
      - .offset:         112
        .size:           4
        .value_kind:     by_value
      - .offset:         116
        .size:           4
        .value_kind:     by_value
      - .address_space:  global
        .offset:         120
        .size:           8
        .value_kind:     global_buffer
      - .offset:         128
        .size:           4
        .value_kind:     hidden_block_count_x
      - .offset:         132
        .size:           4
        .value_kind:     hidden_block_count_y
      - .offset:         136
        .size:           4
        .value_kind:     hidden_block_count_z
      - .offset:         140
        .size:           2
        .value_kind:     hidden_group_size_x
      - .offset:         142
        .size:           2
        .value_kind:     hidden_group_size_y
      - .offset:         144
        .size:           2
        .value_kind:     hidden_group_size_z
      - .offset:         146
        .size:           2
        .value_kind:     hidden_remainder_x
      - .offset:         148
        .size:           2
        .value_kind:     hidden_remainder_y
      - .offset:         150
        .size:           2
        .value_kind:     hidden_remainder_z
      - .offset:         168
        .size:           8
        .value_kind:     hidden_global_offset_x
      - .offset:         176
        .size:           8
        .value_kind:     hidden_global_offset_y
      - .offset:         184
        .size:           8
        .value_kind:     hidden_global_offset_z
      - .offset:         192
        .size:           2
        .value_kind:     hidden_grid_dims
    .group_segment_fixed_size: 4096
    .kernarg_segment_align: 8
    .kernarg_segment_size: 384
    .language:       OpenCL C
    .language_version:
      - 2
      - 0
    .max_flat_workgroup_size: 1024
    .name:           _ZN4vllm38concat_and_cache_mla_rope_fused_kernelIN3c108BFloat16ES2_Lb0EffLNS_18Fp8KVCacheDataTypeE0EEEvPKlPT_S7_PKS6_PKT0_illlliPT3_S5_iiiiPKf
    .private_segment_fixed_size: 0
    .sgpr_count:     51
    .sgpr_spill_count: 0
    .symbol:         _ZN4vllm38concat_and_cache_mla_rope_fused_kernelIN3c108BFloat16ES2_Lb0EffLNS_18Fp8KVCacheDataTypeE0EEEvPKlPT_S7_PKS6_PKT0_illlliPT3_S5_iiiiPKf.kd
    .uniform_work_group_size: 1
    .uses_dynamic_stack: false
    .vgpr_count:     20
    .vgpr_spill_count: 0
    .wavefront_size: 64
  - .agpr_count:     0
    .args:
      - .actual_access:  read_only
        .address_space:  global
        .offset:         0
        .size:           8
        .value_kind:     global_buffer
      - .address_space:  global
        .offset:         8
        .size:           8
        .value_kind:     global_buffer
      - .address_space:  global
        .offset:         16
        .size:           8
        .value_kind:     global_buffer
      - .actual_access:  read_only
        .address_space:  global
        .offset:         24
        .size:           8
        .value_kind:     global_buffer
      - .actual_access:  read_only
        .address_space:  global
        .offset:         32
        .size:           8
        .value_kind:     global_buffer
      - .offset:         40
        .size:           4
        .value_kind:     by_value
      - .offset:         48
        .size:           8
        .value_kind:     by_value
      - .offset:         56
        .size:           8
        .value_kind:     by_value
      - .offset:         64
        .size:           8
        .value_kind:     by_value
      - .offset:         72
        .size:           8
        .value_kind:     by_value
      - .offset:         80
        .size:           4
        .value_kind:     by_value
      - .actual_access:  write_only
        .address_space:  global
        .offset:         88
        .size:           8
        .value_kind:     global_buffer
      - .actual_access:  read_only
        .address_space:  global
        .offset:         96
        .size:           8
        .value_kind:     global_buffer
      - .offset:         104
        .size:           4
        .value_kind:     by_value
      - .offset:         108
        .size:           4
        .value_kind:     by_value
      - .offset:         112
        .size:           4
        .value_kind:     by_value
      - .offset:         116
        .size:           4
        .value_kind:     by_value
      - .address_space:  global
        .offset:         120
        .size:           8
        .value_kind:     global_buffer
      - .offset:         128
        .size:           4
        .value_kind:     hidden_block_count_x
      - .offset:         132
        .size:           4
        .value_kind:     hidden_block_count_y
      - .offset:         136
        .size:           4
        .value_kind:     hidden_block_count_z
      - .offset:         140
        .size:           2
        .value_kind:     hidden_group_size_x
      - .offset:         142
        .size:           2
        .value_kind:     hidden_group_size_y
      - .offset:         144
        .size:           2
        .value_kind:     hidden_group_size_z
      - .offset:         146
        .size:           2
        .value_kind:     hidden_remainder_x
      - .offset:         148
        .size:           2
        .value_kind:     hidden_remainder_y
      - .offset:         150
        .size:           2
        .value_kind:     hidden_remainder_z
      - .offset:         168
        .size:           8
        .value_kind:     hidden_global_offset_x
      - .offset:         176
        .size:           8
        .value_kind:     hidden_global_offset_y
      - .offset:         184
        .size:           8
        .value_kind:     hidden_global_offset_z
      - .offset:         192
        .size:           2
        .value_kind:     hidden_grid_dims
    .group_segment_fixed_size: 0
    .kernarg_segment_align: 8
    .kernarg_segment_size: 384
    .language:       OpenCL C
    .language_version:
      - 2
      - 0
    .max_flat_workgroup_size: 1024
    .name:           _ZN4vllm38concat_and_cache_mla_rope_fused_kernelIffLb1EttLNS_18Fp8KVCacheDataTypeE0EEEvPKlPT_S5_PKS4_PKT0_illlliPT3_S3_iiiiPKf
    .private_segment_fixed_size: 0
    .sgpr_count:     52
    .sgpr_spill_count: 0
    .symbol:         _ZN4vllm38concat_and_cache_mla_rope_fused_kernelIffLb1EttLNS_18Fp8KVCacheDataTypeE0EEEvPKlPT_S5_PKS4_PKT0_illlliPT3_S3_iiiiPKf.kd
    .uniform_work_group_size: 1
    .uses_dynamic_stack: false
    .vgpr_count:     18
    .vgpr_spill_count: 0
    .wavefront_size: 64
  - .agpr_count:     0
    .args:
      - .actual_access:  read_only
        .address_space:  global
        .offset:         0
        .size:           8
        .value_kind:     global_buffer
      - .address_space:  global
        .offset:         8
        .size:           8
        .value_kind:     global_buffer
      - .address_space:  global
        .offset:         16
        .size:           8
        .value_kind:     global_buffer
      - .actual_access:  read_only
        .address_space:  global
        .offset:         24
        .size:           8
        .value_kind:     global_buffer
      - .actual_access:  read_only
        .address_space:  global
        .offset:         32
        .size:           8
        .value_kind:     global_buffer
      - .offset:         40
        .size:           4
        .value_kind:     by_value
      - .offset:         48
        .size:           8
        .value_kind:     by_value
      - .offset:         56
        .size:           8
        .value_kind:     by_value
      - .offset:         64
        .size:           8
        .value_kind:     by_value
      - .offset:         72
        .size:           8
        .value_kind:     by_value
      - .offset:         80
        .size:           4
        .value_kind:     by_value
      - .actual_access:  write_only
        .address_space:  global
        .offset:         88
        .size:           8
        .value_kind:     global_buffer
      - .actual_access:  read_only
        .address_space:  global
        .offset:         96
        .size:           8
        .value_kind:     global_buffer
      - .offset:         104
        .size:           4
        .value_kind:     by_value
      - .offset:         108
        .size:           4
        .value_kind:     by_value
      - .offset:         112
        .size:           4
        .value_kind:     by_value
      - .offset:         116
        .size:           4
        .value_kind:     by_value
      - .address_space:  global
        .offset:         120
        .size:           8
        .value_kind:     global_buffer
      - .offset:         128
        .size:           4
        .value_kind:     hidden_block_count_x
      - .offset:         132
        .size:           4
        .value_kind:     hidden_block_count_y
      - .offset:         136
        .size:           4
        .value_kind:     hidden_block_count_z
      - .offset:         140
        .size:           2
        .value_kind:     hidden_group_size_x
      - .offset:         142
        .size:           2
        .value_kind:     hidden_group_size_y
      - .offset:         144
        .size:           2
        .value_kind:     hidden_group_size_z
      - .offset:         146
        .size:           2
        .value_kind:     hidden_remainder_x
      - .offset:         148
        .size:           2
        .value_kind:     hidden_remainder_y
      - .offset:         150
        .size:           2
        .value_kind:     hidden_remainder_z
      - .offset:         168
        .size:           8
        .value_kind:     hidden_global_offset_x
      - .offset:         176
        .size:           8
        .value_kind:     hidden_global_offset_y
      - .offset:         184
        .size:           8
        .value_kind:     hidden_global_offset_z
      - .offset:         192
        .size:           2
        .value_kind:     hidden_grid_dims
    .group_segment_fixed_size: 0
    .kernarg_segment_align: 8
    .kernarg_segment_size: 384
    .language:       OpenCL C
    .language_version:
      - 2
      - 0
    .max_flat_workgroup_size: 1024
    .name:           _ZN4vllm38concat_and_cache_mla_rope_fused_kernelIffLb0EttLNS_18Fp8KVCacheDataTypeE0EEEvPKlPT_S5_PKS4_PKT0_illlliPT3_S3_iiiiPKf
    .private_segment_fixed_size: 0
    .sgpr_count:     49
    .sgpr_spill_count: 0
    .symbol:         _ZN4vllm38concat_and_cache_mla_rope_fused_kernelIffLb0EttLNS_18Fp8KVCacheDataTypeE0EEEvPKlPT_S5_PKS4_PKT0_illlliPT3_S3_iiiiPKf.kd
    .uniform_work_group_size: 1
    .uses_dynamic_stack: false
    .vgpr_count:     16
    .vgpr_spill_count: 0
    .wavefront_size: 64
  - .agpr_count:     0
    .args:
      - .actual_access:  read_only
        .address_space:  global
        .offset:         0
        .size:           8
        .value_kind:     global_buffer
      - .address_space:  global
        .offset:         8
        .size:           8
        .value_kind:     global_buffer
      - .address_space:  global
        .offset:         16
        .size:           8
        .value_kind:     global_buffer
      - .actual_access:  read_only
        .address_space:  global
        .offset:         24
        .size:           8
        .value_kind:     global_buffer
      - .actual_access:  read_only
        .address_space:  global
        .offset:         32
        .size:           8
        .value_kind:     global_buffer
      - .offset:         40
        .size:           4
        .value_kind:     by_value
      - .offset:         48
        .size:           8
        .value_kind:     by_value
      - .offset:         56
        .size:           8
        .value_kind:     by_value
      - .offset:         64
        .size:           8
        .value_kind:     by_value
      - .offset:         72
        .size:           8
        .value_kind:     by_value
      - .offset:         80
        .size:           4
        .value_kind:     by_value
      - .actual_access:  write_only
        .address_space:  global
        .offset:         88
        .size:           8
        .value_kind:     global_buffer
      - .actual_access:  read_only
        .address_space:  global
        .offset:         96
        .size:           8
        .value_kind:     global_buffer
      - .offset:         104
        .size:           4
        .value_kind:     by_value
      - .offset:         108
        .size:           4
        .value_kind:     by_value
      - .offset:         112
        .size:           4
        .value_kind:     by_value
      - .offset:         116
        .size:           4
        .value_kind:     by_value
      - .address_space:  global
        .offset:         120
        .size:           8
        .value_kind:     global_buffer
      - .offset:         128
        .size:           4
        .value_kind:     hidden_block_count_x
      - .offset:         132
        .size:           4
        .value_kind:     hidden_block_count_y
      - .offset:         136
        .size:           4
        .value_kind:     hidden_block_count_z
      - .offset:         140
        .size:           2
        .value_kind:     hidden_group_size_x
      - .offset:         142
        .size:           2
        .value_kind:     hidden_group_size_y
      - .offset:         144
        .size:           2
        .value_kind:     hidden_group_size_z
      - .offset:         146
        .size:           2
        .value_kind:     hidden_remainder_x
      - .offset:         148
        .size:           2
        .value_kind:     hidden_remainder_y
      - .offset:         150
        .size:           2
        .value_kind:     hidden_remainder_z
      - .offset:         168
        .size:           8
        .value_kind:     hidden_global_offset_x
      - .offset:         176
        .size:           8
        .value_kind:     hidden_global_offset_y
      - .offset:         184
        .size:           8
        .value_kind:     hidden_global_offset_z
      - .offset:         192
        .size:           2
        .value_kind:     hidden_grid_dims
    .group_segment_fixed_size: 0
    .kernarg_segment_align: 8
    .kernarg_segment_size: 384
    .language:       OpenCL C
    .language_version:
      - 2
      - 0
    .max_flat_workgroup_size: 1024
    .name:           _ZN4vllm38concat_and_cache_mla_rope_fused_kernelIfN3c104HalfELb1EttLNS_18Fp8KVCacheDataTypeE0EEEvPKlPT_S7_PKS6_PKT0_illlliPT3_S5_iiiiPKf
    .private_segment_fixed_size: 0
    .sgpr_count:     54
    .sgpr_spill_count: 0
    .symbol:         _ZN4vllm38concat_and_cache_mla_rope_fused_kernelIfN3c104HalfELb1EttLNS_18Fp8KVCacheDataTypeE0EEEvPKlPT_S7_PKS6_PKT0_illlliPT3_S5_iiiiPKf.kd
    .uniform_work_group_size: 1
    .uses_dynamic_stack: false
    .vgpr_count:     18
    .vgpr_spill_count: 0
    .wavefront_size: 64
  - .agpr_count:     0
    .args:
      - .actual_access:  read_only
        .address_space:  global
        .offset:         0
        .size:           8
        .value_kind:     global_buffer
      - .address_space:  global
        .offset:         8
        .size:           8
        .value_kind:     global_buffer
      - .address_space:  global
        .offset:         16
        .size:           8
        .value_kind:     global_buffer
      - .actual_access:  read_only
        .address_space:  global
        .offset:         24
        .size:           8
        .value_kind:     global_buffer
      - .actual_access:  read_only
        .address_space:  global
        .offset:         32
        .size:           8
        .value_kind:     global_buffer
      - .offset:         40
        .size:           4
        .value_kind:     by_value
      - .offset:         48
        .size:           8
        .value_kind:     by_value
      - .offset:         56
        .size:           8
        .value_kind:     by_value
      - .offset:         64
        .size:           8
        .value_kind:     by_value
      - .offset:         72
        .size:           8
        .value_kind:     by_value
      - .offset:         80
        .size:           4
        .value_kind:     by_value
      - .actual_access:  write_only
        .address_space:  global
        .offset:         88
        .size:           8
        .value_kind:     global_buffer
      - .actual_access:  read_only
        .address_space:  global
        .offset:         96
        .size:           8
        .value_kind:     global_buffer
      - .offset:         104
        .size:           4
        .value_kind:     by_value
      - .offset:         108
        .size:           4
        .value_kind:     by_value
      - .offset:         112
        .size:           4
        .value_kind:     by_value
      - .offset:         116
        .size:           4
        .value_kind:     by_value
      - .address_space:  global
        .offset:         120
        .size:           8
        .value_kind:     global_buffer
      - .offset:         128
        .size:           4
        .value_kind:     hidden_block_count_x
      - .offset:         132
        .size:           4
        .value_kind:     hidden_block_count_y
      - .offset:         136
        .size:           4
        .value_kind:     hidden_block_count_z
      - .offset:         140
        .size:           2
        .value_kind:     hidden_group_size_x
      - .offset:         142
        .size:           2
        .value_kind:     hidden_group_size_y
      - .offset:         144
        .size:           2
        .value_kind:     hidden_group_size_z
      - .offset:         146
        .size:           2
        .value_kind:     hidden_remainder_x
      - .offset:         148
        .size:           2
        .value_kind:     hidden_remainder_y
      - .offset:         150
        .size:           2
        .value_kind:     hidden_remainder_z
      - .offset:         168
        .size:           8
        .value_kind:     hidden_global_offset_x
      - .offset:         176
        .size:           8
        .value_kind:     hidden_global_offset_y
      - .offset:         184
        .size:           8
        .value_kind:     hidden_global_offset_z
      - .offset:         192
        .size:           2
        .value_kind:     hidden_grid_dims
    .group_segment_fixed_size: 0
    .kernarg_segment_align: 8
    .kernarg_segment_size: 384
    .language:       OpenCL C
    .language_version:
      - 2
      - 0
    .max_flat_workgroup_size: 1024
    .name:           _ZN4vllm38concat_and_cache_mla_rope_fused_kernelIfN3c104HalfELb0EttLNS_18Fp8KVCacheDataTypeE0EEEvPKlPT_S7_PKS6_PKT0_illlliPT3_S5_iiiiPKf
    .private_segment_fixed_size: 0
    .sgpr_count:     49
    .sgpr_spill_count: 0
    .symbol:         _ZN4vllm38concat_and_cache_mla_rope_fused_kernelIfN3c104HalfELb0EttLNS_18Fp8KVCacheDataTypeE0EEEvPKlPT_S7_PKS6_PKT0_illlliPT3_S5_iiiiPKf.kd
    .uniform_work_group_size: 1
    .uses_dynamic_stack: false
    .vgpr_count:     16
    .vgpr_spill_count: 0
    .wavefront_size: 64
  - .agpr_count:     0
    .args:
      - .actual_access:  read_only
        .address_space:  global
        .offset:         0
        .size:           8
        .value_kind:     global_buffer
      - .address_space:  global
        .offset:         8
        .size:           8
        .value_kind:     global_buffer
      - .address_space:  global
        .offset:         16
        .size:           8
        .value_kind:     global_buffer
      - .actual_access:  read_only
        .address_space:  global
        .offset:         24
        .size:           8
        .value_kind:     global_buffer
      - .actual_access:  read_only
        .address_space:  global
        .offset:         32
        .size:           8
        .value_kind:     global_buffer
      - .offset:         40
        .size:           4
        .value_kind:     by_value
      - .offset:         48
        .size:           8
        .value_kind:     by_value
      - .offset:         56
        .size:           8
        .value_kind:     by_value
      - .offset:         64
        .size:           8
        .value_kind:     by_value
      - .offset:         72
        .size:           8
        .value_kind:     by_value
      - .offset:         80
        .size:           4
        .value_kind:     by_value
      - .actual_access:  write_only
        .address_space:  global
        .offset:         88
        .size:           8
        .value_kind:     global_buffer
      - .actual_access:  read_only
        .address_space:  global
        .offset:         96
        .size:           8
        .value_kind:     global_buffer
      - .offset:         104
        .size:           4
        .value_kind:     by_value
      - .offset:         108
        .size:           4
        .value_kind:     by_value
      - .offset:         112
        .size:           4
        .value_kind:     by_value
      - .offset:         116
        .size:           4
        .value_kind:     by_value
      - .address_space:  global
        .offset:         120
        .size:           8
        .value_kind:     global_buffer
      - .offset:         128
        .size:           4
        .value_kind:     hidden_block_count_x
      - .offset:         132
        .size:           4
        .value_kind:     hidden_block_count_y
      - .offset:         136
        .size:           4
        .value_kind:     hidden_block_count_z
      - .offset:         140
        .size:           2
        .value_kind:     hidden_group_size_x
      - .offset:         142
        .size:           2
        .value_kind:     hidden_group_size_y
      - .offset:         144
        .size:           2
        .value_kind:     hidden_group_size_z
      - .offset:         146
        .size:           2
        .value_kind:     hidden_remainder_x
      - .offset:         148
        .size:           2
        .value_kind:     hidden_remainder_y
      - .offset:         150
        .size:           2
        .value_kind:     hidden_remainder_z
      - .offset:         168
        .size:           8
        .value_kind:     hidden_global_offset_x
      - .offset:         176
        .size:           8
        .value_kind:     hidden_global_offset_y
      - .offset:         184
        .size:           8
        .value_kind:     hidden_global_offset_z
      - .offset:         192
        .size:           2
        .value_kind:     hidden_grid_dims
    .group_segment_fixed_size: 0
    .kernarg_segment_align: 8
    .kernarg_segment_size: 384
    .language:       OpenCL C
    .language_version:
      - 2
      - 0
    .max_flat_workgroup_size: 1024
    .name:           _ZN4vllm38concat_and_cache_mla_rope_fused_kernelIfN3c108BFloat16ELb1EttLNS_18Fp8KVCacheDataTypeE0EEEvPKlPT_S7_PKS6_PKT0_illlliPT3_S5_iiiiPKf
    .private_segment_fixed_size: 0
    .sgpr_count:     54
    .sgpr_spill_count: 0
    .symbol:         _ZN4vllm38concat_and_cache_mla_rope_fused_kernelIfN3c108BFloat16ELb1EttLNS_18Fp8KVCacheDataTypeE0EEEvPKlPT_S7_PKS6_PKT0_illlliPT3_S5_iiiiPKf.kd
    .uniform_work_group_size: 1
    .uses_dynamic_stack: false
    .vgpr_count:     17
    .vgpr_spill_count: 0
    .wavefront_size: 64
  - .agpr_count:     0
    .args:
      - .actual_access:  read_only
        .address_space:  global
        .offset:         0
        .size:           8
        .value_kind:     global_buffer
      - .address_space:  global
        .offset:         8
        .size:           8
        .value_kind:     global_buffer
      - .address_space:  global
        .offset:         16
        .size:           8
        .value_kind:     global_buffer
      - .actual_access:  read_only
        .address_space:  global
        .offset:         24
        .size:           8
        .value_kind:     global_buffer
      - .actual_access:  read_only
        .address_space:  global
        .offset:         32
        .size:           8
        .value_kind:     global_buffer
      - .offset:         40
        .size:           4
        .value_kind:     by_value
      - .offset:         48
        .size:           8
        .value_kind:     by_value
      - .offset:         56
        .size:           8
        .value_kind:     by_value
      - .offset:         64
        .size:           8
        .value_kind:     by_value
      - .offset:         72
        .size:           8
        .value_kind:     by_value
      - .offset:         80
        .size:           4
        .value_kind:     by_value
      - .actual_access:  write_only
        .address_space:  global
        .offset:         88
        .size:           8
        .value_kind:     global_buffer
      - .actual_access:  read_only
        .address_space:  global
        .offset:         96
        .size:           8
        .value_kind:     global_buffer
      - .offset:         104
        .size:           4
        .value_kind:     by_value
      - .offset:         108
        .size:           4
        .value_kind:     by_value
      - .offset:         112
        .size:           4
        .value_kind:     by_value
      - .offset:         116
        .size:           4
        .value_kind:     by_value
      - .address_space:  global
        .offset:         120
        .size:           8
        .value_kind:     global_buffer
      - .offset:         128
        .size:           4
        .value_kind:     hidden_block_count_x
      - .offset:         132
        .size:           4
        .value_kind:     hidden_block_count_y
      - .offset:         136
        .size:           4
        .value_kind:     hidden_block_count_z
      - .offset:         140
        .size:           2
        .value_kind:     hidden_group_size_x
      - .offset:         142
        .size:           2
        .value_kind:     hidden_group_size_y
      - .offset:         144
        .size:           2
        .value_kind:     hidden_group_size_z
      - .offset:         146
        .size:           2
        .value_kind:     hidden_remainder_x
      - .offset:         148
        .size:           2
        .value_kind:     hidden_remainder_y
      - .offset:         150
        .size:           2
        .value_kind:     hidden_remainder_z
      - .offset:         168
        .size:           8
        .value_kind:     hidden_global_offset_x
      - .offset:         176
        .size:           8
        .value_kind:     hidden_global_offset_y
      - .offset:         184
        .size:           8
        .value_kind:     hidden_global_offset_z
      - .offset:         192
        .size:           2
        .value_kind:     hidden_grid_dims
    .group_segment_fixed_size: 0
    .kernarg_segment_align: 8
    .kernarg_segment_size: 384
    .language:       OpenCL C
    .language_version:
      - 2
      - 0
    .max_flat_workgroup_size: 1024
    .name:           _ZN4vllm38concat_and_cache_mla_rope_fused_kernelIfN3c108BFloat16ELb0EttLNS_18Fp8KVCacheDataTypeE0EEEvPKlPT_S7_PKS6_PKT0_illlliPT3_S5_iiiiPKf
    .private_segment_fixed_size: 0
    .sgpr_count:     49
    .sgpr_spill_count: 0
    .symbol:         _ZN4vllm38concat_and_cache_mla_rope_fused_kernelIfN3c108BFloat16ELb0EttLNS_18Fp8KVCacheDataTypeE0EEEvPKlPT_S7_PKS6_PKT0_illlliPT3_S5_iiiiPKf.kd
    .uniform_work_group_size: 1
    .uses_dynamic_stack: false
    .vgpr_count:     16
    .vgpr_spill_count: 0
    .wavefront_size: 64
  - .agpr_count:     0
    .args:
      - .actual_access:  read_only
        .address_space:  global
        .offset:         0
        .size:           8
        .value_kind:     global_buffer
      - .address_space:  global
        .offset:         8
        .size:           8
        .value_kind:     global_buffer
      - .address_space:  global
        .offset:         16
        .size:           8
        .value_kind:     global_buffer
      - .actual_access:  read_only
        .address_space:  global
        .offset:         24
        .size:           8
        .value_kind:     global_buffer
      - .actual_access:  read_only
        .address_space:  global
        .offset:         32
        .size:           8
        .value_kind:     global_buffer
      - .offset:         40
        .size:           4
        .value_kind:     by_value
      - .offset:         48
        .size:           8
        .value_kind:     by_value
      - .offset:         56
        .size:           8
        .value_kind:     by_value
      - .offset:         64
        .size:           8
        .value_kind:     by_value
      - .offset:         72
        .size:           8
        .value_kind:     by_value
      - .offset:         80
        .size:           4
        .value_kind:     by_value
      - .actual_access:  write_only
        .address_space:  global
        .offset:         88
        .size:           8
        .value_kind:     global_buffer
      - .actual_access:  read_only
        .address_space:  global
        .offset:         96
        .size:           8
        .value_kind:     global_buffer
      - .offset:         104
        .size:           4
        .value_kind:     by_value
      - .offset:         108
        .size:           4
        .value_kind:     by_value
      - .offset:         112
        .size:           4
        .value_kind:     by_value
      - .offset:         116
        .size:           4
        .value_kind:     by_value
      - .address_space:  global
        .offset:         120
        .size:           8
        .value_kind:     global_buffer
      - .offset:         128
        .size:           4
        .value_kind:     hidden_block_count_x
      - .offset:         132
        .size:           4
        .value_kind:     hidden_block_count_y
      - .offset:         136
        .size:           4
        .value_kind:     hidden_block_count_z
      - .offset:         140
        .size:           2
        .value_kind:     hidden_group_size_x
      - .offset:         142
        .size:           2
        .value_kind:     hidden_group_size_y
      - .offset:         144
        .size:           2
        .value_kind:     hidden_group_size_z
      - .offset:         146
        .size:           2
        .value_kind:     hidden_remainder_x
      - .offset:         148
        .size:           2
        .value_kind:     hidden_remainder_y
      - .offset:         150
        .size:           2
        .value_kind:     hidden_remainder_z
      - .offset:         168
        .size:           8
        .value_kind:     hidden_global_offset_x
      - .offset:         176
        .size:           8
        .value_kind:     hidden_global_offset_y
      - .offset:         184
        .size:           8
        .value_kind:     hidden_global_offset_z
      - .offset:         192
        .size:           2
        .value_kind:     hidden_grid_dims
    .group_segment_fixed_size: 0
    .kernarg_segment_align: 8
    .kernarg_segment_size: 384
    .language:       OpenCL C
    .language_version:
      - 2
      - 0
    .max_flat_workgroup_size: 1024
    .name:           _ZN4vllm38concat_and_cache_mla_rope_fused_kernelIN3c104HalfEfLb1EttLNS_18Fp8KVCacheDataTypeE0EEEvPKlPT_S7_PKS6_PKT0_illlliPT3_S5_iiiiPKf
    .private_segment_fixed_size: 0
    .sgpr_count:     52
    .sgpr_spill_count: 0
    .symbol:         _ZN4vllm38concat_and_cache_mla_rope_fused_kernelIN3c104HalfEfLb1EttLNS_18Fp8KVCacheDataTypeE0EEEvPKlPT_S7_PKS6_PKT0_illlliPT3_S5_iiiiPKf.kd
    .uniform_work_group_size: 1
    .uses_dynamic_stack: false
    .vgpr_count:     19
    .vgpr_spill_count: 0
    .wavefront_size: 64
  - .agpr_count:     0
    .args:
      - .actual_access:  read_only
        .address_space:  global
        .offset:         0
        .size:           8
        .value_kind:     global_buffer
      - .address_space:  global
        .offset:         8
        .size:           8
        .value_kind:     global_buffer
      - .address_space:  global
        .offset:         16
        .size:           8
        .value_kind:     global_buffer
      - .actual_access:  read_only
        .address_space:  global
        .offset:         24
        .size:           8
        .value_kind:     global_buffer
      - .actual_access:  read_only
        .address_space:  global
        .offset:         32
        .size:           8
        .value_kind:     global_buffer
      - .offset:         40
        .size:           4
        .value_kind:     by_value
      - .offset:         48
        .size:           8
        .value_kind:     by_value
      - .offset:         56
        .size:           8
        .value_kind:     by_value
      - .offset:         64
        .size:           8
        .value_kind:     by_value
      - .offset:         72
        .size:           8
        .value_kind:     by_value
      - .offset:         80
        .size:           4
        .value_kind:     by_value
      - .actual_access:  write_only
        .address_space:  global
        .offset:         88
        .size:           8
        .value_kind:     global_buffer
      - .actual_access:  read_only
        .address_space:  global
        .offset:         96
        .size:           8
        .value_kind:     global_buffer
      - .offset:         104
        .size:           4
        .value_kind:     by_value
      - .offset:         108
        .size:           4
        .value_kind:     by_value
      - .offset:         112
        .size:           4
        .value_kind:     by_value
      - .offset:         116
        .size:           4
        .value_kind:     by_value
      - .address_space:  global
        .offset:         120
        .size:           8
        .value_kind:     global_buffer
      - .offset:         128
        .size:           4
        .value_kind:     hidden_block_count_x
      - .offset:         132
        .size:           4
        .value_kind:     hidden_block_count_y
      - .offset:         136
        .size:           4
        .value_kind:     hidden_block_count_z
      - .offset:         140
        .size:           2
        .value_kind:     hidden_group_size_x
      - .offset:         142
        .size:           2
        .value_kind:     hidden_group_size_y
      - .offset:         144
        .size:           2
        .value_kind:     hidden_group_size_z
      - .offset:         146
        .size:           2
        .value_kind:     hidden_remainder_x
      - .offset:         148
        .size:           2
        .value_kind:     hidden_remainder_y
      - .offset:         150
        .size:           2
        .value_kind:     hidden_remainder_z
      - .offset:         168
        .size:           8
        .value_kind:     hidden_global_offset_x
      - .offset:         176
        .size:           8
        .value_kind:     hidden_global_offset_y
      - .offset:         184
        .size:           8
        .value_kind:     hidden_global_offset_z
      - .offset:         192
        .size:           2
        .value_kind:     hidden_grid_dims
    .group_segment_fixed_size: 0
    .kernarg_segment_align: 8
    .kernarg_segment_size: 384
    .language:       OpenCL C
    .language_version:
      - 2
      - 0
    .max_flat_workgroup_size: 1024
    .name:           _ZN4vllm38concat_and_cache_mla_rope_fused_kernelIN3c104HalfEfLb0EttLNS_18Fp8KVCacheDataTypeE0EEEvPKlPT_S7_PKS6_PKT0_illlliPT3_S5_iiiiPKf
    .private_segment_fixed_size: 0
    .sgpr_count:     49
    .sgpr_spill_count: 0
    .symbol:         _ZN4vllm38concat_and_cache_mla_rope_fused_kernelIN3c104HalfEfLb0EttLNS_18Fp8KVCacheDataTypeE0EEEvPKlPT_S7_PKS6_PKT0_illlliPT3_S5_iiiiPKf.kd
    .uniform_work_group_size: 1
    .uses_dynamic_stack: false
    .vgpr_count:     19
    .vgpr_spill_count: 0
    .wavefront_size: 64
  - .agpr_count:     0
    .args:
      - .actual_access:  read_only
        .address_space:  global
        .offset:         0
        .size:           8
        .value_kind:     global_buffer
      - .address_space:  global
        .offset:         8
        .size:           8
        .value_kind:     global_buffer
      - .address_space:  global
        .offset:         16
        .size:           8
        .value_kind:     global_buffer
      - .actual_access:  read_only
        .address_space:  global
        .offset:         24
        .size:           8
        .value_kind:     global_buffer
      - .actual_access:  read_only
        .address_space:  global
        .offset:         32
        .size:           8
        .value_kind:     global_buffer
      - .offset:         40
        .size:           4
        .value_kind:     by_value
      - .offset:         48
        .size:           8
        .value_kind:     by_value
      - .offset:         56
        .size:           8
        .value_kind:     by_value
      - .offset:         64
        .size:           8
        .value_kind:     by_value
      - .offset:         72
        .size:           8
        .value_kind:     by_value
      - .offset:         80
        .size:           4
        .value_kind:     by_value
      - .actual_access:  write_only
        .address_space:  global
        .offset:         88
        .size:           8
        .value_kind:     global_buffer
      - .actual_access:  read_only
        .address_space:  global
        .offset:         96
        .size:           8
        .value_kind:     global_buffer
      - .offset:         104
        .size:           4
        .value_kind:     by_value
      - .offset:         108
        .size:           4
        .value_kind:     by_value
      - .offset:         112
        .size:           4
        .value_kind:     by_value
      - .offset:         116
        .size:           4
        .value_kind:     by_value
      - .address_space:  global
        .offset:         120
        .size:           8
        .value_kind:     global_buffer
      - .offset:         128
        .size:           4
        .value_kind:     hidden_block_count_x
      - .offset:         132
        .size:           4
        .value_kind:     hidden_block_count_y
      - .offset:         136
        .size:           4
        .value_kind:     hidden_block_count_z
      - .offset:         140
        .size:           2
        .value_kind:     hidden_group_size_x
      - .offset:         142
        .size:           2
        .value_kind:     hidden_group_size_y
      - .offset:         144
        .size:           2
        .value_kind:     hidden_group_size_z
      - .offset:         146
        .size:           2
        .value_kind:     hidden_remainder_x
      - .offset:         148
        .size:           2
        .value_kind:     hidden_remainder_y
      - .offset:         150
        .size:           2
        .value_kind:     hidden_remainder_z
      - .offset:         168
        .size:           8
        .value_kind:     hidden_global_offset_x
      - .offset:         176
        .size:           8
        .value_kind:     hidden_global_offset_y
      - .offset:         184
        .size:           8
        .value_kind:     hidden_global_offset_z
      - .offset:         192
        .size:           2
        .value_kind:     hidden_grid_dims
    .group_segment_fixed_size: 0
    .kernarg_segment_align: 8
    .kernarg_segment_size: 384
    .language:       OpenCL C
    .language_version:
      - 2
      - 0
    .max_flat_workgroup_size: 1024
    .name:           _ZN4vllm38concat_and_cache_mla_rope_fused_kernelIN3c104HalfES2_Lb1EttLNS_18Fp8KVCacheDataTypeE0EEEvPKlPT_S7_PKS6_PKT0_illlliPT3_S5_iiiiPKf
    .private_segment_fixed_size: 0
    .sgpr_count:     54
    .sgpr_spill_count: 0
    .symbol:         _ZN4vllm38concat_and_cache_mla_rope_fused_kernelIN3c104HalfES2_Lb1EttLNS_18Fp8KVCacheDataTypeE0EEEvPKlPT_S7_PKS6_PKT0_illlliPT3_S5_iiiiPKf.kd
    .uniform_work_group_size: 1
    .uses_dynamic_stack: false
    .vgpr_count:     17
    .vgpr_spill_count: 0
    .wavefront_size: 64
  - .agpr_count:     0
    .args:
      - .actual_access:  read_only
        .address_space:  global
        .offset:         0
        .size:           8
        .value_kind:     global_buffer
      - .address_space:  global
        .offset:         8
        .size:           8
        .value_kind:     global_buffer
      - .address_space:  global
        .offset:         16
        .size:           8
        .value_kind:     global_buffer
      - .actual_access:  read_only
        .address_space:  global
        .offset:         24
        .size:           8
        .value_kind:     global_buffer
      - .actual_access:  read_only
        .address_space:  global
        .offset:         32
        .size:           8
        .value_kind:     global_buffer
      - .offset:         40
        .size:           4
        .value_kind:     by_value
      - .offset:         48
        .size:           8
        .value_kind:     by_value
      - .offset:         56
        .size:           8
        .value_kind:     by_value
      - .offset:         64
        .size:           8
        .value_kind:     by_value
      - .offset:         72
        .size:           8
        .value_kind:     by_value
      - .offset:         80
        .size:           4
        .value_kind:     by_value
      - .actual_access:  write_only
        .address_space:  global
        .offset:         88
        .size:           8
        .value_kind:     global_buffer
      - .actual_access:  read_only
        .address_space:  global
        .offset:         96
        .size:           8
        .value_kind:     global_buffer
      - .offset:         104
        .size:           4
        .value_kind:     by_value
      - .offset:         108
        .size:           4
        .value_kind:     by_value
      - .offset:         112
        .size:           4
        .value_kind:     by_value
      - .offset:         116
        .size:           4
        .value_kind:     by_value
      - .address_space:  global
        .offset:         120
        .size:           8
        .value_kind:     global_buffer
      - .offset:         128
        .size:           4
        .value_kind:     hidden_block_count_x
      - .offset:         132
        .size:           4
        .value_kind:     hidden_block_count_y
      - .offset:         136
        .size:           4
        .value_kind:     hidden_block_count_z
      - .offset:         140
        .size:           2
        .value_kind:     hidden_group_size_x
      - .offset:         142
        .size:           2
        .value_kind:     hidden_group_size_y
      - .offset:         144
        .size:           2
        .value_kind:     hidden_group_size_z
      - .offset:         146
        .size:           2
        .value_kind:     hidden_remainder_x
      - .offset:         148
        .size:           2
        .value_kind:     hidden_remainder_y
      - .offset:         150
        .size:           2
        .value_kind:     hidden_remainder_z
      - .offset:         168
        .size:           8
        .value_kind:     hidden_global_offset_x
      - .offset:         176
        .size:           8
        .value_kind:     hidden_global_offset_y
      - .offset:         184
        .size:           8
        .value_kind:     hidden_global_offset_z
      - .offset:         192
        .size:           2
        .value_kind:     hidden_grid_dims
    .group_segment_fixed_size: 0
    .kernarg_segment_align: 8
    .kernarg_segment_size: 384
    .language:       OpenCL C
    .language_version:
      - 2
      - 0
    .max_flat_workgroup_size: 1024
    .name:           _ZN4vllm38concat_and_cache_mla_rope_fused_kernelIN3c104HalfES2_Lb0EttLNS_18Fp8KVCacheDataTypeE0EEEvPKlPT_S7_PKS6_PKT0_illlliPT3_S5_iiiiPKf
    .private_segment_fixed_size: 0
    .sgpr_count:     49
    .sgpr_spill_count: 0
    .symbol:         _ZN4vllm38concat_and_cache_mla_rope_fused_kernelIN3c104HalfES2_Lb0EttLNS_18Fp8KVCacheDataTypeE0EEEvPKlPT_S7_PKS6_PKT0_illlliPT3_S5_iiiiPKf.kd
    .uniform_work_group_size: 1
    .uses_dynamic_stack: false
    .vgpr_count:     17
    .vgpr_spill_count: 0
    .wavefront_size: 64
  - .agpr_count:     0
    .args:
      - .actual_access:  read_only
        .address_space:  global
        .offset:         0
        .size:           8
        .value_kind:     global_buffer
      - .address_space:  global
        .offset:         8
        .size:           8
        .value_kind:     global_buffer
      - .address_space:  global
        .offset:         16
        .size:           8
        .value_kind:     global_buffer
      - .actual_access:  read_only
        .address_space:  global
        .offset:         24
        .size:           8
        .value_kind:     global_buffer
      - .actual_access:  read_only
        .address_space:  global
        .offset:         32
        .size:           8
        .value_kind:     global_buffer
      - .offset:         40
        .size:           4
        .value_kind:     by_value
      - .offset:         48
        .size:           8
        .value_kind:     by_value
      - .offset:         56
        .size:           8
        .value_kind:     by_value
      - .offset:         64
        .size:           8
        .value_kind:     by_value
      - .offset:         72
        .size:           8
        .value_kind:     by_value
      - .offset:         80
        .size:           4
        .value_kind:     by_value
      - .actual_access:  write_only
        .address_space:  global
        .offset:         88
        .size:           8
        .value_kind:     global_buffer
      - .actual_access:  read_only
        .address_space:  global
        .offset:         96
        .size:           8
        .value_kind:     global_buffer
      - .offset:         104
        .size:           4
        .value_kind:     by_value
      - .offset:         108
        .size:           4
        .value_kind:     by_value
      - .offset:         112
        .size:           4
        .value_kind:     by_value
      - .offset:         116
        .size:           4
        .value_kind:     by_value
      - .address_space:  global
        .offset:         120
        .size:           8
        .value_kind:     global_buffer
      - .offset:         128
        .size:           4
        .value_kind:     hidden_block_count_x
      - .offset:         132
        .size:           4
        .value_kind:     hidden_block_count_y
      - .offset:         136
        .size:           4
        .value_kind:     hidden_block_count_z
      - .offset:         140
        .size:           2
        .value_kind:     hidden_group_size_x
      - .offset:         142
        .size:           2
        .value_kind:     hidden_group_size_y
      - .offset:         144
        .size:           2
        .value_kind:     hidden_group_size_z
      - .offset:         146
        .size:           2
        .value_kind:     hidden_remainder_x
      - .offset:         148
        .size:           2
        .value_kind:     hidden_remainder_y
      - .offset:         150
        .size:           2
        .value_kind:     hidden_remainder_z
      - .offset:         168
        .size:           8
        .value_kind:     hidden_global_offset_x
      - .offset:         176
        .size:           8
        .value_kind:     hidden_global_offset_y
      - .offset:         184
        .size:           8
        .value_kind:     hidden_global_offset_z
      - .offset:         192
        .size:           2
        .value_kind:     hidden_grid_dims
    .group_segment_fixed_size: 0
    .kernarg_segment_align: 8
    .kernarg_segment_size: 384
    .language:       OpenCL C
    .language_version:
      - 2
      - 0
    .max_flat_workgroup_size: 1024
    .name:           _ZN4vllm38concat_and_cache_mla_rope_fused_kernelIN3c104HalfENS1_8BFloat16ELb1EttLNS_18Fp8KVCacheDataTypeE0EEEvPKlPT_S8_PKS7_PKT0_illlliPT3_S6_iiiiPKf
    .private_segment_fixed_size: 0
    .sgpr_count:     54
    .sgpr_spill_count: 0
    .symbol:         _ZN4vllm38concat_and_cache_mla_rope_fused_kernelIN3c104HalfENS1_8BFloat16ELb1EttLNS_18Fp8KVCacheDataTypeE0EEEvPKlPT_S8_PKS7_PKT0_illlliPT3_S6_iiiiPKf.kd
    .uniform_work_group_size: 1
    .uses_dynamic_stack: false
    .vgpr_count:     17
    .vgpr_spill_count: 0
    .wavefront_size: 64
  - .agpr_count:     0
    .args:
      - .actual_access:  read_only
        .address_space:  global
        .offset:         0
        .size:           8
        .value_kind:     global_buffer
      - .address_space:  global
        .offset:         8
        .size:           8
        .value_kind:     global_buffer
      - .address_space:  global
        .offset:         16
        .size:           8
        .value_kind:     global_buffer
      - .actual_access:  read_only
        .address_space:  global
        .offset:         24
        .size:           8
        .value_kind:     global_buffer
      - .actual_access:  read_only
        .address_space:  global
        .offset:         32
        .size:           8
        .value_kind:     global_buffer
      - .offset:         40
        .size:           4
        .value_kind:     by_value
      - .offset:         48
        .size:           8
        .value_kind:     by_value
      - .offset:         56
        .size:           8
        .value_kind:     by_value
      - .offset:         64
        .size:           8
        .value_kind:     by_value
      - .offset:         72
        .size:           8
        .value_kind:     by_value
      - .offset:         80
        .size:           4
        .value_kind:     by_value
      - .actual_access:  write_only
        .address_space:  global
        .offset:         88
        .size:           8
        .value_kind:     global_buffer
      - .actual_access:  read_only
        .address_space:  global
        .offset:         96
        .size:           8
        .value_kind:     global_buffer
      - .offset:         104
        .size:           4
        .value_kind:     by_value
      - .offset:         108
        .size:           4
        .value_kind:     by_value
      - .offset:         112
        .size:           4
        .value_kind:     by_value
      - .offset:         116
        .size:           4
        .value_kind:     by_value
      - .address_space:  global
        .offset:         120
        .size:           8
        .value_kind:     global_buffer
      - .offset:         128
        .size:           4
        .value_kind:     hidden_block_count_x
      - .offset:         132
        .size:           4
        .value_kind:     hidden_block_count_y
      - .offset:         136
        .size:           4
        .value_kind:     hidden_block_count_z
      - .offset:         140
        .size:           2
        .value_kind:     hidden_group_size_x
      - .offset:         142
        .size:           2
        .value_kind:     hidden_group_size_y
      - .offset:         144
        .size:           2
        .value_kind:     hidden_group_size_z
      - .offset:         146
        .size:           2
        .value_kind:     hidden_remainder_x
      - .offset:         148
        .size:           2
        .value_kind:     hidden_remainder_y
      - .offset:         150
        .size:           2
        .value_kind:     hidden_remainder_z
      - .offset:         168
        .size:           8
        .value_kind:     hidden_global_offset_x
      - .offset:         176
        .size:           8
        .value_kind:     hidden_global_offset_y
      - .offset:         184
        .size:           8
        .value_kind:     hidden_global_offset_z
      - .offset:         192
        .size:           2
        .value_kind:     hidden_grid_dims
    .group_segment_fixed_size: 0
    .kernarg_segment_align: 8
    .kernarg_segment_size: 384
    .language:       OpenCL C
    .language_version:
      - 2
      - 0
    .max_flat_workgroup_size: 1024
    .name:           _ZN4vllm38concat_and_cache_mla_rope_fused_kernelIN3c104HalfENS1_8BFloat16ELb0EttLNS_18Fp8KVCacheDataTypeE0EEEvPKlPT_S8_PKS7_PKT0_illlliPT3_S6_iiiiPKf
    .private_segment_fixed_size: 0
    .sgpr_count:     49
    .sgpr_spill_count: 0
    .symbol:         _ZN4vllm38concat_and_cache_mla_rope_fused_kernelIN3c104HalfENS1_8BFloat16ELb0EttLNS_18Fp8KVCacheDataTypeE0EEEvPKlPT_S8_PKS7_PKT0_illlliPT3_S6_iiiiPKf.kd
    .uniform_work_group_size: 1
    .uses_dynamic_stack: false
    .vgpr_count:     17
    .vgpr_spill_count: 0
    .wavefront_size: 64
  - .agpr_count:     0
    .args:
      - .actual_access:  read_only
        .address_space:  global
        .offset:         0
        .size:           8
        .value_kind:     global_buffer
      - .address_space:  global
        .offset:         8
        .size:           8
        .value_kind:     global_buffer
      - .address_space:  global
        .offset:         16
        .size:           8
        .value_kind:     global_buffer
      - .actual_access:  read_only
        .address_space:  global
        .offset:         24
        .size:           8
        .value_kind:     global_buffer
      - .actual_access:  read_only
        .address_space:  global
        .offset:         32
        .size:           8
        .value_kind:     global_buffer
      - .offset:         40
        .size:           4
        .value_kind:     by_value
      - .offset:         48
        .size:           8
        .value_kind:     by_value
      - .offset:         56
        .size:           8
        .value_kind:     by_value
      - .offset:         64
        .size:           8
        .value_kind:     by_value
      - .offset:         72
        .size:           8
        .value_kind:     by_value
      - .offset:         80
        .size:           4
        .value_kind:     by_value
      - .actual_access:  write_only
        .address_space:  global
        .offset:         88
        .size:           8
        .value_kind:     global_buffer
      - .actual_access:  read_only
        .address_space:  global
        .offset:         96
        .size:           8
        .value_kind:     global_buffer
      - .offset:         104
        .size:           4
        .value_kind:     by_value
      - .offset:         108
        .size:           4
        .value_kind:     by_value
      - .offset:         112
        .size:           4
        .value_kind:     by_value
      - .offset:         116
        .size:           4
        .value_kind:     by_value
      - .address_space:  global
        .offset:         120
        .size:           8
        .value_kind:     global_buffer
      - .offset:         128
        .size:           4
        .value_kind:     hidden_block_count_x
      - .offset:         132
        .size:           4
        .value_kind:     hidden_block_count_y
      - .offset:         136
        .size:           4
        .value_kind:     hidden_block_count_z
      - .offset:         140
        .size:           2
        .value_kind:     hidden_group_size_x
      - .offset:         142
        .size:           2
        .value_kind:     hidden_group_size_y
      - .offset:         144
        .size:           2
        .value_kind:     hidden_group_size_z
      - .offset:         146
        .size:           2
        .value_kind:     hidden_remainder_x
      - .offset:         148
        .size:           2
        .value_kind:     hidden_remainder_y
      - .offset:         150
        .size:           2
        .value_kind:     hidden_remainder_z
      - .offset:         168
        .size:           8
        .value_kind:     hidden_global_offset_x
      - .offset:         176
        .size:           8
        .value_kind:     hidden_global_offset_y
      - .offset:         184
        .size:           8
        .value_kind:     hidden_global_offset_z
      - .offset:         192
        .size:           2
        .value_kind:     hidden_grid_dims
    .group_segment_fixed_size: 0
    .kernarg_segment_align: 8
    .kernarg_segment_size: 384
    .language:       OpenCL C
    .language_version:
      - 2
      - 0
    .max_flat_workgroup_size: 1024
    .name:           _ZN4vllm38concat_and_cache_mla_rope_fused_kernelIN3c108BFloat16EfLb1EttLNS_18Fp8KVCacheDataTypeE0EEEvPKlPT_S7_PKS6_PKT0_illlliPT3_S5_iiiiPKf
    .private_segment_fixed_size: 0
    .sgpr_count:     55
    .sgpr_spill_count: 0
    .symbol:         _ZN4vllm38concat_and_cache_mla_rope_fused_kernelIN3c108BFloat16EfLb1EttLNS_18Fp8KVCacheDataTypeE0EEEvPKlPT_S7_PKS6_PKT0_illlliPT3_S5_iiiiPKf.kd
    .uniform_work_group_size: 1
    .uses_dynamic_stack: false
    .vgpr_count:     24
    .vgpr_spill_count: 0
    .wavefront_size: 64
  - .agpr_count:     0
    .args:
      - .actual_access:  read_only
        .address_space:  global
        .offset:         0
        .size:           8
        .value_kind:     global_buffer
      - .address_space:  global
        .offset:         8
        .size:           8
        .value_kind:     global_buffer
      - .address_space:  global
        .offset:         16
        .size:           8
        .value_kind:     global_buffer
      - .actual_access:  read_only
        .address_space:  global
        .offset:         24
        .size:           8
        .value_kind:     global_buffer
      - .actual_access:  read_only
        .address_space:  global
        .offset:         32
        .size:           8
        .value_kind:     global_buffer
      - .offset:         40
        .size:           4
        .value_kind:     by_value
      - .offset:         48
        .size:           8
        .value_kind:     by_value
      - .offset:         56
        .size:           8
        .value_kind:     by_value
      - .offset:         64
        .size:           8
        .value_kind:     by_value
      - .offset:         72
        .size:           8
        .value_kind:     by_value
      - .offset:         80
        .size:           4
        .value_kind:     by_value
      - .actual_access:  write_only
        .address_space:  global
        .offset:         88
        .size:           8
        .value_kind:     global_buffer
      - .actual_access:  read_only
        .address_space:  global
        .offset:         96
        .size:           8
        .value_kind:     global_buffer
      - .offset:         104
        .size:           4
        .value_kind:     by_value
      - .offset:         108
        .size:           4
        .value_kind:     by_value
      - .offset:         112
        .size:           4
        .value_kind:     by_value
      - .offset:         116
        .size:           4
        .value_kind:     by_value
      - .address_space:  global
        .offset:         120
        .size:           8
        .value_kind:     global_buffer
      - .offset:         128
        .size:           4
        .value_kind:     hidden_block_count_x
      - .offset:         132
        .size:           4
        .value_kind:     hidden_block_count_y
      - .offset:         136
        .size:           4
        .value_kind:     hidden_block_count_z
      - .offset:         140
        .size:           2
        .value_kind:     hidden_group_size_x
      - .offset:         142
        .size:           2
        .value_kind:     hidden_group_size_y
      - .offset:         144
        .size:           2
        .value_kind:     hidden_group_size_z
      - .offset:         146
        .size:           2
        .value_kind:     hidden_remainder_x
      - .offset:         148
        .size:           2
        .value_kind:     hidden_remainder_y
      - .offset:         150
        .size:           2
        .value_kind:     hidden_remainder_z
      - .offset:         168
        .size:           8
        .value_kind:     hidden_global_offset_x
      - .offset:         176
        .size:           8
        .value_kind:     hidden_global_offset_y
      - .offset:         184
        .size:           8
        .value_kind:     hidden_global_offset_z
      - .offset:         192
        .size:           2
        .value_kind:     hidden_grid_dims
    .group_segment_fixed_size: 0
    .kernarg_segment_align: 8
    .kernarg_segment_size: 384
    .language:       OpenCL C
    .language_version:
      - 2
      - 0
    .max_flat_workgroup_size: 1024
    .name:           _ZN4vllm38concat_and_cache_mla_rope_fused_kernelIN3c108BFloat16EfLb0EttLNS_18Fp8KVCacheDataTypeE0EEEvPKlPT_S7_PKS6_PKT0_illlliPT3_S5_iiiiPKf
    .private_segment_fixed_size: 0
    .sgpr_count:     49
    .sgpr_spill_count: 0
    .symbol:         _ZN4vllm38concat_and_cache_mla_rope_fused_kernelIN3c108BFloat16EfLb0EttLNS_18Fp8KVCacheDataTypeE0EEEvPKlPT_S7_PKS6_PKT0_illlliPT3_S5_iiiiPKf.kd
    .uniform_work_group_size: 1
    .uses_dynamic_stack: false
    .vgpr_count:     24
    .vgpr_spill_count: 0
    .wavefront_size: 64
  - .agpr_count:     0
    .args:
      - .actual_access:  read_only
        .address_space:  global
        .offset:         0
        .size:           8
        .value_kind:     global_buffer
      - .address_space:  global
        .offset:         8
        .size:           8
        .value_kind:     global_buffer
      - .address_space:  global
        .offset:         16
        .size:           8
        .value_kind:     global_buffer
      - .actual_access:  read_only
        .address_space:  global
        .offset:         24
        .size:           8
        .value_kind:     global_buffer
      - .actual_access:  read_only
        .address_space:  global
        .offset:         32
        .size:           8
        .value_kind:     global_buffer
      - .offset:         40
        .size:           4
        .value_kind:     by_value
      - .offset:         48
        .size:           8
        .value_kind:     by_value
      - .offset:         56
        .size:           8
        .value_kind:     by_value
      - .offset:         64
        .size:           8
        .value_kind:     by_value
      - .offset:         72
        .size:           8
        .value_kind:     by_value
      - .offset:         80
        .size:           4
        .value_kind:     by_value
      - .actual_access:  write_only
        .address_space:  global
        .offset:         88
        .size:           8
        .value_kind:     global_buffer
      - .actual_access:  read_only
        .address_space:  global
        .offset:         96
        .size:           8
        .value_kind:     global_buffer
      - .offset:         104
        .size:           4
        .value_kind:     by_value
      - .offset:         108
        .size:           4
        .value_kind:     by_value
      - .offset:         112
        .size:           4
        .value_kind:     by_value
      - .offset:         116
        .size:           4
        .value_kind:     by_value
      - .address_space:  global
        .offset:         120
        .size:           8
        .value_kind:     global_buffer
      - .offset:         128
        .size:           4
        .value_kind:     hidden_block_count_x
      - .offset:         132
        .size:           4
        .value_kind:     hidden_block_count_y
      - .offset:         136
        .size:           4
        .value_kind:     hidden_block_count_z
      - .offset:         140
        .size:           2
        .value_kind:     hidden_group_size_x
      - .offset:         142
        .size:           2
        .value_kind:     hidden_group_size_y
      - .offset:         144
        .size:           2
        .value_kind:     hidden_group_size_z
      - .offset:         146
        .size:           2
        .value_kind:     hidden_remainder_x
      - .offset:         148
        .size:           2
        .value_kind:     hidden_remainder_y
      - .offset:         150
        .size:           2
        .value_kind:     hidden_remainder_z
      - .offset:         168
        .size:           8
        .value_kind:     hidden_global_offset_x
      - .offset:         176
        .size:           8
        .value_kind:     hidden_global_offset_y
      - .offset:         184
        .size:           8
        .value_kind:     hidden_global_offset_z
      - .offset:         192
        .size:           2
        .value_kind:     hidden_grid_dims
    .group_segment_fixed_size: 0
    .kernarg_segment_align: 8
    .kernarg_segment_size: 384
    .language:       OpenCL C
    .language_version:
      - 2
      - 0
    .max_flat_workgroup_size: 1024
    .name:           _ZN4vllm38concat_and_cache_mla_rope_fused_kernelIN3c108BFloat16ENS1_4HalfELb1EttLNS_18Fp8KVCacheDataTypeE0EEEvPKlPT_S8_PKS7_PKT0_illlliPT3_S6_iiiiPKf
    .private_segment_fixed_size: 0
    .sgpr_count:     55
    .sgpr_spill_count: 0
    .symbol:         _ZN4vllm38concat_and_cache_mla_rope_fused_kernelIN3c108BFloat16ENS1_4HalfELb1EttLNS_18Fp8KVCacheDataTypeE0EEEvPKlPT_S8_PKS7_PKT0_illlliPT3_S6_iiiiPKf.kd
    .uniform_work_group_size: 1
    .uses_dynamic_stack: false
    .vgpr_count:     24
    .vgpr_spill_count: 0
    .wavefront_size: 64
  - .agpr_count:     0
    .args:
      - .actual_access:  read_only
        .address_space:  global
        .offset:         0
        .size:           8
        .value_kind:     global_buffer
      - .address_space:  global
        .offset:         8
        .size:           8
        .value_kind:     global_buffer
      - .address_space:  global
        .offset:         16
        .size:           8
        .value_kind:     global_buffer
      - .actual_access:  read_only
        .address_space:  global
        .offset:         24
        .size:           8
        .value_kind:     global_buffer
      - .actual_access:  read_only
        .address_space:  global
        .offset:         32
        .size:           8
        .value_kind:     global_buffer
      - .offset:         40
        .size:           4
        .value_kind:     by_value
      - .offset:         48
        .size:           8
        .value_kind:     by_value
      - .offset:         56
        .size:           8
        .value_kind:     by_value
      - .offset:         64
        .size:           8
        .value_kind:     by_value
      - .offset:         72
        .size:           8
        .value_kind:     by_value
      - .offset:         80
        .size:           4
        .value_kind:     by_value
      - .actual_access:  write_only
        .address_space:  global
        .offset:         88
        .size:           8
        .value_kind:     global_buffer
      - .actual_access:  read_only
        .address_space:  global
        .offset:         96
        .size:           8
        .value_kind:     global_buffer
      - .offset:         104
        .size:           4
        .value_kind:     by_value
      - .offset:         108
        .size:           4
        .value_kind:     by_value
      - .offset:         112
        .size:           4
        .value_kind:     by_value
      - .offset:         116
        .size:           4
        .value_kind:     by_value
      - .address_space:  global
        .offset:         120
        .size:           8
        .value_kind:     global_buffer
      - .offset:         128
        .size:           4
        .value_kind:     hidden_block_count_x
      - .offset:         132
        .size:           4
        .value_kind:     hidden_block_count_y
      - .offset:         136
        .size:           4
        .value_kind:     hidden_block_count_z
      - .offset:         140
        .size:           2
        .value_kind:     hidden_group_size_x
      - .offset:         142
        .size:           2
        .value_kind:     hidden_group_size_y
      - .offset:         144
        .size:           2
        .value_kind:     hidden_group_size_z
      - .offset:         146
        .size:           2
        .value_kind:     hidden_remainder_x
      - .offset:         148
        .size:           2
        .value_kind:     hidden_remainder_y
      - .offset:         150
        .size:           2
        .value_kind:     hidden_remainder_z
      - .offset:         168
        .size:           8
        .value_kind:     hidden_global_offset_x
      - .offset:         176
        .size:           8
        .value_kind:     hidden_global_offset_y
      - .offset:         184
        .size:           8
        .value_kind:     hidden_global_offset_z
      - .offset:         192
        .size:           2
        .value_kind:     hidden_grid_dims
    .group_segment_fixed_size: 0
    .kernarg_segment_align: 8
    .kernarg_segment_size: 384
    .language:       OpenCL C
    .language_version:
      - 2
      - 0
    .max_flat_workgroup_size: 1024
    .name:           _ZN4vllm38concat_and_cache_mla_rope_fused_kernelIN3c108BFloat16ENS1_4HalfELb0EttLNS_18Fp8KVCacheDataTypeE0EEEvPKlPT_S8_PKS7_PKT0_illlliPT3_S6_iiiiPKf
    .private_segment_fixed_size: 0
    .sgpr_count:     49
    .sgpr_spill_count: 0
    .symbol:         _ZN4vllm38concat_and_cache_mla_rope_fused_kernelIN3c108BFloat16ENS1_4HalfELb0EttLNS_18Fp8KVCacheDataTypeE0EEEvPKlPT_S8_PKS7_PKT0_illlliPT3_S6_iiiiPKf.kd
    .uniform_work_group_size: 1
    .uses_dynamic_stack: false
    .vgpr_count:     22
    .vgpr_spill_count: 0
    .wavefront_size: 64
  - .agpr_count:     0
    .args:
      - .actual_access:  read_only
        .address_space:  global
        .offset:         0
        .size:           8
        .value_kind:     global_buffer
      - .address_space:  global
        .offset:         8
        .size:           8
        .value_kind:     global_buffer
      - .address_space:  global
        .offset:         16
        .size:           8
        .value_kind:     global_buffer
      - .actual_access:  read_only
        .address_space:  global
        .offset:         24
        .size:           8
        .value_kind:     global_buffer
      - .actual_access:  read_only
        .address_space:  global
        .offset:         32
        .size:           8
        .value_kind:     global_buffer
      - .offset:         40
        .size:           4
        .value_kind:     by_value
      - .offset:         48
        .size:           8
        .value_kind:     by_value
      - .offset:         56
        .size:           8
        .value_kind:     by_value
      - .offset:         64
        .size:           8
        .value_kind:     by_value
      - .offset:         72
        .size:           8
        .value_kind:     by_value
      - .offset:         80
        .size:           4
        .value_kind:     by_value
      - .actual_access:  write_only
        .address_space:  global
        .offset:         88
        .size:           8
        .value_kind:     global_buffer
      - .actual_access:  read_only
        .address_space:  global
        .offset:         96
        .size:           8
        .value_kind:     global_buffer
      - .offset:         104
        .size:           4
        .value_kind:     by_value
      - .offset:         108
        .size:           4
        .value_kind:     by_value
      - .offset:         112
        .size:           4
        .value_kind:     by_value
      - .offset:         116
        .size:           4
        .value_kind:     by_value
      - .address_space:  global
        .offset:         120
        .size:           8
        .value_kind:     global_buffer
      - .offset:         128
        .size:           4
        .value_kind:     hidden_block_count_x
      - .offset:         132
        .size:           4
        .value_kind:     hidden_block_count_y
      - .offset:         136
        .size:           4
        .value_kind:     hidden_block_count_z
      - .offset:         140
        .size:           2
        .value_kind:     hidden_group_size_x
      - .offset:         142
        .size:           2
        .value_kind:     hidden_group_size_y
      - .offset:         144
        .size:           2
        .value_kind:     hidden_group_size_z
      - .offset:         146
        .size:           2
        .value_kind:     hidden_remainder_x
      - .offset:         148
        .size:           2
        .value_kind:     hidden_remainder_y
      - .offset:         150
        .size:           2
        .value_kind:     hidden_remainder_z
      - .offset:         168
        .size:           8
        .value_kind:     hidden_global_offset_x
      - .offset:         176
        .size:           8
        .value_kind:     hidden_global_offset_y
      - .offset:         184
        .size:           8
        .value_kind:     hidden_global_offset_z
      - .offset:         192
        .size:           2
        .value_kind:     hidden_grid_dims
    .group_segment_fixed_size: 0
    .kernarg_segment_align: 8
    .kernarg_segment_size: 384
    .language:       OpenCL C
    .language_version:
      - 2
      - 0
    .max_flat_workgroup_size: 1024
    .name:           _ZN4vllm38concat_and_cache_mla_rope_fused_kernelIN3c108BFloat16ES2_Lb1EttLNS_18Fp8KVCacheDataTypeE0EEEvPKlPT_S7_PKS6_PKT0_illlliPT3_S5_iiiiPKf
    .private_segment_fixed_size: 0
    .sgpr_count:     53
    .sgpr_spill_count: 0
    .symbol:         _ZN4vllm38concat_and_cache_mla_rope_fused_kernelIN3c108BFloat16ES2_Lb1EttLNS_18Fp8KVCacheDataTypeE0EEEvPKlPT_S7_PKS6_PKT0_illlliPT3_S5_iiiiPKf.kd
    .uniform_work_group_size: 1
    .uses_dynamic_stack: false
    .vgpr_count:     22
    .vgpr_spill_count: 0
    .wavefront_size: 64
  - .agpr_count:     0
    .args:
      - .actual_access:  read_only
        .address_space:  global
        .offset:         0
        .size:           8
        .value_kind:     global_buffer
      - .address_space:  global
        .offset:         8
        .size:           8
        .value_kind:     global_buffer
      - .address_space:  global
        .offset:         16
        .size:           8
        .value_kind:     global_buffer
      - .actual_access:  read_only
        .address_space:  global
        .offset:         24
        .size:           8
        .value_kind:     global_buffer
      - .actual_access:  read_only
        .address_space:  global
        .offset:         32
        .size:           8
        .value_kind:     global_buffer
      - .offset:         40
        .size:           4
        .value_kind:     by_value
      - .offset:         48
        .size:           8
        .value_kind:     by_value
      - .offset:         56
        .size:           8
        .value_kind:     by_value
      - .offset:         64
        .size:           8
        .value_kind:     by_value
      - .offset:         72
        .size:           8
        .value_kind:     by_value
      - .offset:         80
        .size:           4
        .value_kind:     by_value
      - .actual_access:  write_only
        .address_space:  global
        .offset:         88
        .size:           8
        .value_kind:     global_buffer
      - .actual_access:  read_only
        .address_space:  global
        .offset:         96
        .size:           8
        .value_kind:     global_buffer
      - .offset:         104
        .size:           4
        .value_kind:     by_value
      - .offset:         108
        .size:           4
        .value_kind:     by_value
      - .offset:         112
        .size:           4
        .value_kind:     by_value
      - .offset:         116
        .size:           4
        .value_kind:     by_value
      - .address_space:  global
        .offset:         120
        .size:           8
        .value_kind:     global_buffer
      - .offset:         128
        .size:           4
        .value_kind:     hidden_block_count_x
      - .offset:         132
        .size:           4
        .value_kind:     hidden_block_count_y
      - .offset:         136
        .size:           4
        .value_kind:     hidden_block_count_z
      - .offset:         140
        .size:           2
        .value_kind:     hidden_group_size_x
      - .offset:         142
        .size:           2
        .value_kind:     hidden_group_size_y
      - .offset:         144
        .size:           2
        .value_kind:     hidden_group_size_z
      - .offset:         146
        .size:           2
        .value_kind:     hidden_remainder_x
      - .offset:         148
        .size:           2
        .value_kind:     hidden_remainder_y
      - .offset:         150
        .size:           2
        .value_kind:     hidden_remainder_z
      - .offset:         168
        .size:           8
        .value_kind:     hidden_global_offset_x
      - .offset:         176
        .size:           8
        .value_kind:     hidden_global_offset_y
      - .offset:         184
        .size:           8
        .value_kind:     hidden_global_offset_z
      - .offset:         192
        .size:           2
        .value_kind:     hidden_grid_dims
    .group_segment_fixed_size: 0
    .kernarg_segment_align: 8
    .kernarg_segment_size: 384
    .language:       OpenCL C
    .language_version:
      - 2
      - 0
    .max_flat_workgroup_size: 1024
    .name:           _ZN4vllm38concat_and_cache_mla_rope_fused_kernelIN3c108BFloat16ES2_Lb0EttLNS_18Fp8KVCacheDataTypeE0EEEvPKlPT_S7_PKS6_PKT0_illlliPT3_S5_iiiiPKf
    .private_segment_fixed_size: 0
    .sgpr_count:     49
    .sgpr_spill_count: 0
    .symbol:         _ZN4vllm38concat_and_cache_mla_rope_fused_kernelIN3c108BFloat16ES2_Lb0EttLNS_18Fp8KVCacheDataTypeE0EEEvPKlPT_S7_PKS6_PKT0_illlliPT3_S5_iiiiPKf.kd
    .uniform_work_group_size: 1
    .uses_dynamic_stack: false
    .vgpr_count:     22
    .vgpr_spill_count: 0
    .wavefront_size: 64
  - .agpr_count:     0
    .args:
      - .actual_access:  read_only
        .address_space:  global
        .offset:         0
        .size:           8
        .value_kind:     global_buffer
      - .address_space:  global
        .offset:         8
        .size:           8
        .value_kind:     global_buffer
      - .address_space:  global
        .offset:         16
        .size:           8
        .value_kind:     global_buffer
      - .actual_access:  read_only
        .address_space:  global
        .offset:         24
        .size:           8
        .value_kind:     global_buffer
      - .actual_access:  read_only
        .address_space:  global
        .offset:         32
        .size:           8
        .value_kind:     global_buffer
      - .offset:         40
        .size:           4
        .value_kind:     by_value
      - .offset:         48
        .size:           8
        .value_kind:     by_value
      - .offset:         56
        .size:           8
        .value_kind:     by_value
      - .offset:         64
        .size:           8
        .value_kind:     by_value
      - .offset:         72
        .size:           8
        .value_kind:     by_value
      - .offset:         80
        .size:           4
        .value_kind:     by_value
      - .actual_access:  write_only
        .address_space:  global
        .offset:         88
        .size:           8
        .value_kind:     global_buffer
      - .actual_access:  read_only
        .address_space:  global
        .offset:         96
        .size:           8
        .value_kind:     global_buffer
      - .offset:         104
        .size:           4
        .value_kind:     by_value
      - .offset:         108
        .size:           4
        .value_kind:     by_value
      - .offset:         112
        .size:           4
        .value_kind:     by_value
      - .offset:         116
        .size:           4
        .value_kind:     by_value
      - .address_space:  global
        .offset:         120
        .size:           8
        .value_kind:     global_buffer
      - .offset:         128
        .size:           4
        .value_kind:     hidden_block_count_x
      - .offset:         132
        .size:           4
        .value_kind:     hidden_block_count_y
      - .offset:         136
        .size:           4
        .value_kind:     hidden_block_count_z
      - .offset:         140
        .size:           2
        .value_kind:     hidden_group_size_x
      - .offset:         142
        .size:           2
        .value_kind:     hidden_group_size_y
      - .offset:         144
        .size:           2
        .value_kind:     hidden_group_size_z
      - .offset:         146
        .size:           2
        .value_kind:     hidden_remainder_x
      - .offset:         148
        .size:           2
        .value_kind:     hidden_remainder_y
      - .offset:         150
        .size:           2
        .value_kind:     hidden_remainder_z
      - .offset:         168
        .size:           8
        .value_kind:     hidden_global_offset_x
      - .offset:         176
        .size:           8
        .value_kind:     hidden_global_offset_y
      - .offset:         184
        .size:           8
        .value_kind:     hidden_global_offset_z
      - .offset:         192
        .size:           2
        .value_kind:     hidden_grid_dims
    .group_segment_fixed_size: 0
    .kernarg_segment_align: 8
    .kernarg_segment_size: 384
    .language:       OpenCL C
    .language_version:
      - 2
      - 0
    .max_flat_workgroup_size: 1024
    .name:           _ZN4vllm38concat_and_cache_mla_rope_fused_kernelIffLb1E14__hip_bfloat16S1_LNS_18Fp8KVCacheDataTypeE0EEEvPKlPT_S6_PKS5_PKT0_illlliPT3_S4_iiiiPKf
    .private_segment_fixed_size: 0
    .sgpr_count:     52
    .sgpr_spill_count: 0
    .symbol:         _ZN4vllm38concat_and_cache_mla_rope_fused_kernelIffLb1E14__hip_bfloat16S1_LNS_18Fp8KVCacheDataTypeE0EEEvPKlPT_S6_PKS5_PKT0_illlliPT3_S4_iiiiPKf.kd
    .uniform_work_group_size: 1
    .uses_dynamic_stack: false
    .vgpr_count:     18
    .vgpr_spill_count: 0
    .wavefront_size: 64
  - .agpr_count:     0
    .args:
      - .actual_access:  read_only
        .address_space:  global
        .offset:         0
        .size:           8
        .value_kind:     global_buffer
      - .address_space:  global
        .offset:         8
        .size:           8
        .value_kind:     global_buffer
      - .address_space:  global
        .offset:         16
        .size:           8
        .value_kind:     global_buffer
      - .actual_access:  read_only
        .address_space:  global
        .offset:         24
        .size:           8
        .value_kind:     global_buffer
      - .actual_access:  read_only
        .address_space:  global
        .offset:         32
        .size:           8
        .value_kind:     global_buffer
      - .offset:         40
        .size:           4
        .value_kind:     by_value
      - .offset:         48
        .size:           8
        .value_kind:     by_value
      - .offset:         56
        .size:           8
        .value_kind:     by_value
      - .offset:         64
        .size:           8
        .value_kind:     by_value
      - .offset:         72
        .size:           8
        .value_kind:     by_value
      - .offset:         80
        .size:           4
        .value_kind:     by_value
      - .actual_access:  write_only
        .address_space:  global
        .offset:         88
        .size:           8
        .value_kind:     global_buffer
      - .actual_access:  read_only
        .address_space:  global
        .offset:         96
        .size:           8
        .value_kind:     global_buffer
      - .offset:         104
        .size:           4
        .value_kind:     by_value
      - .offset:         108
        .size:           4
        .value_kind:     by_value
      - .offset:         112
        .size:           4
        .value_kind:     by_value
      - .offset:         116
        .size:           4
        .value_kind:     by_value
      - .address_space:  global
        .offset:         120
        .size:           8
        .value_kind:     global_buffer
      - .offset:         128
        .size:           4
        .value_kind:     hidden_block_count_x
      - .offset:         132
        .size:           4
        .value_kind:     hidden_block_count_y
      - .offset:         136
        .size:           4
        .value_kind:     hidden_block_count_z
      - .offset:         140
        .size:           2
        .value_kind:     hidden_group_size_x
      - .offset:         142
        .size:           2
        .value_kind:     hidden_group_size_y
      - .offset:         144
        .size:           2
        .value_kind:     hidden_group_size_z
      - .offset:         146
        .size:           2
        .value_kind:     hidden_remainder_x
      - .offset:         148
        .size:           2
        .value_kind:     hidden_remainder_y
      - .offset:         150
        .size:           2
        .value_kind:     hidden_remainder_z
      - .offset:         168
        .size:           8
        .value_kind:     hidden_global_offset_x
      - .offset:         176
        .size:           8
        .value_kind:     hidden_global_offset_y
      - .offset:         184
        .size:           8
        .value_kind:     hidden_global_offset_z
      - .offset:         192
        .size:           2
        .value_kind:     hidden_grid_dims
    .group_segment_fixed_size: 0
    .kernarg_segment_align: 8
    .kernarg_segment_size: 384
    .language:       OpenCL C
    .language_version:
      - 2
      - 0
    .max_flat_workgroup_size: 1024
    .name:           _ZN4vllm38concat_and_cache_mla_rope_fused_kernelIffLb0E14__hip_bfloat16S1_LNS_18Fp8KVCacheDataTypeE0EEEvPKlPT_S6_PKS5_PKT0_illlliPT3_S4_iiiiPKf
    .private_segment_fixed_size: 0
    .sgpr_count:     49
    .sgpr_spill_count: 0
    .symbol:         _ZN4vllm38concat_and_cache_mla_rope_fused_kernelIffLb0E14__hip_bfloat16S1_LNS_18Fp8KVCacheDataTypeE0EEEvPKlPT_S6_PKS5_PKT0_illlliPT3_S4_iiiiPKf.kd
    .uniform_work_group_size: 1
    .uses_dynamic_stack: false
    .vgpr_count:     16
    .vgpr_spill_count: 0
    .wavefront_size: 64
  - .agpr_count:     0
    .args:
      - .actual_access:  read_only
        .address_space:  global
        .offset:         0
        .size:           8
        .value_kind:     global_buffer
      - .address_space:  global
        .offset:         8
        .size:           8
        .value_kind:     global_buffer
      - .address_space:  global
        .offset:         16
        .size:           8
        .value_kind:     global_buffer
      - .actual_access:  read_only
        .address_space:  global
        .offset:         24
        .size:           8
        .value_kind:     global_buffer
      - .actual_access:  read_only
        .address_space:  global
        .offset:         32
        .size:           8
        .value_kind:     global_buffer
      - .offset:         40
        .size:           4
        .value_kind:     by_value
      - .offset:         48
        .size:           8
        .value_kind:     by_value
      - .offset:         56
        .size:           8
        .value_kind:     by_value
      - .offset:         64
        .size:           8
        .value_kind:     by_value
      - .offset:         72
        .size:           8
        .value_kind:     by_value
      - .offset:         80
        .size:           4
        .value_kind:     by_value
      - .actual_access:  write_only
        .address_space:  global
        .offset:         88
        .size:           8
        .value_kind:     global_buffer
      - .actual_access:  read_only
        .address_space:  global
        .offset:         96
        .size:           8
        .value_kind:     global_buffer
      - .offset:         104
        .size:           4
        .value_kind:     by_value
      - .offset:         108
        .size:           4
        .value_kind:     by_value
      - .offset:         112
        .size:           4
        .value_kind:     by_value
      - .offset:         116
        .size:           4
        .value_kind:     by_value
      - .address_space:  global
        .offset:         120
        .size:           8
        .value_kind:     global_buffer
      - .offset:         128
        .size:           4
        .value_kind:     hidden_block_count_x
      - .offset:         132
        .size:           4
        .value_kind:     hidden_block_count_y
      - .offset:         136
        .size:           4
        .value_kind:     hidden_block_count_z
      - .offset:         140
        .size:           2
        .value_kind:     hidden_group_size_x
      - .offset:         142
        .size:           2
        .value_kind:     hidden_group_size_y
      - .offset:         144
        .size:           2
        .value_kind:     hidden_group_size_z
      - .offset:         146
        .size:           2
        .value_kind:     hidden_remainder_x
      - .offset:         148
        .size:           2
        .value_kind:     hidden_remainder_y
      - .offset:         150
        .size:           2
        .value_kind:     hidden_remainder_z
      - .offset:         168
        .size:           8
        .value_kind:     hidden_global_offset_x
      - .offset:         176
        .size:           8
        .value_kind:     hidden_global_offset_y
      - .offset:         184
        .size:           8
        .value_kind:     hidden_global_offset_z
      - .offset:         192
        .size:           2
        .value_kind:     hidden_grid_dims
    .group_segment_fixed_size: 0
    .kernarg_segment_align: 8
    .kernarg_segment_size: 384
    .language:       OpenCL C
    .language_version:
      - 2
      - 0
    .max_flat_workgroup_size: 1024
    .name:           _ZN4vllm38concat_and_cache_mla_rope_fused_kernelIfN3c104HalfELb1E14__hip_bfloat16S3_LNS_18Fp8KVCacheDataTypeE0EEEvPKlPT_S8_PKS7_PKT0_illlliPT3_S6_iiiiPKf
    .private_segment_fixed_size: 0
    .sgpr_count:     54
    .sgpr_spill_count: 0
    .symbol:         _ZN4vllm38concat_and_cache_mla_rope_fused_kernelIfN3c104HalfELb1E14__hip_bfloat16S3_LNS_18Fp8KVCacheDataTypeE0EEEvPKlPT_S8_PKS7_PKT0_illlliPT3_S6_iiiiPKf.kd
    .uniform_work_group_size: 1
    .uses_dynamic_stack: false
    .vgpr_count:     18
    .vgpr_spill_count: 0
    .wavefront_size: 64
  - .agpr_count:     0
    .args:
      - .actual_access:  read_only
        .address_space:  global
        .offset:         0
        .size:           8
        .value_kind:     global_buffer
      - .address_space:  global
        .offset:         8
        .size:           8
        .value_kind:     global_buffer
      - .address_space:  global
        .offset:         16
        .size:           8
        .value_kind:     global_buffer
      - .actual_access:  read_only
        .address_space:  global
        .offset:         24
        .size:           8
        .value_kind:     global_buffer
      - .actual_access:  read_only
        .address_space:  global
        .offset:         32
        .size:           8
        .value_kind:     global_buffer
      - .offset:         40
        .size:           4
        .value_kind:     by_value
      - .offset:         48
        .size:           8
        .value_kind:     by_value
      - .offset:         56
        .size:           8
        .value_kind:     by_value
      - .offset:         64
        .size:           8
        .value_kind:     by_value
      - .offset:         72
        .size:           8
        .value_kind:     by_value
      - .offset:         80
        .size:           4
        .value_kind:     by_value
      - .actual_access:  write_only
        .address_space:  global
        .offset:         88
        .size:           8
        .value_kind:     global_buffer
      - .actual_access:  read_only
        .address_space:  global
        .offset:         96
        .size:           8
        .value_kind:     global_buffer
      - .offset:         104
        .size:           4
        .value_kind:     by_value
      - .offset:         108
        .size:           4
        .value_kind:     by_value
      - .offset:         112
        .size:           4
        .value_kind:     by_value
      - .offset:         116
        .size:           4
        .value_kind:     by_value
      - .address_space:  global
        .offset:         120
        .size:           8
        .value_kind:     global_buffer
      - .offset:         128
        .size:           4
        .value_kind:     hidden_block_count_x
      - .offset:         132
        .size:           4
        .value_kind:     hidden_block_count_y
      - .offset:         136
        .size:           4
        .value_kind:     hidden_block_count_z
      - .offset:         140
        .size:           2
        .value_kind:     hidden_group_size_x
      - .offset:         142
        .size:           2
        .value_kind:     hidden_group_size_y
      - .offset:         144
        .size:           2
        .value_kind:     hidden_group_size_z
      - .offset:         146
        .size:           2
        .value_kind:     hidden_remainder_x
      - .offset:         148
        .size:           2
        .value_kind:     hidden_remainder_y
      - .offset:         150
        .size:           2
        .value_kind:     hidden_remainder_z
      - .offset:         168
        .size:           8
        .value_kind:     hidden_global_offset_x
      - .offset:         176
        .size:           8
        .value_kind:     hidden_global_offset_y
      - .offset:         184
        .size:           8
        .value_kind:     hidden_global_offset_z
      - .offset:         192
        .size:           2
        .value_kind:     hidden_grid_dims
    .group_segment_fixed_size: 0
    .kernarg_segment_align: 8
    .kernarg_segment_size: 384
    .language:       OpenCL C
    .language_version:
      - 2
      - 0
    .max_flat_workgroup_size: 1024
    .name:           _ZN4vllm38concat_and_cache_mla_rope_fused_kernelIfN3c104HalfELb0E14__hip_bfloat16S3_LNS_18Fp8KVCacheDataTypeE0EEEvPKlPT_S8_PKS7_PKT0_illlliPT3_S6_iiiiPKf
    .private_segment_fixed_size: 0
    .sgpr_count:     49
    .sgpr_spill_count: 0
    .symbol:         _ZN4vllm38concat_and_cache_mla_rope_fused_kernelIfN3c104HalfELb0E14__hip_bfloat16S3_LNS_18Fp8KVCacheDataTypeE0EEEvPKlPT_S8_PKS7_PKT0_illlliPT3_S6_iiiiPKf.kd
    .uniform_work_group_size: 1
    .uses_dynamic_stack: false
    .vgpr_count:     16
    .vgpr_spill_count: 0
    .wavefront_size: 64
  - .agpr_count:     0
    .args:
      - .actual_access:  read_only
        .address_space:  global
        .offset:         0
        .size:           8
        .value_kind:     global_buffer
      - .address_space:  global
        .offset:         8
        .size:           8
        .value_kind:     global_buffer
      - .address_space:  global
        .offset:         16
        .size:           8
        .value_kind:     global_buffer
      - .actual_access:  read_only
        .address_space:  global
        .offset:         24
        .size:           8
        .value_kind:     global_buffer
      - .actual_access:  read_only
        .address_space:  global
        .offset:         32
        .size:           8
        .value_kind:     global_buffer
      - .offset:         40
        .size:           4
        .value_kind:     by_value
      - .offset:         48
        .size:           8
        .value_kind:     by_value
      - .offset:         56
        .size:           8
        .value_kind:     by_value
      - .offset:         64
        .size:           8
        .value_kind:     by_value
      - .offset:         72
        .size:           8
        .value_kind:     by_value
      - .offset:         80
        .size:           4
        .value_kind:     by_value
      - .actual_access:  write_only
        .address_space:  global
        .offset:         88
        .size:           8
        .value_kind:     global_buffer
      - .actual_access:  read_only
        .address_space:  global
        .offset:         96
        .size:           8
        .value_kind:     global_buffer
      - .offset:         104
        .size:           4
        .value_kind:     by_value
      - .offset:         108
        .size:           4
        .value_kind:     by_value
      - .offset:         112
        .size:           4
        .value_kind:     by_value
      - .offset:         116
        .size:           4
        .value_kind:     by_value
      - .address_space:  global
        .offset:         120
        .size:           8
        .value_kind:     global_buffer
      - .offset:         128
        .size:           4
        .value_kind:     hidden_block_count_x
      - .offset:         132
        .size:           4
        .value_kind:     hidden_block_count_y
      - .offset:         136
        .size:           4
        .value_kind:     hidden_block_count_z
      - .offset:         140
        .size:           2
        .value_kind:     hidden_group_size_x
      - .offset:         142
        .size:           2
        .value_kind:     hidden_group_size_y
      - .offset:         144
        .size:           2
        .value_kind:     hidden_group_size_z
      - .offset:         146
        .size:           2
        .value_kind:     hidden_remainder_x
      - .offset:         148
        .size:           2
        .value_kind:     hidden_remainder_y
      - .offset:         150
        .size:           2
        .value_kind:     hidden_remainder_z
      - .offset:         168
        .size:           8
        .value_kind:     hidden_global_offset_x
      - .offset:         176
        .size:           8
        .value_kind:     hidden_global_offset_y
      - .offset:         184
        .size:           8
        .value_kind:     hidden_global_offset_z
      - .offset:         192
        .size:           2
        .value_kind:     hidden_grid_dims
    .group_segment_fixed_size: 0
    .kernarg_segment_align: 8
    .kernarg_segment_size: 384
    .language:       OpenCL C
    .language_version:
      - 2
      - 0
    .max_flat_workgroup_size: 1024
    .name:           _ZN4vllm38concat_and_cache_mla_rope_fused_kernelIfN3c108BFloat16ELb1E14__hip_bfloat16S3_LNS_18Fp8KVCacheDataTypeE0EEEvPKlPT_S8_PKS7_PKT0_illlliPT3_S6_iiiiPKf
    .private_segment_fixed_size: 0
    .sgpr_count:     54
    .sgpr_spill_count: 0
    .symbol:         _ZN4vllm38concat_and_cache_mla_rope_fused_kernelIfN3c108BFloat16ELb1E14__hip_bfloat16S3_LNS_18Fp8KVCacheDataTypeE0EEEvPKlPT_S8_PKS7_PKT0_illlliPT3_S6_iiiiPKf.kd
    .uniform_work_group_size: 1
    .uses_dynamic_stack: false
    .vgpr_count:     17
    .vgpr_spill_count: 0
    .wavefront_size: 64
  - .agpr_count:     0
    .args:
      - .actual_access:  read_only
        .address_space:  global
        .offset:         0
        .size:           8
        .value_kind:     global_buffer
      - .address_space:  global
        .offset:         8
        .size:           8
        .value_kind:     global_buffer
      - .address_space:  global
        .offset:         16
        .size:           8
        .value_kind:     global_buffer
      - .actual_access:  read_only
        .address_space:  global
        .offset:         24
        .size:           8
        .value_kind:     global_buffer
      - .actual_access:  read_only
        .address_space:  global
        .offset:         32
        .size:           8
        .value_kind:     global_buffer
      - .offset:         40
        .size:           4
        .value_kind:     by_value
      - .offset:         48
        .size:           8
        .value_kind:     by_value
      - .offset:         56
        .size:           8
        .value_kind:     by_value
      - .offset:         64
        .size:           8
        .value_kind:     by_value
      - .offset:         72
        .size:           8
        .value_kind:     by_value
      - .offset:         80
        .size:           4
        .value_kind:     by_value
      - .actual_access:  write_only
        .address_space:  global
        .offset:         88
        .size:           8
        .value_kind:     global_buffer
      - .actual_access:  read_only
        .address_space:  global
        .offset:         96
        .size:           8
        .value_kind:     global_buffer
      - .offset:         104
        .size:           4
        .value_kind:     by_value
      - .offset:         108
        .size:           4
        .value_kind:     by_value
      - .offset:         112
        .size:           4
        .value_kind:     by_value
      - .offset:         116
        .size:           4
        .value_kind:     by_value
      - .address_space:  global
        .offset:         120
        .size:           8
        .value_kind:     global_buffer
      - .offset:         128
        .size:           4
        .value_kind:     hidden_block_count_x
      - .offset:         132
        .size:           4
        .value_kind:     hidden_block_count_y
      - .offset:         136
        .size:           4
        .value_kind:     hidden_block_count_z
      - .offset:         140
        .size:           2
        .value_kind:     hidden_group_size_x
      - .offset:         142
        .size:           2
        .value_kind:     hidden_group_size_y
      - .offset:         144
        .size:           2
        .value_kind:     hidden_group_size_z
      - .offset:         146
        .size:           2
        .value_kind:     hidden_remainder_x
      - .offset:         148
        .size:           2
        .value_kind:     hidden_remainder_y
      - .offset:         150
        .size:           2
        .value_kind:     hidden_remainder_z
      - .offset:         168
        .size:           8
        .value_kind:     hidden_global_offset_x
      - .offset:         176
        .size:           8
        .value_kind:     hidden_global_offset_y
      - .offset:         184
        .size:           8
        .value_kind:     hidden_global_offset_z
      - .offset:         192
        .size:           2
        .value_kind:     hidden_grid_dims
    .group_segment_fixed_size: 0
    .kernarg_segment_align: 8
    .kernarg_segment_size: 384
    .language:       OpenCL C
    .language_version:
      - 2
      - 0
    .max_flat_workgroup_size: 1024
    .name:           _ZN4vllm38concat_and_cache_mla_rope_fused_kernelIfN3c108BFloat16ELb0E14__hip_bfloat16S3_LNS_18Fp8KVCacheDataTypeE0EEEvPKlPT_S8_PKS7_PKT0_illlliPT3_S6_iiiiPKf
    .private_segment_fixed_size: 0
    .sgpr_count:     49
    .sgpr_spill_count: 0
    .symbol:         _ZN4vllm38concat_and_cache_mla_rope_fused_kernelIfN3c108BFloat16ELb0E14__hip_bfloat16S3_LNS_18Fp8KVCacheDataTypeE0EEEvPKlPT_S8_PKS7_PKT0_illlliPT3_S6_iiiiPKf.kd
    .uniform_work_group_size: 1
    .uses_dynamic_stack: false
    .vgpr_count:     16
    .vgpr_spill_count: 0
    .wavefront_size: 64
  - .agpr_count:     0
    .args:
      - .actual_access:  read_only
        .address_space:  global
        .offset:         0
        .size:           8
        .value_kind:     global_buffer
      - .address_space:  global
        .offset:         8
        .size:           8
        .value_kind:     global_buffer
      - .address_space:  global
        .offset:         16
        .size:           8
        .value_kind:     global_buffer
      - .actual_access:  read_only
        .address_space:  global
        .offset:         24
        .size:           8
        .value_kind:     global_buffer
      - .actual_access:  read_only
        .address_space:  global
        .offset:         32
        .size:           8
        .value_kind:     global_buffer
      - .offset:         40
        .size:           4
        .value_kind:     by_value
      - .offset:         48
        .size:           8
        .value_kind:     by_value
      - .offset:         56
        .size:           8
        .value_kind:     by_value
      - .offset:         64
        .size:           8
        .value_kind:     by_value
      - .offset:         72
        .size:           8
        .value_kind:     by_value
      - .offset:         80
        .size:           4
        .value_kind:     by_value
      - .actual_access:  write_only
        .address_space:  global
        .offset:         88
        .size:           8
        .value_kind:     global_buffer
      - .actual_access:  read_only
        .address_space:  global
        .offset:         96
        .size:           8
        .value_kind:     global_buffer
      - .offset:         104
        .size:           4
        .value_kind:     by_value
      - .offset:         108
        .size:           4
        .value_kind:     by_value
      - .offset:         112
        .size:           4
        .value_kind:     by_value
      - .offset:         116
        .size:           4
        .value_kind:     by_value
      - .address_space:  global
        .offset:         120
        .size:           8
        .value_kind:     global_buffer
      - .offset:         128
        .size:           4
        .value_kind:     hidden_block_count_x
      - .offset:         132
        .size:           4
        .value_kind:     hidden_block_count_y
      - .offset:         136
        .size:           4
        .value_kind:     hidden_block_count_z
      - .offset:         140
        .size:           2
        .value_kind:     hidden_group_size_x
      - .offset:         142
        .size:           2
        .value_kind:     hidden_group_size_y
      - .offset:         144
        .size:           2
        .value_kind:     hidden_group_size_z
      - .offset:         146
        .size:           2
        .value_kind:     hidden_remainder_x
      - .offset:         148
        .size:           2
        .value_kind:     hidden_remainder_y
      - .offset:         150
        .size:           2
        .value_kind:     hidden_remainder_z
      - .offset:         168
        .size:           8
        .value_kind:     hidden_global_offset_x
      - .offset:         176
        .size:           8
        .value_kind:     hidden_global_offset_y
      - .offset:         184
        .size:           8
        .value_kind:     hidden_global_offset_z
      - .offset:         192
        .size:           2
        .value_kind:     hidden_grid_dims
    .group_segment_fixed_size: 0
    .kernarg_segment_align: 8
    .kernarg_segment_size: 384
    .language:       OpenCL C
    .language_version:
      - 2
      - 0
    .max_flat_workgroup_size: 1024
    .name:           _ZN4vllm38concat_and_cache_mla_rope_fused_kernelIN3c104HalfEfLb1E14__hip_bfloat16S3_LNS_18Fp8KVCacheDataTypeE0EEEvPKlPT_S8_PKS7_PKT0_illlliPT3_S6_iiiiPKf
    .private_segment_fixed_size: 0
    .sgpr_count:     52
    .sgpr_spill_count: 0
    .symbol:         _ZN4vllm38concat_and_cache_mla_rope_fused_kernelIN3c104HalfEfLb1E14__hip_bfloat16S3_LNS_18Fp8KVCacheDataTypeE0EEEvPKlPT_S8_PKS7_PKT0_illlliPT3_S6_iiiiPKf.kd
    .uniform_work_group_size: 1
    .uses_dynamic_stack: false
    .vgpr_count:     19
    .vgpr_spill_count: 0
    .wavefront_size: 64
  - .agpr_count:     0
    .args:
      - .actual_access:  read_only
        .address_space:  global
        .offset:         0
        .size:           8
        .value_kind:     global_buffer
      - .address_space:  global
        .offset:         8
        .size:           8
        .value_kind:     global_buffer
      - .address_space:  global
        .offset:         16
        .size:           8
        .value_kind:     global_buffer
      - .actual_access:  read_only
        .address_space:  global
        .offset:         24
        .size:           8
        .value_kind:     global_buffer
      - .actual_access:  read_only
        .address_space:  global
        .offset:         32
        .size:           8
        .value_kind:     global_buffer
      - .offset:         40
        .size:           4
        .value_kind:     by_value
      - .offset:         48
        .size:           8
        .value_kind:     by_value
      - .offset:         56
        .size:           8
        .value_kind:     by_value
      - .offset:         64
        .size:           8
        .value_kind:     by_value
      - .offset:         72
        .size:           8
        .value_kind:     by_value
      - .offset:         80
        .size:           4
        .value_kind:     by_value
      - .actual_access:  write_only
        .address_space:  global
        .offset:         88
        .size:           8
        .value_kind:     global_buffer
      - .actual_access:  read_only
        .address_space:  global
        .offset:         96
        .size:           8
        .value_kind:     global_buffer
      - .offset:         104
        .size:           4
        .value_kind:     by_value
      - .offset:         108
        .size:           4
        .value_kind:     by_value
      - .offset:         112
        .size:           4
        .value_kind:     by_value
      - .offset:         116
        .size:           4
        .value_kind:     by_value
      - .address_space:  global
        .offset:         120
        .size:           8
        .value_kind:     global_buffer
      - .offset:         128
        .size:           4
        .value_kind:     hidden_block_count_x
      - .offset:         132
        .size:           4
        .value_kind:     hidden_block_count_y
      - .offset:         136
        .size:           4
        .value_kind:     hidden_block_count_z
      - .offset:         140
        .size:           2
        .value_kind:     hidden_group_size_x
      - .offset:         142
        .size:           2
        .value_kind:     hidden_group_size_y
      - .offset:         144
        .size:           2
        .value_kind:     hidden_group_size_z
      - .offset:         146
        .size:           2
        .value_kind:     hidden_remainder_x
      - .offset:         148
        .size:           2
        .value_kind:     hidden_remainder_y
      - .offset:         150
        .size:           2
        .value_kind:     hidden_remainder_z
      - .offset:         168
        .size:           8
        .value_kind:     hidden_global_offset_x
      - .offset:         176
        .size:           8
        .value_kind:     hidden_global_offset_y
      - .offset:         184
        .size:           8
        .value_kind:     hidden_global_offset_z
      - .offset:         192
        .size:           2
        .value_kind:     hidden_grid_dims
    .group_segment_fixed_size: 0
    .kernarg_segment_align: 8
    .kernarg_segment_size: 384
    .language:       OpenCL C
    .language_version:
      - 2
      - 0
    .max_flat_workgroup_size: 1024
    .name:           _ZN4vllm38concat_and_cache_mla_rope_fused_kernelIN3c104HalfEfLb0E14__hip_bfloat16S3_LNS_18Fp8KVCacheDataTypeE0EEEvPKlPT_S8_PKS7_PKT0_illlliPT3_S6_iiiiPKf
    .private_segment_fixed_size: 0
    .sgpr_count:     49
    .sgpr_spill_count: 0
    .symbol:         _ZN4vllm38concat_and_cache_mla_rope_fused_kernelIN3c104HalfEfLb0E14__hip_bfloat16S3_LNS_18Fp8KVCacheDataTypeE0EEEvPKlPT_S8_PKS7_PKT0_illlliPT3_S6_iiiiPKf.kd
    .uniform_work_group_size: 1
    .uses_dynamic_stack: false
    .vgpr_count:     19
    .vgpr_spill_count: 0
    .wavefront_size: 64
  - .agpr_count:     0
    .args:
      - .actual_access:  read_only
        .address_space:  global
        .offset:         0
        .size:           8
        .value_kind:     global_buffer
      - .address_space:  global
        .offset:         8
        .size:           8
        .value_kind:     global_buffer
      - .address_space:  global
        .offset:         16
        .size:           8
        .value_kind:     global_buffer
      - .actual_access:  read_only
        .address_space:  global
        .offset:         24
        .size:           8
        .value_kind:     global_buffer
      - .actual_access:  read_only
        .address_space:  global
        .offset:         32
        .size:           8
        .value_kind:     global_buffer
      - .offset:         40
        .size:           4
        .value_kind:     by_value
      - .offset:         48
        .size:           8
        .value_kind:     by_value
      - .offset:         56
        .size:           8
        .value_kind:     by_value
      - .offset:         64
        .size:           8
        .value_kind:     by_value
      - .offset:         72
        .size:           8
        .value_kind:     by_value
      - .offset:         80
        .size:           4
        .value_kind:     by_value
      - .actual_access:  write_only
        .address_space:  global
        .offset:         88
        .size:           8
        .value_kind:     global_buffer
      - .actual_access:  read_only
        .address_space:  global
        .offset:         96
        .size:           8
        .value_kind:     global_buffer
      - .offset:         104
        .size:           4
        .value_kind:     by_value
      - .offset:         108
        .size:           4
        .value_kind:     by_value
      - .offset:         112
        .size:           4
        .value_kind:     by_value
      - .offset:         116
        .size:           4
        .value_kind:     by_value
      - .address_space:  global
        .offset:         120
        .size:           8
        .value_kind:     global_buffer
      - .offset:         128
        .size:           4
        .value_kind:     hidden_block_count_x
      - .offset:         132
        .size:           4
        .value_kind:     hidden_block_count_y
      - .offset:         136
        .size:           4
        .value_kind:     hidden_block_count_z
      - .offset:         140
        .size:           2
        .value_kind:     hidden_group_size_x
      - .offset:         142
        .size:           2
        .value_kind:     hidden_group_size_y
      - .offset:         144
        .size:           2
        .value_kind:     hidden_group_size_z
      - .offset:         146
        .size:           2
        .value_kind:     hidden_remainder_x
      - .offset:         148
        .size:           2
        .value_kind:     hidden_remainder_y
      - .offset:         150
        .size:           2
        .value_kind:     hidden_remainder_z
      - .offset:         168
        .size:           8
        .value_kind:     hidden_global_offset_x
      - .offset:         176
        .size:           8
        .value_kind:     hidden_global_offset_y
      - .offset:         184
        .size:           8
        .value_kind:     hidden_global_offset_z
      - .offset:         192
        .size:           2
        .value_kind:     hidden_grid_dims
    .group_segment_fixed_size: 0
    .kernarg_segment_align: 8
    .kernarg_segment_size: 384
    .language:       OpenCL C
    .language_version:
      - 2
      - 0
    .max_flat_workgroup_size: 1024
    .name:           _ZN4vllm38concat_and_cache_mla_rope_fused_kernelIN3c104HalfES2_Lb1E14__hip_bfloat16S3_LNS_18Fp8KVCacheDataTypeE0EEEvPKlPT_S8_PKS7_PKT0_illlliPT3_S6_iiiiPKf
    .private_segment_fixed_size: 0
    .sgpr_count:     54
    .sgpr_spill_count: 0
    .symbol:         _ZN4vllm38concat_and_cache_mla_rope_fused_kernelIN3c104HalfES2_Lb1E14__hip_bfloat16S3_LNS_18Fp8KVCacheDataTypeE0EEEvPKlPT_S8_PKS7_PKT0_illlliPT3_S6_iiiiPKf.kd
    .uniform_work_group_size: 1
    .uses_dynamic_stack: false
    .vgpr_count:     17
    .vgpr_spill_count: 0
    .wavefront_size: 64
  - .agpr_count:     0
    .args:
      - .actual_access:  read_only
        .address_space:  global
        .offset:         0
        .size:           8
        .value_kind:     global_buffer
      - .address_space:  global
        .offset:         8
        .size:           8
        .value_kind:     global_buffer
      - .address_space:  global
        .offset:         16
        .size:           8
        .value_kind:     global_buffer
      - .actual_access:  read_only
        .address_space:  global
        .offset:         24
        .size:           8
        .value_kind:     global_buffer
      - .actual_access:  read_only
        .address_space:  global
        .offset:         32
        .size:           8
        .value_kind:     global_buffer
      - .offset:         40
        .size:           4
        .value_kind:     by_value
      - .offset:         48
        .size:           8
        .value_kind:     by_value
      - .offset:         56
        .size:           8
        .value_kind:     by_value
      - .offset:         64
        .size:           8
        .value_kind:     by_value
      - .offset:         72
        .size:           8
        .value_kind:     by_value
      - .offset:         80
        .size:           4
        .value_kind:     by_value
      - .actual_access:  write_only
        .address_space:  global
        .offset:         88
        .size:           8
        .value_kind:     global_buffer
      - .actual_access:  read_only
        .address_space:  global
        .offset:         96
        .size:           8
        .value_kind:     global_buffer
      - .offset:         104
        .size:           4
        .value_kind:     by_value
      - .offset:         108
        .size:           4
        .value_kind:     by_value
      - .offset:         112
        .size:           4
        .value_kind:     by_value
      - .offset:         116
        .size:           4
        .value_kind:     by_value
      - .address_space:  global
        .offset:         120
        .size:           8
        .value_kind:     global_buffer
      - .offset:         128
        .size:           4
        .value_kind:     hidden_block_count_x
      - .offset:         132
        .size:           4
        .value_kind:     hidden_block_count_y
      - .offset:         136
        .size:           4
        .value_kind:     hidden_block_count_z
      - .offset:         140
        .size:           2
        .value_kind:     hidden_group_size_x
      - .offset:         142
        .size:           2
        .value_kind:     hidden_group_size_y
      - .offset:         144
        .size:           2
        .value_kind:     hidden_group_size_z
      - .offset:         146
        .size:           2
        .value_kind:     hidden_remainder_x
      - .offset:         148
        .size:           2
        .value_kind:     hidden_remainder_y
      - .offset:         150
        .size:           2
        .value_kind:     hidden_remainder_z
      - .offset:         168
        .size:           8
        .value_kind:     hidden_global_offset_x
      - .offset:         176
        .size:           8
        .value_kind:     hidden_global_offset_y
      - .offset:         184
        .size:           8
        .value_kind:     hidden_global_offset_z
      - .offset:         192
        .size:           2
        .value_kind:     hidden_grid_dims
    .group_segment_fixed_size: 0
    .kernarg_segment_align: 8
    .kernarg_segment_size: 384
    .language:       OpenCL C
    .language_version:
      - 2
      - 0
    .max_flat_workgroup_size: 1024
    .name:           _ZN4vllm38concat_and_cache_mla_rope_fused_kernelIN3c104HalfES2_Lb0E14__hip_bfloat16S3_LNS_18Fp8KVCacheDataTypeE0EEEvPKlPT_S8_PKS7_PKT0_illlliPT3_S6_iiiiPKf
    .private_segment_fixed_size: 0
    .sgpr_count:     49
    .sgpr_spill_count: 0
    .symbol:         _ZN4vllm38concat_and_cache_mla_rope_fused_kernelIN3c104HalfES2_Lb0E14__hip_bfloat16S3_LNS_18Fp8KVCacheDataTypeE0EEEvPKlPT_S8_PKS7_PKT0_illlliPT3_S6_iiiiPKf.kd
    .uniform_work_group_size: 1
    .uses_dynamic_stack: false
    .vgpr_count:     17
    .vgpr_spill_count: 0
    .wavefront_size: 64
  - .agpr_count:     0
    .args:
      - .actual_access:  read_only
        .address_space:  global
        .offset:         0
        .size:           8
        .value_kind:     global_buffer
      - .address_space:  global
        .offset:         8
        .size:           8
        .value_kind:     global_buffer
      - .address_space:  global
        .offset:         16
        .size:           8
        .value_kind:     global_buffer
      - .actual_access:  read_only
        .address_space:  global
        .offset:         24
        .size:           8
        .value_kind:     global_buffer
      - .actual_access:  read_only
        .address_space:  global
        .offset:         32
        .size:           8
        .value_kind:     global_buffer
      - .offset:         40
        .size:           4
        .value_kind:     by_value
      - .offset:         48
        .size:           8
        .value_kind:     by_value
      - .offset:         56
        .size:           8
        .value_kind:     by_value
      - .offset:         64
        .size:           8
        .value_kind:     by_value
      - .offset:         72
        .size:           8
        .value_kind:     by_value
      - .offset:         80
        .size:           4
        .value_kind:     by_value
      - .actual_access:  write_only
        .address_space:  global
        .offset:         88
        .size:           8
        .value_kind:     global_buffer
      - .actual_access:  read_only
        .address_space:  global
        .offset:         96
        .size:           8
        .value_kind:     global_buffer
      - .offset:         104
        .size:           4
        .value_kind:     by_value
      - .offset:         108
        .size:           4
        .value_kind:     by_value
      - .offset:         112
        .size:           4
        .value_kind:     by_value
      - .offset:         116
        .size:           4
        .value_kind:     by_value
      - .address_space:  global
        .offset:         120
        .size:           8
        .value_kind:     global_buffer
      - .offset:         128
        .size:           4
        .value_kind:     hidden_block_count_x
      - .offset:         132
        .size:           4
        .value_kind:     hidden_block_count_y
      - .offset:         136
        .size:           4
        .value_kind:     hidden_block_count_z
      - .offset:         140
        .size:           2
        .value_kind:     hidden_group_size_x
      - .offset:         142
        .size:           2
        .value_kind:     hidden_group_size_y
      - .offset:         144
        .size:           2
        .value_kind:     hidden_group_size_z
      - .offset:         146
        .size:           2
        .value_kind:     hidden_remainder_x
      - .offset:         148
        .size:           2
        .value_kind:     hidden_remainder_y
      - .offset:         150
        .size:           2
        .value_kind:     hidden_remainder_z
      - .offset:         168
        .size:           8
        .value_kind:     hidden_global_offset_x
      - .offset:         176
        .size:           8
        .value_kind:     hidden_global_offset_y
      - .offset:         184
        .size:           8
        .value_kind:     hidden_global_offset_z
      - .offset:         192
        .size:           2
        .value_kind:     hidden_grid_dims
    .group_segment_fixed_size: 0
    .kernarg_segment_align: 8
    .kernarg_segment_size: 384
    .language:       OpenCL C
    .language_version:
      - 2
      - 0
    .max_flat_workgroup_size: 1024
    .name:           _ZN4vllm38concat_and_cache_mla_rope_fused_kernelIN3c104HalfENS1_8BFloat16ELb1E14__hip_bfloat16S4_LNS_18Fp8KVCacheDataTypeE0EEEvPKlPT_S9_PKS8_PKT0_illlliPT3_S7_iiiiPKf
    .private_segment_fixed_size: 0
    .sgpr_count:     54
    .sgpr_spill_count: 0
    .symbol:         _ZN4vllm38concat_and_cache_mla_rope_fused_kernelIN3c104HalfENS1_8BFloat16ELb1E14__hip_bfloat16S4_LNS_18Fp8KVCacheDataTypeE0EEEvPKlPT_S9_PKS8_PKT0_illlliPT3_S7_iiiiPKf.kd
    .uniform_work_group_size: 1
    .uses_dynamic_stack: false
    .vgpr_count:     17
    .vgpr_spill_count: 0
    .wavefront_size: 64
  - .agpr_count:     0
    .args:
      - .actual_access:  read_only
        .address_space:  global
        .offset:         0
        .size:           8
        .value_kind:     global_buffer
      - .address_space:  global
        .offset:         8
        .size:           8
        .value_kind:     global_buffer
      - .address_space:  global
        .offset:         16
        .size:           8
        .value_kind:     global_buffer
      - .actual_access:  read_only
        .address_space:  global
        .offset:         24
        .size:           8
        .value_kind:     global_buffer
      - .actual_access:  read_only
        .address_space:  global
        .offset:         32
        .size:           8
        .value_kind:     global_buffer
      - .offset:         40
        .size:           4
        .value_kind:     by_value
      - .offset:         48
        .size:           8
        .value_kind:     by_value
      - .offset:         56
        .size:           8
        .value_kind:     by_value
      - .offset:         64
        .size:           8
        .value_kind:     by_value
      - .offset:         72
        .size:           8
        .value_kind:     by_value
      - .offset:         80
        .size:           4
        .value_kind:     by_value
      - .actual_access:  write_only
        .address_space:  global
        .offset:         88
        .size:           8
        .value_kind:     global_buffer
      - .actual_access:  read_only
        .address_space:  global
        .offset:         96
        .size:           8
        .value_kind:     global_buffer
      - .offset:         104
        .size:           4
        .value_kind:     by_value
      - .offset:         108
        .size:           4
        .value_kind:     by_value
      - .offset:         112
        .size:           4
        .value_kind:     by_value
      - .offset:         116
        .size:           4
        .value_kind:     by_value
      - .address_space:  global
        .offset:         120
        .size:           8
        .value_kind:     global_buffer
      - .offset:         128
        .size:           4
        .value_kind:     hidden_block_count_x
      - .offset:         132
        .size:           4
        .value_kind:     hidden_block_count_y
      - .offset:         136
        .size:           4
        .value_kind:     hidden_block_count_z
      - .offset:         140
        .size:           2
        .value_kind:     hidden_group_size_x
      - .offset:         142
        .size:           2
        .value_kind:     hidden_group_size_y
      - .offset:         144
        .size:           2
        .value_kind:     hidden_group_size_z
      - .offset:         146
        .size:           2
        .value_kind:     hidden_remainder_x
      - .offset:         148
        .size:           2
        .value_kind:     hidden_remainder_y
      - .offset:         150
        .size:           2
        .value_kind:     hidden_remainder_z
      - .offset:         168
        .size:           8
        .value_kind:     hidden_global_offset_x
      - .offset:         176
        .size:           8
        .value_kind:     hidden_global_offset_y
      - .offset:         184
        .size:           8
        .value_kind:     hidden_global_offset_z
      - .offset:         192
        .size:           2
        .value_kind:     hidden_grid_dims
    .group_segment_fixed_size: 0
    .kernarg_segment_align: 8
    .kernarg_segment_size: 384
    .language:       OpenCL C
    .language_version:
      - 2
      - 0
    .max_flat_workgroup_size: 1024
    .name:           _ZN4vllm38concat_and_cache_mla_rope_fused_kernelIN3c104HalfENS1_8BFloat16ELb0E14__hip_bfloat16S4_LNS_18Fp8KVCacheDataTypeE0EEEvPKlPT_S9_PKS8_PKT0_illlliPT3_S7_iiiiPKf
    .private_segment_fixed_size: 0
    .sgpr_count:     49
    .sgpr_spill_count: 0
    .symbol:         _ZN4vllm38concat_and_cache_mla_rope_fused_kernelIN3c104HalfENS1_8BFloat16ELb0E14__hip_bfloat16S4_LNS_18Fp8KVCacheDataTypeE0EEEvPKlPT_S9_PKS8_PKT0_illlliPT3_S7_iiiiPKf.kd
    .uniform_work_group_size: 1
    .uses_dynamic_stack: false
    .vgpr_count:     17
    .vgpr_spill_count: 0
    .wavefront_size: 64
  - .agpr_count:     0
    .args:
      - .actual_access:  read_only
        .address_space:  global
        .offset:         0
        .size:           8
        .value_kind:     global_buffer
      - .address_space:  global
        .offset:         8
        .size:           8
        .value_kind:     global_buffer
      - .address_space:  global
        .offset:         16
        .size:           8
        .value_kind:     global_buffer
      - .actual_access:  read_only
        .address_space:  global
        .offset:         24
        .size:           8
        .value_kind:     global_buffer
      - .actual_access:  read_only
        .address_space:  global
        .offset:         32
        .size:           8
        .value_kind:     global_buffer
      - .offset:         40
        .size:           4
        .value_kind:     by_value
      - .offset:         48
        .size:           8
        .value_kind:     by_value
      - .offset:         56
        .size:           8
        .value_kind:     by_value
      - .offset:         64
        .size:           8
        .value_kind:     by_value
      - .offset:         72
        .size:           8
        .value_kind:     by_value
      - .offset:         80
        .size:           4
        .value_kind:     by_value
      - .actual_access:  write_only
        .address_space:  global
        .offset:         88
        .size:           8
        .value_kind:     global_buffer
      - .actual_access:  read_only
        .address_space:  global
        .offset:         96
        .size:           8
        .value_kind:     global_buffer
      - .offset:         104
        .size:           4
        .value_kind:     by_value
      - .offset:         108
        .size:           4
        .value_kind:     by_value
      - .offset:         112
        .size:           4
        .value_kind:     by_value
      - .offset:         116
        .size:           4
        .value_kind:     by_value
      - .address_space:  global
        .offset:         120
        .size:           8
        .value_kind:     global_buffer
      - .offset:         128
        .size:           4
        .value_kind:     hidden_block_count_x
      - .offset:         132
        .size:           4
        .value_kind:     hidden_block_count_y
      - .offset:         136
        .size:           4
        .value_kind:     hidden_block_count_z
      - .offset:         140
        .size:           2
        .value_kind:     hidden_group_size_x
      - .offset:         142
        .size:           2
        .value_kind:     hidden_group_size_y
      - .offset:         144
        .size:           2
        .value_kind:     hidden_group_size_z
      - .offset:         146
        .size:           2
        .value_kind:     hidden_remainder_x
      - .offset:         148
        .size:           2
        .value_kind:     hidden_remainder_y
      - .offset:         150
        .size:           2
        .value_kind:     hidden_remainder_z
      - .offset:         168
        .size:           8
        .value_kind:     hidden_global_offset_x
      - .offset:         176
        .size:           8
        .value_kind:     hidden_global_offset_y
      - .offset:         184
        .size:           8
        .value_kind:     hidden_global_offset_z
      - .offset:         192
        .size:           2
        .value_kind:     hidden_grid_dims
    .group_segment_fixed_size: 0
    .kernarg_segment_align: 8
    .kernarg_segment_size: 384
    .language:       OpenCL C
    .language_version:
      - 2
      - 0
    .max_flat_workgroup_size: 1024
    .name:           _ZN4vllm38concat_and_cache_mla_rope_fused_kernelIN3c108BFloat16EfLb1E14__hip_bfloat16S3_LNS_18Fp8KVCacheDataTypeE0EEEvPKlPT_S8_PKS7_PKT0_illlliPT3_S6_iiiiPKf
    .private_segment_fixed_size: 0
    .sgpr_count:     55
    .sgpr_spill_count: 0
    .symbol:         _ZN4vllm38concat_and_cache_mla_rope_fused_kernelIN3c108BFloat16EfLb1E14__hip_bfloat16S3_LNS_18Fp8KVCacheDataTypeE0EEEvPKlPT_S8_PKS7_PKT0_illlliPT3_S6_iiiiPKf.kd
    .uniform_work_group_size: 1
    .uses_dynamic_stack: false
    .vgpr_count:     24
    .vgpr_spill_count: 0
    .wavefront_size: 64
  - .agpr_count:     0
    .args:
      - .actual_access:  read_only
        .address_space:  global
        .offset:         0
        .size:           8
        .value_kind:     global_buffer
      - .address_space:  global
        .offset:         8
        .size:           8
        .value_kind:     global_buffer
      - .address_space:  global
        .offset:         16
        .size:           8
        .value_kind:     global_buffer
      - .actual_access:  read_only
        .address_space:  global
        .offset:         24
        .size:           8
        .value_kind:     global_buffer
      - .actual_access:  read_only
        .address_space:  global
        .offset:         32
        .size:           8
        .value_kind:     global_buffer
      - .offset:         40
        .size:           4
        .value_kind:     by_value
      - .offset:         48
        .size:           8
        .value_kind:     by_value
      - .offset:         56
        .size:           8
        .value_kind:     by_value
      - .offset:         64
        .size:           8
        .value_kind:     by_value
      - .offset:         72
        .size:           8
        .value_kind:     by_value
      - .offset:         80
        .size:           4
        .value_kind:     by_value
      - .actual_access:  write_only
        .address_space:  global
        .offset:         88
        .size:           8
        .value_kind:     global_buffer
      - .actual_access:  read_only
        .address_space:  global
        .offset:         96
        .size:           8
        .value_kind:     global_buffer
      - .offset:         104
        .size:           4
        .value_kind:     by_value
      - .offset:         108
        .size:           4
        .value_kind:     by_value
      - .offset:         112
        .size:           4
        .value_kind:     by_value
      - .offset:         116
        .size:           4
        .value_kind:     by_value
      - .address_space:  global
        .offset:         120
        .size:           8
        .value_kind:     global_buffer
      - .offset:         128
        .size:           4
        .value_kind:     hidden_block_count_x
      - .offset:         132
        .size:           4
        .value_kind:     hidden_block_count_y
      - .offset:         136
        .size:           4
        .value_kind:     hidden_block_count_z
      - .offset:         140
        .size:           2
        .value_kind:     hidden_group_size_x
      - .offset:         142
        .size:           2
        .value_kind:     hidden_group_size_y
      - .offset:         144
        .size:           2
        .value_kind:     hidden_group_size_z
      - .offset:         146
        .size:           2
        .value_kind:     hidden_remainder_x
      - .offset:         148
        .size:           2
        .value_kind:     hidden_remainder_y
      - .offset:         150
        .size:           2
        .value_kind:     hidden_remainder_z
      - .offset:         168
        .size:           8
        .value_kind:     hidden_global_offset_x
      - .offset:         176
        .size:           8
        .value_kind:     hidden_global_offset_y
      - .offset:         184
        .size:           8
        .value_kind:     hidden_global_offset_z
      - .offset:         192
        .size:           2
        .value_kind:     hidden_grid_dims
    .group_segment_fixed_size: 0
    .kernarg_segment_align: 8
    .kernarg_segment_size: 384
    .language:       OpenCL C
    .language_version:
      - 2
      - 0
    .max_flat_workgroup_size: 1024
    .name:           _ZN4vllm38concat_and_cache_mla_rope_fused_kernelIN3c108BFloat16EfLb0E14__hip_bfloat16S3_LNS_18Fp8KVCacheDataTypeE0EEEvPKlPT_S8_PKS7_PKT0_illlliPT3_S6_iiiiPKf
    .private_segment_fixed_size: 0
    .sgpr_count:     49
    .sgpr_spill_count: 0
    .symbol:         _ZN4vllm38concat_and_cache_mla_rope_fused_kernelIN3c108BFloat16EfLb0E14__hip_bfloat16S3_LNS_18Fp8KVCacheDataTypeE0EEEvPKlPT_S8_PKS7_PKT0_illlliPT3_S6_iiiiPKf.kd
    .uniform_work_group_size: 1
    .uses_dynamic_stack: false
    .vgpr_count:     24
    .vgpr_spill_count: 0
    .wavefront_size: 64
  - .agpr_count:     0
    .args:
      - .actual_access:  read_only
        .address_space:  global
        .offset:         0
        .size:           8
        .value_kind:     global_buffer
      - .address_space:  global
        .offset:         8
        .size:           8
        .value_kind:     global_buffer
      - .address_space:  global
        .offset:         16
        .size:           8
        .value_kind:     global_buffer
      - .actual_access:  read_only
        .address_space:  global
        .offset:         24
        .size:           8
        .value_kind:     global_buffer
      - .actual_access:  read_only
        .address_space:  global
        .offset:         32
        .size:           8
        .value_kind:     global_buffer
      - .offset:         40
        .size:           4
        .value_kind:     by_value
      - .offset:         48
        .size:           8
        .value_kind:     by_value
      - .offset:         56
        .size:           8
        .value_kind:     by_value
      - .offset:         64
        .size:           8
        .value_kind:     by_value
      - .offset:         72
        .size:           8
        .value_kind:     by_value
      - .offset:         80
        .size:           4
        .value_kind:     by_value
      - .actual_access:  write_only
        .address_space:  global
        .offset:         88
        .size:           8
        .value_kind:     global_buffer
      - .actual_access:  read_only
        .address_space:  global
        .offset:         96
        .size:           8
        .value_kind:     global_buffer
      - .offset:         104
        .size:           4
        .value_kind:     by_value
      - .offset:         108
        .size:           4
        .value_kind:     by_value
      - .offset:         112
        .size:           4
        .value_kind:     by_value
      - .offset:         116
        .size:           4
        .value_kind:     by_value
      - .address_space:  global
        .offset:         120
        .size:           8
        .value_kind:     global_buffer
      - .offset:         128
        .size:           4
        .value_kind:     hidden_block_count_x
      - .offset:         132
        .size:           4
        .value_kind:     hidden_block_count_y
      - .offset:         136
        .size:           4
        .value_kind:     hidden_block_count_z
      - .offset:         140
        .size:           2
        .value_kind:     hidden_group_size_x
      - .offset:         142
        .size:           2
        .value_kind:     hidden_group_size_y
      - .offset:         144
        .size:           2
        .value_kind:     hidden_group_size_z
      - .offset:         146
        .size:           2
        .value_kind:     hidden_remainder_x
      - .offset:         148
        .size:           2
        .value_kind:     hidden_remainder_y
      - .offset:         150
        .size:           2
        .value_kind:     hidden_remainder_z
      - .offset:         168
        .size:           8
        .value_kind:     hidden_global_offset_x
      - .offset:         176
        .size:           8
        .value_kind:     hidden_global_offset_y
      - .offset:         184
        .size:           8
        .value_kind:     hidden_global_offset_z
      - .offset:         192
        .size:           2
        .value_kind:     hidden_grid_dims
    .group_segment_fixed_size: 0
    .kernarg_segment_align: 8
    .kernarg_segment_size: 384
    .language:       OpenCL C
    .language_version:
      - 2
      - 0
    .max_flat_workgroup_size: 1024
    .name:           _ZN4vllm38concat_and_cache_mla_rope_fused_kernelIN3c108BFloat16ENS1_4HalfELb1E14__hip_bfloat16S4_LNS_18Fp8KVCacheDataTypeE0EEEvPKlPT_S9_PKS8_PKT0_illlliPT3_S7_iiiiPKf
    .private_segment_fixed_size: 0
    .sgpr_count:     55
    .sgpr_spill_count: 0
    .symbol:         _ZN4vllm38concat_and_cache_mla_rope_fused_kernelIN3c108BFloat16ENS1_4HalfELb1E14__hip_bfloat16S4_LNS_18Fp8KVCacheDataTypeE0EEEvPKlPT_S9_PKS8_PKT0_illlliPT3_S7_iiiiPKf.kd
    .uniform_work_group_size: 1
    .uses_dynamic_stack: false
    .vgpr_count:     24
    .vgpr_spill_count: 0
    .wavefront_size: 64
  - .agpr_count:     0
    .args:
      - .actual_access:  read_only
        .address_space:  global
        .offset:         0
        .size:           8
        .value_kind:     global_buffer
      - .address_space:  global
        .offset:         8
        .size:           8
        .value_kind:     global_buffer
      - .address_space:  global
        .offset:         16
        .size:           8
        .value_kind:     global_buffer
      - .actual_access:  read_only
        .address_space:  global
        .offset:         24
        .size:           8
        .value_kind:     global_buffer
      - .actual_access:  read_only
        .address_space:  global
        .offset:         32
        .size:           8
        .value_kind:     global_buffer
      - .offset:         40
        .size:           4
        .value_kind:     by_value
      - .offset:         48
        .size:           8
        .value_kind:     by_value
      - .offset:         56
        .size:           8
        .value_kind:     by_value
      - .offset:         64
        .size:           8
        .value_kind:     by_value
      - .offset:         72
        .size:           8
        .value_kind:     by_value
      - .offset:         80
        .size:           4
        .value_kind:     by_value
      - .actual_access:  write_only
        .address_space:  global
        .offset:         88
        .size:           8
        .value_kind:     global_buffer
      - .actual_access:  read_only
        .address_space:  global
        .offset:         96
        .size:           8
        .value_kind:     global_buffer
      - .offset:         104
        .size:           4
        .value_kind:     by_value
      - .offset:         108
        .size:           4
        .value_kind:     by_value
      - .offset:         112
        .size:           4
        .value_kind:     by_value
      - .offset:         116
        .size:           4
        .value_kind:     by_value
      - .address_space:  global
        .offset:         120
        .size:           8
        .value_kind:     global_buffer
      - .offset:         128
        .size:           4
        .value_kind:     hidden_block_count_x
      - .offset:         132
        .size:           4
        .value_kind:     hidden_block_count_y
      - .offset:         136
        .size:           4
        .value_kind:     hidden_block_count_z
      - .offset:         140
        .size:           2
        .value_kind:     hidden_group_size_x
      - .offset:         142
        .size:           2
        .value_kind:     hidden_group_size_y
      - .offset:         144
        .size:           2
        .value_kind:     hidden_group_size_z
      - .offset:         146
        .size:           2
        .value_kind:     hidden_remainder_x
      - .offset:         148
        .size:           2
        .value_kind:     hidden_remainder_y
      - .offset:         150
        .size:           2
        .value_kind:     hidden_remainder_z
      - .offset:         168
        .size:           8
        .value_kind:     hidden_global_offset_x
      - .offset:         176
        .size:           8
        .value_kind:     hidden_global_offset_y
      - .offset:         184
        .size:           8
        .value_kind:     hidden_global_offset_z
      - .offset:         192
        .size:           2
        .value_kind:     hidden_grid_dims
    .group_segment_fixed_size: 0
    .kernarg_segment_align: 8
    .kernarg_segment_size: 384
    .language:       OpenCL C
    .language_version:
      - 2
      - 0
    .max_flat_workgroup_size: 1024
    .name:           _ZN4vllm38concat_and_cache_mla_rope_fused_kernelIN3c108BFloat16ENS1_4HalfELb0E14__hip_bfloat16S4_LNS_18Fp8KVCacheDataTypeE0EEEvPKlPT_S9_PKS8_PKT0_illlliPT3_S7_iiiiPKf
    .private_segment_fixed_size: 0
    .sgpr_count:     49
    .sgpr_spill_count: 0
    .symbol:         _ZN4vllm38concat_and_cache_mla_rope_fused_kernelIN3c108BFloat16ENS1_4HalfELb0E14__hip_bfloat16S4_LNS_18Fp8KVCacheDataTypeE0EEEvPKlPT_S9_PKS8_PKT0_illlliPT3_S7_iiiiPKf.kd
    .uniform_work_group_size: 1
    .uses_dynamic_stack: false
    .vgpr_count:     22
    .vgpr_spill_count: 0
    .wavefront_size: 64
  - .agpr_count:     0
    .args:
      - .actual_access:  read_only
        .address_space:  global
        .offset:         0
        .size:           8
        .value_kind:     global_buffer
      - .address_space:  global
        .offset:         8
        .size:           8
        .value_kind:     global_buffer
      - .address_space:  global
        .offset:         16
        .size:           8
        .value_kind:     global_buffer
      - .actual_access:  read_only
        .address_space:  global
        .offset:         24
        .size:           8
        .value_kind:     global_buffer
      - .actual_access:  read_only
        .address_space:  global
        .offset:         32
        .size:           8
        .value_kind:     global_buffer
      - .offset:         40
        .size:           4
        .value_kind:     by_value
      - .offset:         48
        .size:           8
        .value_kind:     by_value
      - .offset:         56
        .size:           8
        .value_kind:     by_value
      - .offset:         64
        .size:           8
        .value_kind:     by_value
      - .offset:         72
        .size:           8
        .value_kind:     by_value
      - .offset:         80
        .size:           4
        .value_kind:     by_value
      - .actual_access:  write_only
        .address_space:  global
        .offset:         88
        .size:           8
        .value_kind:     global_buffer
      - .actual_access:  read_only
        .address_space:  global
        .offset:         96
        .size:           8
        .value_kind:     global_buffer
      - .offset:         104
        .size:           4
        .value_kind:     by_value
      - .offset:         108
        .size:           4
        .value_kind:     by_value
      - .offset:         112
        .size:           4
        .value_kind:     by_value
      - .offset:         116
        .size:           4
        .value_kind:     by_value
      - .address_space:  global
        .offset:         120
        .size:           8
        .value_kind:     global_buffer
      - .offset:         128
        .size:           4
        .value_kind:     hidden_block_count_x
      - .offset:         132
        .size:           4
        .value_kind:     hidden_block_count_y
      - .offset:         136
        .size:           4
        .value_kind:     hidden_block_count_z
      - .offset:         140
        .size:           2
        .value_kind:     hidden_group_size_x
      - .offset:         142
        .size:           2
        .value_kind:     hidden_group_size_y
      - .offset:         144
        .size:           2
        .value_kind:     hidden_group_size_z
      - .offset:         146
        .size:           2
        .value_kind:     hidden_remainder_x
      - .offset:         148
        .size:           2
        .value_kind:     hidden_remainder_y
      - .offset:         150
        .size:           2
        .value_kind:     hidden_remainder_z
      - .offset:         168
        .size:           8
        .value_kind:     hidden_global_offset_x
      - .offset:         176
        .size:           8
        .value_kind:     hidden_global_offset_y
      - .offset:         184
        .size:           8
        .value_kind:     hidden_global_offset_z
      - .offset:         192
        .size:           2
        .value_kind:     hidden_grid_dims
    .group_segment_fixed_size: 0
    .kernarg_segment_align: 8
    .kernarg_segment_size: 384
    .language:       OpenCL C
    .language_version:
      - 2
      - 0
    .max_flat_workgroup_size: 1024
    .name:           _ZN4vllm38concat_and_cache_mla_rope_fused_kernelIN3c108BFloat16ES2_Lb1E14__hip_bfloat16S3_LNS_18Fp8KVCacheDataTypeE0EEEvPKlPT_S8_PKS7_PKT0_illlliPT3_S6_iiiiPKf
    .private_segment_fixed_size: 0
    .sgpr_count:     53
    .sgpr_spill_count: 0
    .symbol:         _ZN4vllm38concat_and_cache_mla_rope_fused_kernelIN3c108BFloat16ES2_Lb1E14__hip_bfloat16S3_LNS_18Fp8KVCacheDataTypeE0EEEvPKlPT_S8_PKS7_PKT0_illlliPT3_S6_iiiiPKf.kd
    .uniform_work_group_size: 1
    .uses_dynamic_stack: false
    .vgpr_count:     22
    .vgpr_spill_count: 0
    .wavefront_size: 64
  - .agpr_count:     0
    .args:
      - .actual_access:  read_only
        .address_space:  global
        .offset:         0
        .size:           8
        .value_kind:     global_buffer
      - .address_space:  global
        .offset:         8
        .size:           8
        .value_kind:     global_buffer
      - .address_space:  global
        .offset:         16
        .size:           8
        .value_kind:     global_buffer
      - .actual_access:  read_only
        .address_space:  global
        .offset:         24
        .size:           8
        .value_kind:     global_buffer
      - .actual_access:  read_only
        .address_space:  global
        .offset:         32
        .size:           8
        .value_kind:     global_buffer
      - .offset:         40
        .size:           4
        .value_kind:     by_value
      - .offset:         48
        .size:           8
        .value_kind:     by_value
      - .offset:         56
        .size:           8
        .value_kind:     by_value
      - .offset:         64
        .size:           8
        .value_kind:     by_value
      - .offset:         72
        .size:           8
        .value_kind:     by_value
      - .offset:         80
        .size:           4
        .value_kind:     by_value
      - .actual_access:  write_only
        .address_space:  global
        .offset:         88
        .size:           8
        .value_kind:     global_buffer
      - .actual_access:  read_only
        .address_space:  global
        .offset:         96
        .size:           8
        .value_kind:     global_buffer
      - .offset:         104
        .size:           4
        .value_kind:     by_value
      - .offset:         108
        .size:           4
        .value_kind:     by_value
      - .offset:         112
        .size:           4
        .value_kind:     by_value
      - .offset:         116
        .size:           4
        .value_kind:     by_value
      - .address_space:  global
        .offset:         120
        .size:           8
        .value_kind:     global_buffer
      - .offset:         128
        .size:           4
        .value_kind:     hidden_block_count_x
      - .offset:         132
        .size:           4
        .value_kind:     hidden_block_count_y
      - .offset:         136
        .size:           4
        .value_kind:     hidden_block_count_z
      - .offset:         140
        .size:           2
        .value_kind:     hidden_group_size_x
      - .offset:         142
        .size:           2
        .value_kind:     hidden_group_size_y
      - .offset:         144
        .size:           2
        .value_kind:     hidden_group_size_z
      - .offset:         146
        .size:           2
        .value_kind:     hidden_remainder_x
      - .offset:         148
        .size:           2
        .value_kind:     hidden_remainder_y
      - .offset:         150
        .size:           2
        .value_kind:     hidden_remainder_z
      - .offset:         168
        .size:           8
        .value_kind:     hidden_global_offset_x
      - .offset:         176
        .size:           8
        .value_kind:     hidden_global_offset_y
      - .offset:         184
        .size:           8
        .value_kind:     hidden_global_offset_z
      - .offset:         192
        .size:           2
        .value_kind:     hidden_grid_dims
    .group_segment_fixed_size: 0
    .kernarg_segment_align: 8
    .kernarg_segment_size: 384
    .language:       OpenCL C
    .language_version:
      - 2
      - 0
    .max_flat_workgroup_size: 1024
    .name:           _ZN4vllm38concat_and_cache_mla_rope_fused_kernelIN3c108BFloat16ES2_Lb0E14__hip_bfloat16S3_LNS_18Fp8KVCacheDataTypeE0EEEvPKlPT_S8_PKS7_PKT0_illlliPT3_S6_iiiiPKf
    .private_segment_fixed_size: 0
    .sgpr_count:     49
    .sgpr_spill_count: 0
    .symbol:         _ZN4vllm38concat_and_cache_mla_rope_fused_kernelIN3c108BFloat16ES2_Lb0E14__hip_bfloat16S3_LNS_18Fp8KVCacheDataTypeE0EEEvPKlPT_S8_PKS7_PKT0_illlliPT3_S6_iiiiPKf.kd
    .uniform_work_group_size: 1
    .uses_dynamic_stack: false
    .vgpr_count:     22
    .vgpr_spill_count: 0
    .wavefront_size: 64
  - .agpr_count:     0
    .args:
      - .actual_access:  read_only
        .address_space:  global
        .offset:         0
        .size:           8
        .value_kind:     global_buffer
      - .address_space:  global
        .offset:         8
        .size:           8
        .value_kind:     global_buffer
      - .address_space:  global
        .offset:         16
        .size:           8
        .value_kind:     global_buffer
      - .actual_access:  read_only
        .address_space:  global
        .offset:         24
        .size:           8
        .value_kind:     global_buffer
      - .actual_access:  read_only
        .address_space:  global
        .offset:         32
        .size:           8
        .value_kind:     global_buffer
      - .offset:         40
        .size:           4
        .value_kind:     by_value
      - .offset:         48
        .size:           8
        .value_kind:     by_value
      - .offset:         56
        .size:           8
        .value_kind:     by_value
      - .offset:         64
        .size:           8
        .value_kind:     by_value
      - .offset:         72
        .size:           8
        .value_kind:     by_value
      - .offset:         80
        .size:           4
        .value_kind:     by_value
      - .actual_access:  write_only
        .address_space:  global
        .offset:         88
        .size:           8
        .value_kind:     global_buffer
      - .actual_access:  read_only
        .address_space:  global
        .offset:         96
        .size:           8
        .value_kind:     global_buffer
      - .offset:         104
        .size:           4
        .value_kind:     by_value
      - .offset:         108
        .size:           4
        .value_kind:     by_value
      - .offset:         112
        .size:           4
        .value_kind:     by_value
      - .offset:         116
        .size:           4
        .value_kind:     by_value
      - .address_space:  global
        .offset:         120
        .size:           8
        .value_kind:     global_buffer
      - .offset:         128
        .size:           4
        .value_kind:     hidden_block_count_x
      - .offset:         132
        .size:           4
        .value_kind:     hidden_block_count_y
      - .offset:         136
        .size:           4
        .value_kind:     hidden_block_count_z
      - .offset:         140
        .size:           2
        .value_kind:     hidden_group_size_x
      - .offset:         142
        .size:           2
        .value_kind:     hidden_group_size_y
      - .offset:         144
        .size:           2
        .value_kind:     hidden_group_size_z
      - .offset:         146
        .size:           2
        .value_kind:     hidden_remainder_x
      - .offset:         148
        .size:           2
        .value_kind:     hidden_remainder_y
      - .offset:         150
        .size:           2
        .value_kind:     hidden_remainder_z
      - .offset:         168
        .size:           8
        .value_kind:     hidden_global_offset_x
      - .offset:         176
        .size:           8
        .value_kind:     hidden_global_offset_y
      - .offset:         184
        .size:           8
        .value_kind:     hidden_global_offset_z
      - .offset:         192
        .size:           2
        .value_kind:     hidden_grid_dims
    .group_segment_fixed_size: 0
    .kernarg_segment_align: 8
    .kernarg_segment_size: 384
    .language:       OpenCL C
    .language_version:
      - 2
      - 0
    .max_flat_workgroup_size: 1024
    .name:           _ZN4vllm38concat_and_cache_mla_rope_fused_kernelIffLb1EfhLNS_18Fp8KVCacheDataTypeE1EEEvPKlPT_S5_PKS4_PKT0_illlliPT3_S3_iiiiPKf
    .private_segment_fixed_size: 0
    .sgpr_count:     54
    .sgpr_spill_count: 0
    .symbol:         _ZN4vllm38concat_and_cache_mla_rope_fused_kernelIffLb1EfhLNS_18Fp8KVCacheDataTypeE1EEEvPKlPT_S5_PKS4_PKT0_illlliPT3_S3_iiiiPKf.kd
    .uniform_work_group_size: 1
    .uses_dynamic_stack: false
    .vgpr_count:     25
    .vgpr_spill_count: 0
    .wavefront_size: 64
  - .agpr_count:     0
    .args:
      - .actual_access:  read_only
        .address_space:  global
        .offset:         0
        .size:           8
        .value_kind:     global_buffer
      - .address_space:  global
        .offset:         8
        .size:           8
        .value_kind:     global_buffer
      - .address_space:  global
        .offset:         16
        .size:           8
        .value_kind:     global_buffer
      - .actual_access:  read_only
        .address_space:  global
        .offset:         24
        .size:           8
        .value_kind:     global_buffer
      - .actual_access:  read_only
        .address_space:  global
        .offset:         32
        .size:           8
        .value_kind:     global_buffer
      - .offset:         40
        .size:           4
        .value_kind:     by_value
      - .offset:         48
        .size:           8
        .value_kind:     by_value
      - .offset:         56
        .size:           8
        .value_kind:     by_value
      - .offset:         64
        .size:           8
        .value_kind:     by_value
      - .offset:         72
        .size:           8
        .value_kind:     by_value
      - .offset:         80
        .size:           4
        .value_kind:     by_value
      - .actual_access:  write_only
        .address_space:  global
        .offset:         88
        .size:           8
        .value_kind:     global_buffer
      - .actual_access:  read_only
        .address_space:  global
        .offset:         96
        .size:           8
        .value_kind:     global_buffer
      - .offset:         104
        .size:           4
        .value_kind:     by_value
      - .offset:         108
        .size:           4
        .value_kind:     by_value
      - .offset:         112
        .size:           4
        .value_kind:     by_value
      - .offset:         116
        .size:           4
        .value_kind:     by_value
      - .address_space:  global
        .offset:         120
        .size:           8
        .value_kind:     global_buffer
      - .offset:         128
        .size:           4
        .value_kind:     hidden_block_count_x
      - .offset:         132
        .size:           4
        .value_kind:     hidden_block_count_y
      - .offset:         136
        .size:           4
        .value_kind:     hidden_block_count_z
      - .offset:         140
        .size:           2
        .value_kind:     hidden_group_size_x
      - .offset:         142
        .size:           2
        .value_kind:     hidden_group_size_y
      - .offset:         144
        .size:           2
        .value_kind:     hidden_group_size_z
      - .offset:         146
        .size:           2
        .value_kind:     hidden_remainder_x
      - .offset:         148
        .size:           2
        .value_kind:     hidden_remainder_y
      - .offset:         150
        .size:           2
        .value_kind:     hidden_remainder_z
      - .offset:         168
        .size:           8
        .value_kind:     hidden_global_offset_x
      - .offset:         176
        .size:           8
        .value_kind:     hidden_global_offset_y
      - .offset:         184
        .size:           8
        .value_kind:     hidden_global_offset_z
      - .offset:         192
        .size:           2
        .value_kind:     hidden_grid_dims
    .group_segment_fixed_size: 0
    .kernarg_segment_align: 8
    .kernarg_segment_size: 384
    .language:       OpenCL C
    .language_version:
      - 2
      - 0
    .max_flat_workgroup_size: 1024
    .name:           _ZN4vllm38concat_and_cache_mla_rope_fused_kernelIffLb0EfhLNS_18Fp8KVCacheDataTypeE1EEEvPKlPT_S5_PKS4_PKT0_illlliPT3_S3_iiiiPKf
    .private_segment_fixed_size: 0
    .sgpr_count:     50
    .sgpr_spill_count: 0
    .symbol:         _ZN4vllm38concat_and_cache_mla_rope_fused_kernelIffLb0EfhLNS_18Fp8KVCacheDataTypeE1EEEvPKlPT_S5_PKS4_PKT0_illlliPT3_S3_iiiiPKf.kd
    .uniform_work_group_size: 1
    .uses_dynamic_stack: false
    .vgpr_count:     23
    .vgpr_spill_count: 0
    .wavefront_size: 64
  - .agpr_count:     0
    .args:
      - .actual_access:  read_only
        .address_space:  global
        .offset:         0
        .size:           8
        .value_kind:     global_buffer
      - .address_space:  global
        .offset:         8
        .size:           8
        .value_kind:     global_buffer
      - .address_space:  global
        .offset:         16
        .size:           8
        .value_kind:     global_buffer
      - .actual_access:  read_only
        .address_space:  global
        .offset:         24
        .size:           8
        .value_kind:     global_buffer
      - .actual_access:  read_only
        .address_space:  global
        .offset:         32
        .size:           8
        .value_kind:     global_buffer
      - .offset:         40
        .size:           4
        .value_kind:     by_value
      - .offset:         48
        .size:           8
        .value_kind:     by_value
      - .offset:         56
        .size:           8
        .value_kind:     by_value
      - .offset:         64
        .size:           8
        .value_kind:     by_value
      - .offset:         72
        .size:           8
        .value_kind:     by_value
      - .offset:         80
        .size:           4
        .value_kind:     by_value
      - .actual_access:  write_only
        .address_space:  global
        .offset:         88
        .size:           8
        .value_kind:     global_buffer
      - .actual_access:  read_only
        .address_space:  global
        .offset:         96
        .size:           8
        .value_kind:     global_buffer
      - .offset:         104
        .size:           4
        .value_kind:     by_value
      - .offset:         108
        .size:           4
        .value_kind:     by_value
      - .offset:         112
        .size:           4
        .value_kind:     by_value
      - .offset:         116
        .size:           4
        .value_kind:     by_value
      - .address_space:  global
        .offset:         120
        .size:           8
        .value_kind:     global_buffer
      - .offset:         128
        .size:           4
        .value_kind:     hidden_block_count_x
      - .offset:         132
        .size:           4
        .value_kind:     hidden_block_count_y
      - .offset:         136
        .size:           4
        .value_kind:     hidden_block_count_z
      - .offset:         140
        .size:           2
        .value_kind:     hidden_group_size_x
      - .offset:         142
        .size:           2
        .value_kind:     hidden_group_size_y
      - .offset:         144
        .size:           2
        .value_kind:     hidden_group_size_z
      - .offset:         146
        .size:           2
        .value_kind:     hidden_remainder_x
      - .offset:         148
        .size:           2
        .value_kind:     hidden_remainder_y
      - .offset:         150
        .size:           2
        .value_kind:     hidden_remainder_z
      - .offset:         168
        .size:           8
        .value_kind:     hidden_global_offset_x
      - .offset:         176
        .size:           8
        .value_kind:     hidden_global_offset_y
      - .offset:         184
        .size:           8
        .value_kind:     hidden_global_offset_z
      - .offset:         192
        .size:           2
        .value_kind:     hidden_grid_dims
    .group_segment_fixed_size: 0
    .kernarg_segment_align: 8
    .kernarg_segment_size: 384
    .language:       OpenCL C
    .language_version:
      - 2
      - 0
    .max_flat_workgroup_size: 1024
    .name:           _ZN4vllm38concat_and_cache_mla_rope_fused_kernelIfN3c104HalfELb1EfhLNS_18Fp8KVCacheDataTypeE1EEEvPKlPT_S7_PKS6_PKT0_illlliPT3_S5_iiiiPKf
    .private_segment_fixed_size: 0
    .sgpr_count:     56
    .sgpr_spill_count: 0
    .symbol:         _ZN4vllm38concat_and_cache_mla_rope_fused_kernelIfN3c104HalfELb1EfhLNS_18Fp8KVCacheDataTypeE1EEEvPKlPT_S7_PKS6_PKT0_illlliPT3_S5_iiiiPKf.kd
    .uniform_work_group_size: 1
    .uses_dynamic_stack: false
    .vgpr_count:     27
    .vgpr_spill_count: 0
    .wavefront_size: 64
  - .agpr_count:     0
    .args:
      - .actual_access:  read_only
        .address_space:  global
        .offset:         0
        .size:           8
        .value_kind:     global_buffer
      - .address_space:  global
        .offset:         8
        .size:           8
        .value_kind:     global_buffer
      - .address_space:  global
        .offset:         16
        .size:           8
        .value_kind:     global_buffer
      - .actual_access:  read_only
        .address_space:  global
        .offset:         24
        .size:           8
        .value_kind:     global_buffer
      - .actual_access:  read_only
        .address_space:  global
        .offset:         32
        .size:           8
        .value_kind:     global_buffer
      - .offset:         40
        .size:           4
        .value_kind:     by_value
      - .offset:         48
        .size:           8
        .value_kind:     by_value
      - .offset:         56
        .size:           8
        .value_kind:     by_value
      - .offset:         64
        .size:           8
        .value_kind:     by_value
      - .offset:         72
        .size:           8
        .value_kind:     by_value
      - .offset:         80
        .size:           4
        .value_kind:     by_value
      - .actual_access:  write_only
        .address_space:  global
        .offset:         88
        .size:           8
        .value_kind:     global_buffer
      - .actual_access:  read_only
        .address_space:  global
        .offset:         96
        .size:           8
        .value_kind:     global_buffer
      - .offset:         104
        .size:           4
        .value_kind:     by_value
      - .offset:         108
        .size:           4
        .value_kind:     by_value
      - .offset:         112
        .size:           4
        .value_kind:     by_value
      - .offset:         116
        .size:           4
        .value_kind:     by_value
      - .address_space:  global
        .offset:         120
        .size:           8
        .value_kind:     global_buffer
      - .offset:         128
        .size:           4
        .value_kind:     hidden_block_count_x
      - .offset:         132
        .size:           4
        .value_kind:     hidden_block_count_y
      - .offset:         136
        .size:           4
        .value_kind:     hidden_block_count_z
      - .offset:         140
        .size:           2
        .value_kind:     hidden_group_size_x
      - .offset:         142
        .size:           2
        .value_kind:     hidden_group_size_y
      - .offset:         144
        .size:           2
        .value_kind:     hidden_group_size_z
      - .offset:         146
        .size:           2
        .value_kind:     hidden_remainder_x
      - .offset:         148
        .size:           2
        .value_kind:     hidden_remainder_y
      - .offset:         150
        .size:           2
        .value_kind:     hidden_remainder_z
      - .offset:         168
        .size:           8
        .value_kind:     hidden_global_offset_x
      - .offset:         176
        .size:           8
        .value_kind:     hidden_global_offset_y
      - .offset:         184
        .size:           8
        .value_kind:     hidden_global_offset_z
      - .offset:         192
        .size:           2
        .value_kind:     hidden_grid_dims
    .group_segment_fixed_size: 0
    .kernarg_segment_align: 8
    .kernarg_segment_size: 384
    .language:       OpenCL C
    .language_version:
      - 2
      - 0
    .max_flat_workgroup_size: 1024
    .name:           _ZN4vllm38concat_and_cache_mla_rope_fused_kernelIfN3c104HalfELb0EfhLNS_18Fp8KVCacheDataTypeE1EEEvPKlPT_S7_PKS6_PKT0_illlliPT3_S5_iiiiPKf
    .private_segment_fixed_size: 0
    .sgpr_count:     49
    .sgpr_spill_count: 0
    .symbol:         _ZN4vllm38concat_and_cache_mla_rope_fused_kernelIfN3c104HalfELb0EfhLNS_18Fp8KVCacheDataTypeE1EEEvPKlPT_S7_PKS6_PKT0_illlliPT3_S5_iiiiPKf.kd
    .uniform_work_group_size: 1
    .uses_dynamic_stack: false
    .vgpr_count:     27
    .vgpr_spill_count: 0
    .wavefront_size: 64
  - .agpr_count:     0
    .args:
      - .actual_access:  read_only
        .address_space:  global
        .offset:         0
        .size:           8
        .value_kind:     global_buffer
      - .address_space:  global
        .offset:         8
        .size:           8
        .value_kind:     global_buffer
      - .address_space:  global
        .offset:         16
        .size:           8
        .value_kind:     global_buffer
      - .actual_access:  read_only
        .address_space:  global
        .offset:         24
        .size:           8
        .value_kind:     global_buffer
      - .actual_access:  read_only
        .address_space:  global
        .offset:         32
        .size:           8
        .value_kind:     global_buffer
      - .offset:         40
        .size:           4
        .value_kind:     by_value
      - .offset:         48
        .size:           8
        .value_kind:     by_value
      - .offset:         56
        .size:           8
        .value_kind:     by_value
      - .offset:         64
        .size:           8
        .value_kind:     by_value
      - .offset:         72
        .size:           8
        .value_kind:     by_value
      - .offset:         80
        .size:           4
        .value_kind:     by_value
      - .actual_access:  write_only
        .address_space:  global
        .offset:         88
        .size:           8
        .value_kind:     global_buffer
      - .actual_access:  read_only
        .address_space:  global
        .offset:         96
        .size:           8
        .value_kind:     global_buffer
      - .offset:         104
        .size:           4
        .value_kind:     by_value
      - .offset:         108
        .size:           4
        .value_kind:     by_value
      - .offset:         112
        .size:           4
        .value_kind:     by_value
      - .offset:         116
        .size:           4
        .value_kind:     by_value
      - .address_space:  global
        .offset:         120
        .size:           8
        .value_kind:     global_buffer
      - .offset:         128
        .size:           4
        .value_kind:     hidden_block_count_x
      - .offset:         132
        .size:           4
        .value_kind:     hidden_block_count_y
      - .offset:         136
        .size:           4
        .value_kind:     hidden_block_count_z
      - .offset:         140
        .size:           2
        .value_kind:     hidden_group_size_x
      - .offset:         142
        .size:           2
        .value_kind:     hidden_group_size_y
      - .offset:         144
        .size:           2
        .value_kind:     hidden_group_size_z
      - .offset:         146
        .size:           2
        .value_kind:     hidden_remainder_x
      - .offset:         148
        .size:           2
        .value_kind:     hidden_remainder_y
      - .offset:         150
        .size:           2
        .value_kind:     hidden_remainder_z
      - .offset:         168
        .size:           8
        .value_kind:     hidden_global_offset_x
      - .offset:         176
        .size:           8
        .value_kind:     hidden_global_offset_y
      - .offset:         184
        .size:           8
        .value_kind:     hidden_global_offset_z
      - .offset:         192
        .size:           2
        .value_kind:     hidden_grid_dims
    .group_segment_fixed_size: 0
    .kernarg_segment_align: 8
    .kernarg_segment_size: 384
    .language:       OpenCL C
    .language_version:
      - 2
      - 0
    .max_flat_workgroup_size: 1024
    .name:           _ZN4vllm38concat_and_cache_mla_rope_fused_kernelIfN3c108BFloat16ELb1EfhLNS_18Fp8KVCacheDataTypeE1EEEvPKlPT_S7_PKS6_PKT0_illlliPT3_S5_iiiiPKf
    .private_segment_fixed_size: 0
    .sgpr_count:     54
    .sgpr_spill_count: 0
    .symbol:         _ZN4vllm38concat_and_cache_mla_rope_fused_kernelIfN3c108BFloat16ELb1EfhLNS_18Fp8KVCacheDataTypeE1EEEvPKlPT_S7_PKS6_PKT0_illlliPT3_S5_iiiiPKf.kd
    .uniform_work_group_size: 1
    .uses_dynamic_stack: false
    .vgpr_count:     27
    .vgpr_spill_count: 0
    .wavefront_size: 64
  - .agpr_count:     0
    .args:
      - .actual_access:  read_only
        .address_space:  global
        .offset:         0
        .size:           8
        .value_kind:     global_buffer
      - .address_space:  global
        .offset:         8
        .size:           8
        .value_kind:     global_buffer
      - .address_space:  global
        .offset:         16
        .size:           8
        .value_kind:     global_buffer
      - .actual_access:  read_only
        .address_space:  global
        .offset:         24
        .size:           8
        .value_kind:     global_buffer
      - .actual_access:  read_only
        .address_space:  global
        .offset:         32
        .size:           8
        .value_kind:     global_buffer
      - .offset:         40
        .size:           4
        .value_kind:     by_value
      - .offset:         48
        .size:           8
        .value_kind:     by_value
      - .offset:         56
        .size:           8
        .value_kind:     by_value
      - .offset:         64
        .size:           8
        .value_kind:     by_value
      - .offset:         72
        .size:           8
        .value_kind:     by_value
      - .offset:         80
        .size:           4
        .value_kind:     by_value
      - .actual_access:  write_only
        .address_space:  global
        .offset:         88
        .size:           8
        .value_kind:     global_buffer
      - .actual_access:  read_only
        .address_space:  global
        .offset:         96
        .size:           8
        .value_kind:     global_buffer
      - .offset:         104
        .size:           4
        .value_kind:     by_value
      - .offset:         108
        .size:           4
        .value_kind:     by_value
      - .offset:         112
        .size:           4
        .value_kind:     by_value
      - .offset:         116
        .size:           4
        .value_kind:     by_value
      - .address_space:  global
        .offset:         120
        .size:           8
        .value_kind:     global_buffer
      - .offset:         128
        .size:           4
        .value_kind:     hidden_block_count_x
      - .offset:         132
        .size:           4
        .value_kind:     hidden_block_count_y
      - .offset:         136
        .size:           4
        .value_kind:     hidden_block_count_z
      - .offset:         140
        .size:           2
        .value_kind:     hidden_group_size_x
      - .offset:         142
        .size:           2
        .value_kind:     hidden_group_size_y
      - .offset:         144
        .size:           2
        .value_kind:     hidden_group_size_z
      - .offset:         146
        .size:           2
        .value_kind:     hidden_remainder_x
      - .offset:         148
        .size:           2
        .value_kind:     hidden_remainder_y
      - .offset:         150
        .size:           2
        .value_kind:     hidden_remainder_z
      - .offset:         168
        .size:           8
        .value_kind:     hidden_global_offset_x
      - .offset:         176
        .size:           8
        .value_kind:     hidden_global_offset_y
      - .offset:         184
        .size:           8
        .value_kind:     hidden_global_offset_z
      - .offset:         192
        .size:           2
        .value_kind:     hidden_grid_dims
    .group_segment_fixed_size: 0
    .kernarg_segment_align: 8
    .kernarg_segment_size: 384
    .language:       OpenCL C
    .language_version:
      - 2
      - 0
    .max_flat_workgroup_size: 1024
    .name:           _ZN4vllm38concat_and_cache_mla_rope_fused_kernelIfN3c108BFloat16ELb0EfhLNS_18Fp8KVCacheDataTypeE1EEEvPKlPT_S7_PKS6_PKT0_illlliPT3_S5_iiiiPKf
    .private_segment_fixed_size: 0
    .sgpr_count:     49
    .sgpr_spill_count: 0
    .symbol:         _ZN4vllm38concat_and_cache_mla_rope_fused_kernelIfN3c108BFloat16ELb0EfhLNS_18Fp8KVCacheDataTypeE1EEEvPKlPT_S7_PKS6_PKT0_illlliPT3_S5_iiiiPKf.kd
    .uniform_work_group_size: 1
    .uses_dynamic_stack: false
    .vgpr_count:     22
    .vgpr_spill_count: 0
    .wavefront_size: 64
  - .agpr_count:     0
    .args:
      - .actual_access:  read_only
        .address_space:  global
        .offset:         0
        .size:           8
        .value_kind:     global_buffer
      - .address_space:  global
        .offset:         8
        .size:           8
        .value_kind:     global_buffer
      - .address_space:  global
        .offset:         16
        .size:           8
        .value_kind:     global_buffer
      - .actual_access:  read_only
        .address_space:  global
        .offset:         24
        .size:           8
        .value_kind:     global_buffer
      - .actual_access:  read_only
        .address_space:  global
        .offset:         32
        .size:           8
        .value_kind:     global_buffer
      - .offset:         40
        .size:           4
        .value_kind:     by_value
      - .offset:         48
        .size:           8
        .value_kind:     by_value
      - .offset:         56
        .size:           8
        .value_kind:     by_value
      - .offset:         64
        .size:           8
        .value_kind:     by_value
      - .offset:         72
        .size:           8
        .value_kind:     by_value
      - .offset:         80
        .size:           4
        .value_kind:     by_value
      - .actual_access:  write_only
        .address_space:  global
        .offset:         88
        .size:           8
        .value_kind:     global_buffer
      - .actual_access:  read_only
        .address_space:  global
        .offset:         96
        .size:           8
        .value_kind:     global_buffer
      - .offset:         104
        .size:           4
        .value_kind:     by_value
      - .offset:         108
        .size:           4
        .value_kind:     by_value
      - .offset:         112
        .size:           4
        .value_kind:     by_value
      - .offset:         116
        .size:           4
        .value_kind:     by_value
      - .address_space:  global
        .offset:         120
        .size:           8
        .value_kind:     global_buffer
      - .offset:         128
        .size:           4
        .value_kind:     hidden_block_count_x
      - .offset:         132
        .size:           4
        .value_kind:     hidden_block_count_y
      - .offset:         136
        .size:           4
        .value_kind:     hidden_block_count_z
      - .offset:         140
        .size:           2
        .value_kind:     hidden_group_size_x
      - .offset:         142
        .size:           2
        .value_kind:     hidden_group_size_y
      - .offset:         144
        .size:           2
        .value_kind:     hidden_group_size_z
      - .offset:         146
        .size:           2
        .value_kind:     hidden_remainder_x
      - .offset:         148
        .size:           2
        .value_kind:     hidden_remainder_y
      - .offset:         150
        .size:           2
        .value_kind:     hidden_remainder_z
      - .offset:         168
        .size:           8
        .value_kind:     hidden_global_offset_x
      - .offset:         176
        .size:           8
        .value_kind:     hidden_global_offset_y
      - .offset:         184
        .size:           8
        .value_kind:     hidden_global_offset_z
      - .offset:         192
        .size:           2
        .value_kind:     hidden_grid_dims
    .group_segment_fixed_size: 4096
    .kernarg_segment_align: 8
    .kernarg_segment_size: 384
    .language:       OpenCL C
    .language_version:
      - 2
      - 0
    .max_flat_workgroup_size: 1024
    .name:           _ZN4vllm38concat_and_cache_mla_rope_fused_kernelIN3c104HalfEfLb1EfhLNS_18Fp8KVCacheDataTypeE1EEEvPKlPT_S7_PKS6_PKT0_illlliPT3_S5_iiiiPKf
    .private_segment_fixed_size: 0
    .sgpr_count:     56
    .sgpr_spill_count: 0
    .symbol:         _ZN4vllm38concat_and_cache_mla_rope_fused_kernelIN3c104HalfEfLb1EfhLNS_18Fp8KVCacheDataTypeE1EEEvPKlPT_S7_PKS6_PKT0_illlliPT3_S5_iiiiPKf.kd
    .uniform_work_group_size: 1
    .uses_dynamic_stack: false
    .vgpr_count:     30
    .vgpr_spill_count: 0
    .wavefront_size: 64
  - .agpr_count:     0
    .args:
      - .actual_access:  read_only
        .address_space:  global
        .offset:         0
        .size:           8
        .value_kind:     global_buffer
      - .address_space:  global
        .offset:         8
        .size:           8
        .value_kind:     global_buffer
      - .address_space:  global
        .offset:         16
        .size:           8
        .value_kind:     global_buffer
      - .actual_access:  read_only
        .address_space:  global
        .offset:         24
        .size:           8
        .value_kind:     global_buffer
      - .actual_access:  read_only
        .address_space:  global
        .offset:         32
        .size:           8
        .value_kind:     global_buffer
      - .offset:         40
        .size:           4
        .value_kind:     by_value
      - .offset:         48
        .size:           8
        .value_kind:     by_value
      - .offset:         56
        .size:           8
        .value_kind:     by_value
      - .offset:         64
        .size:           8
        .value_kind:     by_value
      - .offset:         72
        .size:           8
        .value_kind:     by_value
      - .offset:         80
        .size:           4
        .value_kind:     by_value
      - .actual_access:  write_only
        .address_space:  global
        .offset:         88
        .size:           8
        .value_kind:     global_buffer
      - .actual_access:  read_only
        .address_space:  global
        .offset:         96
        .size:           8
        .value_kind:     global_buffer
      - .offset:         104
        .size:           4
        .value_kind:     by_value
      - .offset:         108
        .size:           4
        .value_kind:     by_value
      - .offset:         112
        .size:           4
        .value_kind:     by_value
      - .offset:         116
        .size:           4
        .value_kind:     by_value
      - .address_space:  global
        .offset:         120
        .size:           8
        .value_kind:     global_buffer
      - .offset:         128
        .size:           4
        .value_kind:     hidden_block_count_x
      - .offset:         132
        .size:           4
        .value_kind:     hidden_block_count_y
      - .offset:         136
        .size:           4
        .value_kind:     hidden_block_count_z
      - .offset:         140
        .size:           2
        .value_kind:     hidden_group_size_x
      - .offset:         142
        .size:           2
        .value_kind:     hidden_group_size_y
      - .offset:         144
        .size:           2
        .value_kind:     hidden_group_size_z
      - .offset:         146
        .size:           2
        .value_kind:     hidden_remainder_x
      - .offset:         148
        .size:           2
        .value_kind:     hidden_remainder_y
      - .offset:         150
        .size:           2
        .value_kind:     hidden_remainder_z
      - .offset:         168
        .size:           8
        .value_kind:     hidden_global_offset_x
      - .offset:         176
        .size:           8
        .value_kind:     hidden_global_offset_y
      - .offset:         184
        .size:           8
        .value_kind:     hidden_global_offset_z
      - .offset:         192
        .size:           2
        .value_kind:     hidden_grid_dims
    .group_segment_fixed_size: 4096
    .kernarg_segment_align: 8
    .kernarg_segment_size: 384
    .language:       OpenCL C
    .language_version:
      - 2
      - 0
    .max_flat_workgroup_size: 1024
    .name:           _ZN4vllm38concat_and_cache_mla_rope_fused_kernelIN3c104HalfEfLb0EfhLNS_18Fp8KVCacheDataTypeE1EEEvPKlPT_S7_PKS6_PKT0_illlliPT3_S5_iiiiPKf
    .private_segment_fixed_size: 0
    .sgpr_count:     51
    .sgpr_spill_count: 0
    .symbol:         _ZN4vllm38concat_and_cache_mla_rope_fused_kernelIN3c104HalfEfLb0EfhLNS_18Fp8KVCacheDataTypeE1EEEvPKlPT_S7_PKS6_PKT0_illlliPT3_S5_iiiiPKf.kd
    .uniform_work_group_size: 1
    .uses_dynamic_stack: false
    .vgpr_count:     30
    .vgpr_spill_count: 0
    .wavefront_size: 64
  - .agpr_count:     0
    .args:
      - .actual_access:  read_only
        .address_space:  global
        .offset:         0
        .size:           8
        .value_kind:     global_buffer
      - .address_space:  global
        .offset:         8
        .size:           8
        .value_kind:     global_buffer
      - .address_space:  global
        .offset:         16
        .size:           8
        .value_kind:     global_buffer
      - .actual_access:  read_only
        .address_space:  global
        .offset:         24
        .size:           8
        .value_kind:     global_buffer
      - .actual_access:  read_only
        .address_space:  global
        .offset:         32
        .size:           8
        .value_kind:     global_buffer
      - .offset:         40
        .size:           4
        .value_kind:     by_value
      - .offset:         48
        .size:           8
        .value_kind:     by_value
      - .offset:         56
        .size:           8
        .value_kind:     by_value
      - .offset:         64
        .size:           8
        .value_kind:     by_value
      - .offset:         72
        .size:           8
        .value_kind:     by_value
      - .offset:         80
        .size:           4
        .value_kind:     by_value
      - .actual_access:  write_only
        .address_space:  global
        .offset:         88
        .size:           8
        .value_kind:     global_buffer
      - .actual_access:  read_only
        .address_space:  global
        .offset:         96
        .size:           8
        .value_kind:     global_buffer
      - .offset:         104
        .size:           4
        .value_kind:     by_value
      - .offset:         108
        .size:           4
        .value_kind:     by_value
      - .offset:         112
        .size:           4
        .value_kind:     by_value
      - .offset:         116
        .size:           4
        .value_kind:     by_value
      - .address_space:  global
        .offset:         120
        .size:           8
        .value_kind:     global_buffer
      - .offset:         128
        .size:           4
        .value_kind:     hidden_block_count_x
      - .offset:         132
        .size:           4
        .value_kind:     hidden_block_count_y
      - .offset:         136
        .size:           4
        .value_kind:     hidden_block_count_z
      - .offset:         140
        .size:           2
        .value_kind:     hidden_group_size_x
      - .offset:         142
        .size:           2
        .value_kind:     hidden_group_size_y
      - .offset:         144
        .size:           2
        .value_kind:     hidden_group_size_z
      - .offset:         146
        .size:           2
        .value_kind:     hidden_remainder_x
      - .offset:         148
        .size:           2
        .value_kind:     hidden_remainder_y
      - .offset:         150
        .size:           2
        .value_kind:     hidden_remainder_z
      - .offset:         168
        .size:           8
        .value_kind:     hidden_global_offset_x
      - .offset:         176
        .size:           8
        .value_kind:     hidden_global_offset_y
      - .offset:         184
        .size:           8
        .value_kind:     hidden_global_offset_z
      - .offset:         192
        .size:           2
        .value_kind:     hidden_grid_dims
    .group_segment_fixed_size: 4096
    .kernarg_segment_align: 8
    .kernarg_segment_size: 384
    .language:       OpenCL C
    .language_version:
      - 2
      - 0
    .max_flat_workgroup_size: 1024
    .name:           _ZN4vllm38concat_and_cache_mla_rope_fused_kernelIN3c104HalfES2_Lb1EfhLNS_18Fp8KVCacheDataTypeE1EEEvPKlPT_S7_PKS6_PKT0_illlliPT3_S5_iiiiPKf
    .private_segment_fixed_size: 0
    .sgpr_count:     54
    .sgpr_spill_count: 0
    .symbol:         _ZN4vllm38concat_and_cache_mla_rope_fused_kernelIN3c104HalfES2_Lb1EfhLNS_18Fp8KVCacheDataTypeE1EEEvPKlPT_S7_PKS6_PKT0_illlliPT3_S5_iiiiPKf.kd
    .uniform_work_group_size: 1
    .uses_dynamic_stack: false
    .vgpr_count:     28
    .vgpr_spill_count: 0
    .wavefront_size: 64
  - .agpr_count:     0
    .args:
      - .actual_access:  read_only
        .address_space:  global
        .offset:         0
        .size:           8
        .value_kind:     global_buffer
      - .address_space:  global
        .offset:         8
        .size:           8
        .value_kind:     global_buffer
      - .address_space:  global
        .offset:         16
        .size:           8
        .value_kind:     global_buffer
      - .actual_access:  read_only
        .address_space:  global
        .offset:         24
        .size:           8
        .value_kind:     global_buffer
      - .actual_access:  read_only
        .address_space:  global
        .offset:         32
        .size:           8
        .value_kind:     global_buffer
      - .offset:         40
        .size:           4
        .value_kind:     by_value
      - .offset:         48
        .size:           8
        .value_kind:     by_value
      - .offset:         56
        .size:           8
        .value_kind:     by_value
      - .offset:         64
        .size:           8
        .value_kind:     by_value
      - .offset:         72
        .size:           8
        .value_kind:     by_value
      - .offset:         80
        .size:           4
        .value_kind:     by_value
      - .actual_access:  write_only
        .address_space:  global
        .offset:         88
        .size:           8
        .value_kind:     global_buffer
      - .actual_access:  read_only
        .address_space:  global
        .offset:         96
        .size:           8
        .value_kind:     global_buffer
      - .offset:         104
        .size:           4
        .value_kind:     by_value
      - .offset:         108
        .size:           4
        .value_kind:     by_value
      - .offset:         112
        .size:           4
        .value_kind:     by_value
      - .offset:         116
        .size:           4
        .value_kind:     by_value
      - .address_space:  global
        .offset:         120
        .size:           8
        .value_kind:     global_buffer
      - .offset:         128
        .size:           4
        .value_kind:     hidden_block_count_x
      - .offset:         132
        .size:           4
        .value_kind:     hidden_block_count_y
      - .offset:         136
        .size:           4
        .value_kind:     hidden_block_count_z
      - .offset:         140
        .size:           2
        .value_kind:     hidden_group_size_x
      - .offset:         142
        .size:           2
        .value_kind:     hidden_group_size_y
      - .offset:         144
        .size:           2
        .value_kind:     hidden_group_size_z
      - .offset:         146
        .size:           2
        .value_kind:     hidden_remainder_x
      - .offset:         148
        .size:           2
        .value_kind:     hidden_remainder_y
      - .offset:         150
        .size:           2
        .value_kind:     hidden_remainder_z
      - .offset:         168
        .size:           8
        .value_kind:     hidden_global_offset_x
      - .offset:         176
        .size:           8
        .value_kind:     hidden_global_offset_y
      - .offset:         184
        .size:           8
        .value_kind:     hidden_global_offset_z
      - .offset:         192
        .size:           2
        .value_kind:     hidden_grid_dims
    .group_segment_fixed_size: 4096
    .kernarg_segment_align: 8
    .kernarg_segment_size: 384
    .language:       OpenCL C
    .language_version:
      - 2
      - 0
    .max_flat_workgroup_size: 1024
    .name:           _ZN4vllm38concat_and_cache_mla_rope_fused_kernelIN3c104HalfES2_Lb0EfhLNS_18Fp8KVCacheDataTypeE1EEEvPKlPT_S7_PKS6_PKT0_illlliPT3_S5_iiiiPKf
    .private_segment_fixed_size: 0
    .sgpr_count:     51
    .sgpr_spill_count: 0
    .symbol:         _ZN4vllm38concat_and_cache_mla_rope_fused_kernelIN3c104HalfES2_Lb0EfhLNS_18Fp8KVCacheDataTypeE1EEEvPKlPT_S7_PKS6_PKT0_illlliPT3_S5_iiiiPKf.kd
    .uniform_work_group_size: 1
    .uses_dynamic_stack: false
    .vgpr_count:     30
    .vgpr_spill_count: 0
    .wavefront_size: 64
  - .agpr_count:     0
    .args:
      - .actual_access:  read_only
        .address_space:  global
        .offset:         0
        .size:           8
        .value_kind:     global_buffer
      - .address_space:  global
        .offset:         8
        .size:           8
        .value_kind:     global_buffer
      - .address_space:  global
        .offset:         16
        .size:           8
        .value_kind:     global_buffer
      - .actual_access:  read_only
        .address_space:  global
        .offset:         24
        .size:           8
        .value_kind:     global_buffer
      - .actual_access:  read_only
        .address_space:  global
        .offset:         32
        .size:           8
        .value_kind:     global_buffer
      - .offset:         40
        .size:           4
        .value_kind:     by_value
      - .offset:         48
        .size:           8
        .value_kind:     by_value
      - .offset:         56
        .size:           8
        .value_kind:     by_value
      - .offset:         64
        .size:           8
        .value_kind:     by_value
      - .offset:         72
        .size:           8
        .value_kind:     by_value
      - .offset:         80
        .size:           4
        .value_kind:     by_value
      - .actual_access:  write_only
        .address_space:  global
        .offset:         88
        .size:           8
        .value_kind:     global_buffer
      - .actual_access:  read_only
        .address_space:  global
        .offset:         96
        .size:           8
        .value_kind:     global_buffer
      - .offset:         104
        .size:           4
        .value_kind:     by_value
      - .offset:         108
        .size:           4
        .value_kind:     by_value
      - .offset:         112
        .size:           4
        .value_kind:     by_value
      - .offset:         116
        .size:           4
        .value_kind:     by_value
      - .address_space:  global
        .offset:         120
        .size:           8
        .value_kind:     global_buffer
      - .offset:         128
        .size:           4
        .value_kind:     hidden_block_count_x
      - .offset:         132
        .size:           4
        .value_kind:     hidden_block_count_y
      - .offset:         136
        .size:           4
        .value_kind:     hidden_block_count_z
      - .offset:         140
        .size:           2
        .value_kind:     hidden_group_size_x
      - .offset:         142
        .size:           2
        .value_kind:     hidden_group_size_y
      - .offset:         144
        .size:           2
        .value_kind:     hidden_group_size_z
      - .offset:         146
        .size:           2
        .value_kind:     hidden_remainder_x
      - .offset:         148
        .size:           2
        .value_kind:     hidden_remainder_y
      - .offset:         150
        .size:           2
        .value_kind:     hidden_remainder_z
      - .offset:         168
        .size:           8
        .value_kind:     hidden_global_offset_x
      - .offset:         176
        .size:           8
        .value_kind:     hidden_global_offset_y
      - .offset:         184
        .size:           8
        .value_kind:     hidden_global_offset_z
      - .offset:         192
        .size:           2
        .value_kind:     hidden_grid_dims
    .group_segment_fixed_size: 4096
    .kernarg_segment_align: 8
    .kernarg_segment_size: 384
    .language:       OpenCL C
    .language_version:
      - 2
      - 0
    .max_flat_workgroup_size: 1024
    .name:           _ZN4vllm38concat_and_cache_mla_rope_fused_kernelIN3c104HalfENS1_8BFloat16ELb1EfhLNS_18Fp8KVCacheDataTypeE1EEEvPKlPT_S8_PKS7_PKT0_illlliPT3_S6_iiiiPKf
    .private_segment_fixed_size: 0
    .sgpr_count:     54
    .sgpr_spill_count: 0
    .symbol:         _ZN4vllm38concat_and_cache_mla_rope_fused_kernelIN3c104HalfENS1_8BFloat16ELb1EfhLNS_18Fp8KVCacheDataTypeE1EEEvPKlPT_S8_PKS7_PKT0_illlliPT3_S6_iiiiPKf.kd
    .uniform_work_group_size: 1
    .uses_dynamic_stack: false
    .vgpr_count:     28
    .vgpr_spill_count: 0
    .wavefront_size: 64
  - .agpr_count:     0
    .args:
      - .actual_access:  read_only
        .address_space:  global
        .offset:         0
        .size:           8
        .value_kind:     global_buffer
      - .address_space:  global
        .offset:         8
        .size:           8
        .value_kind:     global_buffer
      - .address_space:  global
        .offset:         16
        .size:           8
        .value_kind:     global_buffer
      - .actual_access:  read_only
        .address_space:  global
        .offset:         24
        .size:           8
        .value_kind:     global_buffer
      - .actual_access:  read_only
        .address_space:  global
        .offset:         32
        .size:           8
        .value_kind:     global_buffer
      - .offset:         40
        .size:           4
        .value_kind:     by_value
      - .offset:         48
        .size:           8
        .value_kind:     by_value
      - .offset:         56
        .size:           8
        .value_kind:     by_value
      - .offset:         64
        .size:           8
        .value_kind:     by_value
      - .offset:         72
        .size:           8
        .value_kind:     by_value
      - .offset:         80
        .size:           4
        .value_kind:     by_value
      - .actual_access:  write_only
        .address_space:  global
        .offset:         88
        .size:           8
        .value_kind:     global_buffer
      - .actual_access:  read_only
        .address_space:  global
        .offset:         96
        .size:           8
        .value_kind:     global_buffer
      - .offset:         104
        .size:           4
        .value_kind:     by_value
      - .offset:         108
        .size:           4
        .value_kind:     by_value
      - .offset:         112
        .size:           4
        .value_kind:     by_value
      - .offset:         116
        .size:           4
        .value_kind:     by_value
      - .address_space:  global
        .offset:         120
        .size:           8
        .value_kind:     global_buffer
      - .offset:         128
        .size:           4
        .value_kind:     hidden_block_count_x
      - .offset:         132
        .size:           4
        .value_kind:     hidden_block_count_y
      - .offset:         136
        .size:           4
        .value_kind:     hidden_block_count_z
      - .offset:         140
        .size:           2
        .value_kind:     hidden_group_size_x
      - .offset:         142
        .size:           2
        .value_kind:     hidden_group_size_y
      - .offset:         144
        .size:           2
        .value_kind:     hidden_group_size_z
      - .offset:         146
        .size:           2
        .value_kind:     hidden_remainder_x
      - .offset:         148
        .size:           2
        .value_kind:     hidden_remainder_y
      - .offset:         150
        .size:           2
        .value_kind:     hidden_remainder_z
      - .offset:         168
        .size:           8
        .value_kind:     hidden_global_offset_x
      - .offset:         176
        .size:           8
        .value_kind:     hidden_global_offset_y
      - .offset:         184
        .size:           8
        .value_kind:     hidden_global_offset_z
      - .offset:         192
        .size:           2
        .value_kind:     hidden_grid_dims
    .group_segment_fixed_size: 4096
    .kernarg_segment_align: 8
    .kernarg_segment_size: 384
    .language:       OpenCL C
    .language_version:
      - 2
      - 0
    .max_flat_workgroup_size: 1024
    .name:           _ZN4vllm38concat_and_cache_mla_rope_fused_kernelIN3c104HalfENS1_8BFloat16ELb0EfhLNS_18Fp8KVCacheDataTypeE1EEEvPKlPT_S8_PKS7_PKT0_illlliPT3_S6_iiiiPKf
    .private_segment_fixed_size: 0
    .sgpr_count:     51
    .sgpr_spill_count: 0
    .symbol:         _ZN4vllm38concat_and_cache_mla_rope_fused_kernelIN3c104HalfENS1_8BFloat16ELb0EfhLNS_18Fp8KVCacheDataTypeE1EEEvPKlPT_S8_PKS7_PKT0_illlliPT3_S6_iiiiPKf.kd
    .uniform_work_group_size: 1
    .uses_dynamic_stack: false
    .vgpr_count:     30
    .vgpr_spill_count: 0
    .wavefront_size: 64
  - .agpr_count:     0
    .args:
      - .actual_access:  read_only
        .address_space:  global
        .offset:         0
        .size:           8
        .value_kind:     global_buffer
      - .address_space:  global
        .offset:         8
        .size:           8
        .value_kind:     global_buffer
      - .address_space:  global
        .offset:         16
        .size:           8
        .value_kind:     global_buffer
      - .actual_access:  read_only
        .address_space:  global
        .offset:         24
        .size:           8
        .value_kind:     global_buffer
      - .actual_access:  read_only
        .address_space:  global
        .offset:         32
        .size:           8
        .value_kind:     global_buffer
      - .offset:         40
        .size:           4
        .value_kind:     by_value
      - .offset:         48
        .size:           8
        .value_kind:     by_value
      - .offset:         56
        .size:           8
        .value_kind:     by_value
      - .offset:         64
        .size:           8
        .value_kind:     by_value
      - .offset:         72
        .size:           8
        .value_kind:     by_value
      - .offset:         80
        .size:           4
        .value_kind:     by_value
      - .actual_access:  write_only
        .address_space:  global
        .offset:         88
        .size:           8
        .value_kind:     global_buffer
      - .actual_access:  read_only
        .address_space:  global
        .offset:         96
        .size:           8
        .value_kind:     global_buffer
      - .offset:         104
        .size:           4
        .value_kind:     by_value
      - .offset:         108
        .size:           4
        .value_kind:     by_value
      - .offset:         112
        .size:           4
        .value_kind:     by_value
      - .offset:         116
        .size:           4
        .value_kind:     by_value
      - .address_space:  global
        .offset:         120
        .size:           8
        .value_kind:     global_buffer
      - .offset:         128
        .size:           4
        .value_kind:     hidden_block_count_x
      - .offset:         132
        .size:           4
        .value_kind:     hidden_block_count_y
      - .offset:         136
        .size:           4
        .value_kind:     hidden_block_count_z
      - .offset:         140
        .size:           2
        .value_kind:     hidden_group_size_x
      - .offset:         142
        .size:           2
        .value_kind:     hidden_group_size_y
      - .offset:         144
        .size:           2
        .value_kind:     hidden_group_size_z
      - .offset:         146
        .size:           2
        .value_kind:     hidden_remainder_x
      - .offset:         148
        .size:           2
        .value_kind:     hidden_remainder_y
      - .offset:         150
        .size:           2
        .value_kind:     hidden_remainder_z
      - .offset:         168
        .size:           8
        .value_kind:     hidden_global_offset_x
      - .offset:         176
        .size:           8
        .value_kind:     hidden_global_offset_y
      - .offset:         184
        .size:           8
        .value_kind:     hidden_global_offset_z
      - .offset:         192
        .size:           2
        .value_kind:     hidden_grid_dims
    .group_segment_fixed_size: 4096
    .kernarg_segment_align: 8
    .kernarg_segment_size: 384
    .language:       OpenCL C
    .language_version:
      - 2
      - 0
    .max_flat_workgroup_size: 1024
    .name:           _ZN4vllm38concat_and_cache_mla_rope_fused_kernelIN3c108BFloat16EfLb1EfhLNS_18Fp8KVCacheDataTypeE1EEEvPKlPT_S7_PKS6_PKT0_illlliPT3_S5_iiiiPKf
    .private_segment_fixed_size: 0
    .sgpr_count:     59
    .sgpr_spill_count: 0
    .symbol:         _ZN4vllm38concat_and_cache_mla_rope_fused_kernelIN3c108BFloat16EfLb1EfhLNS_18Fp8KVCacheDataTypeE1EEEvPKlPT_S7_PKS6_PKT0_illlliPT3_S5_iiiiPKf.kd
    .uniform_work_group_size: 1
    .uses_dynamic_stack: false
    .vgpr_count:     32
    .vgpr_spill_count: 0
    .wavefront_size: 64
  - .agpr_count:     0
    .args:
      - .actual_access:  read_only
        .address_space:  global
        .offset:         0
        .size:           8
        .value_kind:     global_buffer
      - .address_space:  global
        .offset:         8
        .size:           8
        .value_kind:     global_buffer
      - .address_space:  global
        .offset:         16
        .size:           8
        .value_kind:     global_buffer
      - .actual_access:  read_only
        .address_space:  global
        .offset:         24
        .size:           8
        .value_kind:     global_buffer
      - .actual_access:  read_only
        .address_space:  global
        .offset:         32
        .size:           8
        .value_kind:     global_buffer
      - .offset:         40
        .size:           4
        .value_kind:     by_value
      - .offset:         48
        .size:           8
        .value_kind:     by_value
      - .offset:         56
        .size:           8
        .value_kind:     by_value
      - .offset:         64
        .size:           8
        .value_kind:     by_value
      - .offset:         72
        .size:           8
        .value_kind:     by_value
      - .offset:         80
        .size:           4
        .value_kind:     by_value
      - .actual_access:  write_only
        .address_space:  global
        .offset:         88
        .size:           8
        .value_kind:     global_buffer
      - .actual_access:  read_only
        .address_space:  global
        .offset:         96
        .size:           8
        .value_kind:     global_buffer
      - .offset:         104
        .size:           4
        .value_kind:     by_value
      - .offset:         108
        .size:           4
        .value_kind:     by_value
      - .offset:         112
        .size:           4
        .value_kind:     by_value
      - .offset:         116
        .size:           4
        .value_kind:     by_value
      - .address_space:  global
        .offset:         120
        .size:           8
        .value_kind:     global_buffer
      - .offset:         128
        .size:           4
        .value_kind:     hidden_block_count_x
      - .offset:         132
        .size:           4
        .value_kind:     hidden_block_count_y
      - .offset:         136
        .size:           4
        .value_kind:     hidden_block_count_z
      - .offset:         140
        .size:           2
        .value_kind:     hidden_group_size_x
      - .offset:         142
        .size:           2
        .value_kind:     hidden_group_size_y
      - .offset:         144
        .size:           2
        .value_kind:     hidden_group_size_z
      - .offset:         146
        .size:           2
        .value_kind:     hidden_remainder_x
      - .offset:         148
        .size:           2
        .value_kind:     hidden_remainder_y
      - .offset:         150
        .size:           2
        .value_kind:     hidden_remainder_z
      - .offset:         168
        .size:           8
        .value_kind:     hidden_global_offset_x
      - .offset:         176
        .size:           8
        .value_kind:     hidden_global_offset_y
      - .offset:         184
        .size:           8
        .value_kind:     hidden_global_offset_z
      - .offset:         192
        .size:           2
        .value_kind:     hidden_grid_dims
    .group_segment_fixed_size: 4096
    .kernarg_segment_align: 8
    .kernarg_segment_size: 384
    .language:       OpenCL C
    .language_version:
      - 2
      - 0
    .max_flat_workgroup_size: 1024
    .name:           _ZN4vllm38concat_and_cache_mla_rope_fused_kernelIN3c108BFloat16EfLb0EfhLNS_18Fp8KVCacheDataTypeE1EEEvPKlPT_S7_PKS6_PKT0_illlliPT3_S5_iiiiPKf
    .private_segment_fixed_size: 0
    .sgpr_count:     51
    .sgpr_spill_count: 0
    .symbol:         _ZN4vllm38concat_and_cache_mla_rope_fused_kernelIN3c108BFloat16EfLb0EfhLNS_18Fp8KVCacheDataTypeE1EEEvPKlPT_S7_PKS6_PKT0_illlliPT3_S5_iiiiPKf.kd
    .uniform_work_group_size: 1
    .uses_dynamic_stack: false
    .vgpr_count:     32
    .vgpr_spill_count: 0
    .wavefront_size: 64
  - .agpr_count:     0
    .args:
      - .actual_access:  read_only
        .address_space:  global
        .offset:         0
        .size:           8
        .value_kind:     global_buffer
      - .address_space:  global
        .offset:         8
        .size:           8
        .value_kind:     global_buffer
      - .address_space:  global
        .offset:         16
        .size:           8
        .value_kind:     global_buffer
      - .actual_access:  read_only
        .address_space:  global
        .offset:         24
        .size:           8
        .value_kind:     global_buffer
      - .actual_access:  read_only
        .address_space:  global
        .offset:         32
        .size:           8
        .value_kind:     global_buffer
      - .offset:         40
        .size:           4
        .value_kind:     by_value
      - .offset:         48
        .size:           8
        .value_kind:     by_value
      - .offset:         56
        .size:           8
        .value_kind:     by_value
      - .offset:         64
        .size:           8
        .value_kind:     by_value
      - .offset:         72
        .size:           8
        .value_kind:     by_value
      - .offset:         80
        .size:           4
        .value_kind:     by_value
      - .actual_access:  write_only
        .address_space:  global
        .offset:         88
        .size:           8
        .value_kind:     global_buffer
      - .actual_access:  read_only
        .address_space:  global
        .offset:         96
        .size:           8
        .value_kind:     global_buffer
      - .offset:         104
        .size:           4
        .value_kind:     by_value
      - .offset:         108
        .size:           4
        .value_kind:     by_value
      - .offset:         112
        .size:           4
        .value_kind:     by_value
      - .offset:         116
        .size:           4
        .value_kind:     by_value
      - .address_space:  global
        .offset:         120
        .size:           8
        .value_kind:     global_buffer
      - .offset:         128
        .size:           4
        .value_kind:     hidden_block_count_x
      - .offset:         132
        .size:           4
        .value_kind:     hidden_block_count_y
      - .offset:         136
        .size:           4
        .value_kind:     hidden_block_count_z
      - .offset:         140
        .size:           2
        .value_kind:     hidden_group_size_x
      - .offset:         142
        .size:           2
        .value_kind:     hidden_group_size_y
      - .offset:         144
        .size:           2
        .value_kind:     hidden_group_size_z
      - .offset:         146
        .size:           2
        .value_kind:     hidden_remainder_x
      - .offset:         148
        .size:           2
        .value_kind:     hidden_remainder_y
      - .offset:         150
        .size:           2
        .value_kind:     hidden_remainder_z
      - .offset:         168
        .size:           8
        .value_kind:     hidden_global_offset_x
      - .offset:         176
        .size:           8
        .value_kind:     hidden_global_offset_y
      - .offset:         184
        .size:           8
        .value_kind:     hidden_global_offset_z
      - .offset:         192
        .size:           2
        .value_kind:     hidden_grid_dims
    .group_segment_fixed_size: 4096
    .kernarg_segment_align: 8
    .kernarg_segment_size: 384
    .language:       OpenCL C
    .language_version:
      - 2
      - 0
    .max_flat_workgroup_size: 1024
    .name:           _ZN4vllm38concat_and_cache_mla_rope_fused_kernelIN3c108BFloat16ENS1_4HalfELb1EfhLNS_18Fp8KVCacheDataTypeE1EEEvPKlPT_S8_PKS7_PKT0_illlliPT3_S6_iiiiPKf
    .private_segment_fixed_size: 0
    .sgpr_count:     56
    .sgpr_spill_count: 0
    .symbol:         _ZN4vllm38concat_and_cache_mla_rope_fused_kernelIN3c108BFloat16ENS1_4HalfELb1EfhLNS_18Fp8KVCacheDataTypeE1EEEvPKlPT_S8_PKS7_PKT0_illlliPT3_S6_iiiiPKf.kd
    .uniform_work_group_size: 1
    .uses_dynamic_stack: false
    .vgpr_count:     30
    .vgpr_spill_count: 0
    .wavefront_size: 64
  - .agpr_count:     0
    .args:
      - .actual_access:  read_only
        .address_space:  global
        .offset:         0
        .size:           8
        .value_kind:     global_buffer
      - .address_space:  global
        .offset:         8
        .size:           8
        .value_kind:     global_buffer
      - .address_space:  global
        .offset:         16
        .size:           8
        .value_kind:     global_buffer
      - .actual_access:  read_only
        .address_space:  global
        .offset:         24
        .size:           8
        .value_kind:     global_buffer
      - .actual_access:  read_only
        .address_space:  global
        .offset:         32
        .size:           8
        .value_kind:     global_buffer
      - .offset:         40
        .size:           4
        .value_kind:     by_value
      - .offset:         48
        .size:           8
        .value_kind:     by_value
      - .offset:         56
        .size:           8
        .value_kind:     by_value
      - .offset:         64
        .size:           8
        .value_kind:     by_value
      - .offset:         72
        .size:           8
        .value_kind:     by_value
      - .offset:         80
        .size:           4
        .value_kind:     by_value
      - .actual_access:  write_only
        .address_space:  global
        .offset:         88
        .size:           8
        .value_kind:     global_buffer
      - .actual_access:  read_only
        .address_space:  global
        .offset:         96
        .size:           8
        .value_kind:     global_buffer
      - .offset:         104
        .size:           4
        .value_kind:     by_value
      - .offset:         108
        .size:           4
        .value_kind:     by_value
      - .offset:         112
        .size:           4
        .value_kind:     by_value
      - .offset:         116
        .size:           4
        .value_kind:     by_value
      - .address_space:  global
        .offset:         120
        .size:           8
        .value_kind:     global_buffer
      - .offset:         128
        .size:           4
        .value_kind:     hidden_block_count_x
      - .offset:         132
        .size:           4
        .value_kind:     hidden_block_count_y
      - .offset:         136
        .size:           4
        .value_kind:     hidden_block_count_z
      - .offset:         140
        .size:           2
        .value_kind:     hidden_group_size_x
      - .offset:         142
        .size:           2
        .value_kind:     hidden_group_size_y
      - .offset:         144
        .size:           2
        .value_kind:     hidden_group_size_z
      - .offset:         146
        .size:           2
        .value_kind:     hidden_remainder_x
      - .offset:         148
        .size:           2
        .value_kind:     hidden_remainder_y
      - .offset:         150
        .size:           2
        .value_kind:     hidden_remainder_z
      - .offset:         168
        .size:           8
        .value_kind:     hidden_global_offset_x
      - .offset:         176
        .size:           8
        .value_kind:     hidden_global_offset_y
      - .offset:         184
        .size:           8
        .value_kind:     hidden_global_offset_z
      - .offset:         192
        .size:           2
        .value_kind:     hidden_grid_dims
    .group_segment_fixed_size: 4096
    .kernarg_segment_align: 8
    .kernarg_segment_size: 384
    .language:       OpenCL C
    .language_version:
      - 2
      - 0
    .max_flat_workgroup_size: 1024
    .name:           _ZN4vllm38concat_and_cache_mla_rope_fused_kernelIN3c108BFloat16ENS1_4HalfELb0EfhLNS_18Fp8KVCacheDataTypeE1EEEvPKlPT_S8_PKS7_PKT0_illlliPT3_S6_iiiiPKf
    .private_segment_fixed_size: 0
    .sgpr_count:     51
    .sgpr_spill_count: 0
    .symbol:         _ZN4vllm38concat_and_cache_mla_rope_fused_kernelIN3c108BFloat16ENS1_4HalfELb0EfhLNS_18Fp8KVCacheDataTypeE1EEEvPKlPT_S8_PKS7_PKT0_illlliPT3_S6_iiiiPKf.kd
    .uniform_work_group_size: 1
    .uses_dynamic_stack: false
    .vgpr_count:     32
    .vgpr_spill_count: 0
    .wavefront_size: 64
  - .agpr_count:     0
    .args:
      - .actual_access:  read_only
        .address_space:  global
        .offset:         0
        .size:           8
        .value_kind:     global_buffer
      - .address_space:  global
        .offset:         8
        .size:           8
        .value_kind:     global_buffer
      - .address_space:  global
        .offset:         16
        .size:           8
        .value_kind:     global_buffer
      - .actual_access:  read_only
        .address_space:  global
        .offset:         24
        .size:           8
        .value_kind:     global_buffer
      - .actual_access:  read_only
        .address_space:  global
        .offset:         32
        .size:           8
        .value_kind:     global_buffer
      - .offset:         40
        .size:           4
        .value_kind:     by_value
      - .offset:         48
        .size:           8
        .value_kind:     by_value
      - .offset:         56
        .size:           8
        .value_kind:     by_value
      - .offset:         64
        .size:           8
        .value_kind:     by_value
      - .offset:         72
        .size:           8
        .value_kind:     by_value
      - .offset:         80
        .size:           4
        .value_kind:     by_value
      - .actual_access:  write_only
        .address_space:  global
        .offset:         88
        .size:           8
        .value_kind:     global_buffer
      - .actual_access:  read_only
        .address_space:  global
        .offset:         96
        .size:           8
        .value_kind:     global_buffer
      - .offset:         104
        .size:           4
        .value_kind:     by_value
      - .offset:         108
        .size:           4
        .value_kind:     by_value
      - .offset:         112
        .size:           4
        .value_kind:     by_value
      - .offset:         116
        .size:           4
        .value_kind:     by_value
      - .address_space:  global
        .offset:         120
        .size:           8
        .value_kind:     global_buffer
      - .offset:         128
        .size:           4
        .value_kind:     hidden_block_count_x
      - .offset:         132
        .size:           4
        .value_kind:     hidden_block_count_y
      - .offset:         136
        .size:           4
        .value_kind:     hidden_block_count_z
      - .offset:         140
        .size:           2
        .value_kind:     hidden_group_size_x
      - .offset:         142
        .size:           2
        .value_kind:     hidden_group_size_y
      - .offset:         144
        .size:           2
        .value_kind:     hidden_group_size_z
      - .offset:         146
        .size:           2
        .value_kind:     hidden_remainder_x
      - .offset:         148
        .size:           2
        .value_kind:     hidden_remainder_y
      - .offset:         150
        .size:           2
        .value_kind:     hidden_remainder_z
      - .offset:         168
        .size:           8
        .value_kind:     hidden_global_offset_x
      - .offset:         176
        .size:           8
        .value_kind:     hidden_global_offset_y
      - .offset:         184
        .size:           8
        .value_kind:     hidden_global_offset_z
      - .offset:         192
        .size:           2
        .value_kind:     hidden_grid_dims
    .group_segment_fixed_size: 4096
    .kernarg_segment_align: 8
    .kernarg_segment_size: 384
    .language:       OpenCL C
    .language_version:
      - 2
      - 0
    .max_flat_workgroup_size: 1024
    .name:           _ZN4vllm38concat_and_cache_mla_rope_fused_kernelIN3c108BFloat16ES2_Lb1EfhLNS_18Fp8KVCacheDataTypeE1EEEvPKlPT_S7_PKS6_PKT0_illlliPT3_S5_iiiiPKf
    .private_segment_fixed_size: 0
    .sgpr_count:     54
    .sgpr_spill_count: 0
    .symbol:         _ZN4vllm38concat_and_cache_mla_rope_fused_kernelIN3c108BFloat16ES2_Lb1EfhLNS_18Fp8KVCacheDataTypeE1EEEvPKlPT_S7_PKS6_PKT0_illlliPT3_S5_iiiiPKf.kd
    .uniform_work_group_size: 1
    .uses_dynamic_stack: false
    .vgpr_count:     30
    .vgpr_spill_count: 0
    .wavefront_size: 64
  - .agpr_count:     0
    .args:
      - .actual_access:  read_only
        .address_space:  global
        .offset:         0
        .size:           8
        .value_kind:     global_buffer
      - .address_space:  global
        .offset:         8
        .size:           8
        .value_kind:     global_buffer
      - .address_space:  global
        .offset:         16
        .size:           8
        .value_kind:     global_buffer
      - .actual_access:  read_only
        .address_space:  global
        .offset:         24
        .size:           8
        .value_kind:     global_buffer
      - .actual_access:  read_only
        .address_space:  global
        .offset:         32
        .size:           8
        .value_kind:     global_buffer
      - .offset:         40
        .size:           4
        .value_kind:     by_value
      - .offset:         48
        .size:           8
        .value_kind:     by_value
      - .offset:         56
        .size:           8
        .value_kind:     by_value
      - .offset:         64
        .size:           8
        .value_kind:     by_value
      - .offset:         72
        .size:           8
        .value_kind:     by_value
      - .offset:         80
        .size:           4
        .value_kind:     by_value
      - .actual_access:  write_only
        .address_space:  global
        .offset:         88
        .size:           8
        .value_kind:     global_buffer
      - .actual_access:  read_only
        .address_space:  global
        .offset:         96
        .size:           8
        .value_kind:     global_buffer
      - .offset:         104
        .size:           4
        .value_kind:     by_value
      - .offset:         108
        .size:           4
        .value_kind:     by_value
      - .offset:         112
        .size:           4
        .value_kind:     by_value
      - .offset:         116
        .size:           4
        .value_kind:     by_value
      - .address_space:  global
        .offset:         120
        .size:           8
        .value_kind:     global_buffer
      - .offset:         128
        .size:           4
        .value_kind:     hidden_block_count_x
      - .offset:         132
        .size:           4
        .value_kind:     hidden_block_count_y
      - .offset:         136
        .size:           4
        .value_kind:     hidden_block_count_z
      - .offset:         140
        .size:           2
        .value_kind:     hidden_group_size_x
      - .offset:         142
        .size:           2
        .value_kind:     hidden_group_size_y
      - .offset:         144
        .size:           2
        .value_kind:     hidden_group_size_z
      - .offset:         146
        .size:           2
        .value_kind:     hidden_remainder_x
      - .offset:         148
        .size:           2
        .value_kind:     hidden_remainder_y
      - .offset:         150
        .size:           2
        .value_kind:     hidden_remainder_z
      - .offset:         168
        .size:           8
        .value_kind:     hidden_global_offset_x
      - .offset:         176
        .size:           8
        .value_kind:     hidden_global_offset_y
      - .offset:         184
        .size:           8
        .value_kind:     hidden_global_offset_z
      - .offset:         192
        .size:           2
        .value_kind:     hidden_grid_dims
    .group_segment_fixed_size: 4096
    .kernarg_segment_align: 8
    .kernarg_segment_size: 384
    .language:       OpenCL C
    .language_version:
      - 2
      - 0
    .max_flat_workgroup_size: 1024
    .name:           _ZN4vllm38concat_and_cache_mla_rope_fused_kernelIN3c108BFloat16ES2_Lb0EfhLNS_18Fp8KVCacheDataTypeE1EEEvPKlPT_S7_PKS6_PKT0_illlliPT3_S5_iiiiPKf
    .private_segment_fixed_size: 0
    .sgpr_count:     51
    .sgpr_spill_count: 0
    .symbol:         _ZN4vllm38concat_and_cache_mla_rope_fused_kernelIN3c108BFloat16ES2_Lb0EfhLNS_18Fp8KVCacheDataTypeE1EEEvPKlPT_S7_PKS6_PKT0_illlliPT3_S5_iiiiPKf.kd
    .uniform_work_group_size: 1
    .uses_dynamic_stack: false
    .vgpr_count:     27
    .vgpr_spill_count: 0
    .wavefront_size: 64
  - .agpr_count:     0
    .args:
      - .actual_access:  read_only
        .address_space:  global
        .offset:         0
        .size:           8
        .value_kind:     global_buffer
      - .address_space:  global
        .offset:         8
        .size:           8
        .value_kind:     global_buffer
      - .address_space:  global
        .offset:         16
        .size:           8
        .value_kind:     global_buffer
      - .actual_access:  read_only
        .address_space:  global
        .offset:         24
        .size:           8
        .value_kind:     global_buffer
      - .actual_access:  read_only
        .address_space:  global
        .offset:         32
        .size:           8
        .value_kind:     global_buffer
      - .offset:         40
        .size:           4
        .value_kind:     by_value
      - .offset:         48
        .size:           8
        .value_kind:     by_value
      - .offset:         56
        .size:           8
        .value_kind:     by_value
      - .offset:         64
        .size:           8
        .value_kind:     by_value
      - .offset:         72
        .size:           8
        .value_kind:     by_value
      - .offset:         80
        .size:           4
        .value_kind:     by_value
      - .actual_access:  write_only
        .address_space:  global
        .offset:         88
        .size:           8
        .value_kind:     global_buffer
      - .actual_access:  read_only
        .address_space:  global
        .offset:         96
        .size:           8
        .value_kind:     global_buffer
      - .offset:         104
        .size:           4
        .value_kind:     by_value
      - .offset:         108
        .size:           4
        .value_kind:     by_value
      - .offset:         112
        .size:           4
        .value_kind:     by_value
      - .offset:         116
        .size:           4
        .value_kind:     by_value
      - .address_space:  global
        .offset:         120
        .size:           8
        .value_kind:     global_buffer
      - .offset:         128
        .size:           4
        .value_kind:     hidden_block_count_x
      - .offset:         132
        .size:           4
        .value_kind:     hidden_block_count_y
      - .offset:         136
        .size:           4
        .value_kind:     hidden_block_count_z
      - .offset:         140
        .size:           2
        .value_kind:     hidden_group_size_x
      - .offset:         142
        .size:           2
        .value_kind:     hidden_group_size_y
      - .offset:         144
        .size:           2
        .value_kind:     hidden_group_size_z
      - .offset:         146
        .size:           2
        .value_kind:     hidden_remainder_x
      - .offset:         148
        .size:           2
        .value_kind:     hidden_remainder_y
      - .offset:         150
        .size:           2
        .value_kind:     hidden_remainder_z
      - .offset:         168
        .size:           8
        .value_kind:     hidden_global_offset_x
      - .offset:         176
        .size:           8
        .value_kind:     hidden_global_offset_y
      - .offset:         184
        .size:           8
        .value_kind:     hidden_global_offset_z
      - .offset:         192
        .size:           2
        .value_kind:     hidden_grid_dims
    .group_segment_fixed_size: 0
    .kernarg_segment_align: 8
    .kernarg_segment_size: 384
    .language:       OpenCL C
    .language_version:
      - 2
      - 0
    .max_flat_workgroup_size: 1024
    .name:           _ZN4vllm38concat_and_cache_mla_rope_fused_kernelIffLb1EthLNS_18Fp8KVCacheDataTypeE1EEEvPKlPT_S5_PKS4_PKT0_illlliPT3_S3_iiiiPKf
    .private_segment_fixed_size: 0
    .sgpr_count:     54
    .sgpr_spill_count: 0
    .symbol:         _ZN4vllm38concat_and_cache_mla_rope_fused_kernelIffLb1EthLNS_18Fp8KVCacheDataTypeE1EEEvPKlPT_S5_PKS4_PKT0_illlliPT3_S3_iiiiPKf.kd
    .uniform_work_group_size: 1
    .uses_dynamic_stack: false
    .vgpr_count:     26
    .vgpr_spill_count: 0
    .wavefront_size: 64
  - .agpr_count:     0
    .args:
      - .actual_access:  read_only
        .address_space:  global
        .offset:         0
        .size:           8
        .value_kind:     global_buffer
      - .address_space:  global
        .offset:         8
        .size:           8
        .value_kind:     global_buffer
      - .address_space:  global
        .offset:         16
        .size:           8
        .value_kind:     global_buffer
      - .actual_access:  read_only
        .address_space:  global
        .offset:         24
        .size:           8
        .value_kind:     global_buffer
      - .actual_access:  read_only
        .address_space:  global
        .offset:         32
        .size:           8
        .value_kind:     global_buffer
      - .offset:         40
        .size:           4
        .value_kind:     by_value
      - .offset:         48
        .size:           8
        .value_kind:     by_value
      - .offset:         56
        .size:           8
        .value_kind:     by_value
      - .offset:         64
        .size:           8
        .value_kind:     by_value
      - .offset:         72
        .size:           8
        .value_kind:     by_value
      - .offset:         80
        .size:           4
        .value_kind:     by_value
      - .actual_access:  write_only
        .address_space:  global
        .offset:         88
        .size:           8
        .value_kind:     global_buffer
      - .actual_access:  read_only
        .address_space:  global
        .offset:         96
        .size:           8
        .value_kind:     global_buffer
      - .offset:         104
        .size:           4
        .value_kind:     by_value
      - .offset:         108
        .size:           4
        .value_kind:     by_value
      - .offset:         112
        .size:           4
        .value_kind:     by_value
      - .offset:         116
        .size:           4
        .value_kind:     by_value
      - .address_space:  global
        .offset:         120
        .size:           8
        .value_kind:     global_buffer
      - .offset:         128
        .size:           4
        .value_kind:     hidden_block_count_x
      - .offset:         132
        .size:           4
        .value_kind:     hidden_block_count_y
      - .offset:         136
        .size:           4
        .value_kind:     hidden_block_count_z
      - .offset:         140
        .size:           2
        .value_kind:     hidden_group_size_x
      - .offset:         142
        .size:           2
        .value_kind:     hidden_group_size_y
      - .offset:         144
        .size:           2
        .value_kind:     hidden_group_size_z
      - .offset:         146
        .size:           2
        .value_kind:     hidden_remainder_x
      - .offset:         148
        .size:           2
        .value_kind:     hidden_remainder_y
      - .offset:         150
        .size:           2
        .value_kind:     hidden_remainder_z
      - .offset:         168
        .size:           8
        .value_kind:     hidden_global_offset_x
      - .offset:         176
        .size:           8
        .value_kind:     hidden_global_offset_y
      - .offset:         184
        .size:           8
        .value_kind:     hidden_global_offset_z
      - .offset:         192
        .size:           2
        .value_kind:     hidden_grid_dims
    .group_segment_fixed_size: 0
    .kernarg_segment_align: 8
    .kernarg_segment_size: 384
    .language:       OpenCL C
    .language_version:
      - 2
      - 0
    .max_flat_workgroup_size: 1024
    .name:           _ZN4vllm38concat_and_cache_mla_rope_fused_kernelIffLb0EthLNS_18Fp8KVCacheDataTypeE1EEEvPKlPT_S5_PKS4_PKT0_illlliPT3_S3_iiiiPKf
    .private_segment_fixed_size: 0
    .sgpr_count:     50
    .sgpr_spill_count: 0
    .symbol:         _ZN4vllm38concat_and_cache_mla_rope_fused_kernelIffLb0EthLNS_18Fp8KVCacheDataTypeE1EEEvPKlPT_S5_PKS4_PKT0_illlliPT3_S3_iiiiPKf.kd
    .uniform_work_group_size: 1
    .uses_dynamic_stack: false
    .vgpr_count:     23
    .vgpr_spill_count: 0
    .wavefront_size: 64
  - .agpr_count:     0
    .args:
      - .actual_access:  read_only
        .address_space:  global
        .offset:         0
        .size:           8
        .value_kind:     global_buffer
      - .address_space:  global
        .offset:         8
        .size:           8
        .value_kind:     global_buffer
      - .address_space:  global
        .offset:         16
        .size:           8
        .value_kind:     global_buffer
      - .actual_access:  read_only
        .address_space:  global
        .offset:         24
        .size:           8
        .value_kind:     global_buffer
      - .actual_access:  read_only
        .address_space:  global
        .offset:         32
        .size:           8
        .value_kind:     global_buffer
      - .offset:         40
        .size:           4
        .value_kind:     by_value
      - .offset:         48
        .size:           8
        .value_kind:     by_value
      - .offset:         56
        .size:           8
        .value_kind:     by_value
      - .offset:         64
        .size:           8
        .value_kind:     by_value
      - .offset:         72
        .size:           8
        .value_kind:     by_value
      - .offset:         80
        .size:           4
        .value_kind:     by_value
      - .actual_access:  write_only
        .address_space:  global
        .offset:         88
        .size:           8
        .value_kind:     global_buffer
      - .actual_access:  read_only
        .address_space:  global
        .offset:         96
        .size:           8
        .value_kind:     global_buffer
      - .offset:         104
        .size:           4
        .value_kind:     by_value
      - .offset:         108
        .size:           4
        .value_kind:     by_value
      - .offset:         112
        .size:           4
        .value_kind:     by_value
      - .offset:         116
        .size:           4
        .value_kind:     by_value
      - .address_space:  global
        .offset:         120
        .size:           8
        .value_kind:     global_buffer
      - .offset:         128
        .size:           4
        .value_kind:     hidden_block_count_x
      - .offset:         132
        .size:           4
        .value_kind:     hidden_block_count_y
      - .offset:         136
        .size:           4
        .value_kind:     hidden_block_count_z
      - .offset:         140
        .size:           2
        .value_kind:     hidden_group_size_x
      - .offset:         142
        .size:           2
        .value_kind:     hidden_group_size_y
      - .offset:         144
        .size:           2
        .value_kind:     hidden_group_size_z
      - .offset:         146
        .size:           2
        .value_kind:     hidden_remainder_x
      - .offset:         148
        .size:           2
        .value_kind:     hidden_remainder_y
      - .offset:         150
        .size:           2
        .value_kind:     hidden_remainder_z
      - .offset:         168
        .size:           8
        .value_kind:     hidden_global_offset_x
      - .offset:         176
        .size:           8
        .value_kind:     hidden_global_offset_y
      - .offset:         184
        .size:           8
        .value_kind:     hidden_global_offset_z
      - .offset:         192
        .size:           2
        .value_kind:     hidden_grid_dims
    .group_segment_fixed_size: 0
    .kernarg_segment_align: 8
    .kernarg_segment_size: 384
    .language:       OpenCL C
    .language_version:
      - 2
      - 0
    .max_flat_workgroup_size: 1024
    .name:           _ZN4vllm38concat_and_cache_mla_rope_fused_kernelIfN3c104HalfELb1EthLNS_18Fp8KVCacheDataTypeE1EEEvPKlPT_S7_PKS6_PKT0_illlliPT3_S5_iiiiPKf
    .private_segment_fixed_size: 0
    .sgpr_count:     56
    .sgpr_spill_count: 0
    .symbol:         _ZN4vllm38concat_and_cache_mla_rope_fused_kernelIfN3c104HalfELb1EthLNS_18Fp8KVCacheDataTypeE1EEEvPKlPT_S7_PKS6_PKT0_illlliPT3_S5_iiiiPKf.kd
    .uniform_work_group_size: 1
    .uses_dynamic_stack: false
    .vgpr_count:     28
    .vgpr_spill_count: 0
    .wavefront_size: 64
  - .agpr_count:     0
    .args:
      - .actual_access:  read_only
        .address_space:  global
        .offset:         0
        .size:           8
        .value_kind:     global_buffer
      - .address_space:  global
        .offset:         8
        .size:           8
        .value_kind:     global_buffer
      - .address_space:  global
        .offset:         16
        .size:           8
        .value_kind:     global_buffer
      - .actual_access:  read_only
        .address_space:  global
        .offset:         24
        .size:           8
        .value_kind:     global_buffer
      - .actual_access:  read_only
        .address_space:  global
        .offset:         32
        .size:           8
        .value_kind:     global_buffer
      - .offset:         40
        .size:           4
        .value_kind:     by_value
      - .offset:         48
        .size:           8
        .value_kind:     by_value
      - .offset:         56
        .size:           8
        .value_kind:     by_value
      - .offset:         64
        .size:           8
        .value_kind:     by_value
      - .offset:         72
        .size:           8
        .value_kind:     by_value
      - .offset:         80
        .size:           4
        .value_kind:     by_value
      - .actual_access:  write_only
        .address_space:  global
        .offset:         88
        .size:           8
        .value_kind:     global_buffer
      - .actual_access:  read_only
        .address_space:  global
        .offset:         96
        .size:           8
        .value_kind:     global_buffer
      - .offset:         104
        .size:           4
        .value_kind:     by_value
      - .offset:         108
        .size:           4
        .value_kind:     by_value
      - .offset:         112
        .size:           4
        .value_kind:     by_value
      - .offset:         116
        .size:           4
        .value_kind:     by_value
      - .address_space:  global
        .offset:         120
        .size:           8
        .value_kind:     global_buffer
      - .offset:         128
        .size:           4
        .value_kind:     hidden_block_count_x
      - .offset:         132
        .size:           4
        .value_kind:     hidden_block_count_y
      - .offset:         136
        .size:           4
        .value_kind:     hidden_block_count_z
      - .offset:         140
        .size:           2
        .value_kind:     hidden_group_size_x
      - .offset:         142
        .size:           2
        .value_kind:     hidden_group_size_y
      - .offset:         144
        .size:           2
        .value_kind:     hidden_group_size_z
      - .offset:         146
        .size:           2
        .value_kind:     hidden_remainder_x
      - .offset:         148
        .size:           2
        .value_kind:     hidden_remainder_y
      - .offset:         150
        .size:           2
        .value_kind:     hidden_remainder_z
      - .offset:         168
        .size:           8
        .value_kind:     hidden_global_offset_x
      - .offset:         176
        .size:           8
        .value_kind:     hidden_global_offset_y
      - .offset:         184
        .size:           8
        .value_kind:     hidden_global_offset_z
      - .offset:         192
        .size:           2
        .value_kind:     hidden_grid_dims
    .group_segment_fixed_size: 0
    .kernarg_segment_align: 8
    .kernarg_segment_size: 384
    .language:       OpenCL C
    .language_version:
      - 2
      - 0
    .max_flat_workgroup_size: 1024
    .name:           _ZN4vllm38concat_and_cache_mla_rope_fused_kernelIfN3c104HalfELb0EthLNS_18Fp8KVCacheDataTypeE1EEEvPKlPT_S7_PKS6_PKT0_illlliPT3_S5_iiiiPKf
    .private_segment_fixed_size: 0
    .sgpr_count:     49
    .sgpr_spill_count: 0
    .symbol:         _ZN4vllm38concat_and_cache_mla_rope_fused_kernelIfN3c104HalfELb0EthLNS_18Fp8KVCacheDataTypeE1EEEvPKlPT_S7_PKS6_PKT0_illlliPT3_S5_iiiiPKf.kd
    .uniform_work_group_size: 1
    .uses_dynamic_stack: false
    .vgpr_count:     29
    .vgpr_spill_count: 0
    .wavefront_size: 64
  - .agpr_count:     0
    .args:
      - .actual_access:  read_only
        .address_space:  global
        .offset:         0
        .size:           8
        .value_kind:     global_buffer
      - .address_space:  global
        .offset:         8
        .size:           8
        .value_kind:     global_buffer
      - .address_space:  global
        .offset:         16
        .size:           8
        .value_kind:     global_buffer
      - .actual_access:  read_only
        .address_space:  global
        .offset:         24
        .size:           8
        .value_kind:     global_buffer
      - .actual_access:  read_only
        .address_space:  global
        .offset:         32
        .size:           8
        .value_kind:     global_buffer
      - .offset:         40
        .size:           4
        .value_kind:     by_value
      - .offset:         48
        .size:           8
        .value_kind:     by_value
      - .offset:         56
        .size:           8
        .value_kind:     by_value
      - .offset:         64
        .size:           8
        .value_kind:     by_value
      - .offset:         72
        .size:           8
        .value_kind:     by_value
      - .offset:         80
        .size:           4
        .value_kind:     by_value
      - .actual_access:  write_only
        .address_space:  global
        .offset:         88
        .size:           8
        .value_kind:     global_buffer
      - .actual_access:  read_only
        .address_space:  global
        .offset:         96
        .size:           8
        .value_kind:     global_buffer
      - .offset:         104
        .size:           4
        .value_kind:     by_value
      - .offset:         108
        .size:           4
        .value_kind:     by_value
      - .offset:         112
        .size:           4
        .value_kind:     by_value
      - .offset:         116
        .size:           4
        .value_kind:     by_value
      - .address_space:  global
        .offset:         120
        .size:           8
        .value_kind:     global_buffer
      - .offset:         128
        .size:           4
        .value_kind:     hidden_block_count_x
      - .offset:         132
        .size:           4
        .value_kind:     hidden_block_count_y
      - .offset:         136
        .size:           4
        .value_kind:     hidden_block_count_z
      - .offset:         140
        .size:           2
        .value_kind:     hidden_group_size_x
      - .offset:         142
        .size:           2
        .value_kind:     hidden_group_size_y
      - .offset:         144
        .size:           2
        .value_kind:     hidden_group_size_z
      - .offset:         146
        .size:           2
        .value_kind:     hidden_remainder_x
      - .offset:         148
        .size:           2
        .value_kind:     hidden_remainder_y
      - .offset:         150
        .size:           2
        .value_kind:     hidden_remainder_z
      - .offset:         168
        .size:           8
        .value_kind:     hidden_global_offset_x
      - .offset:         176
        .size:           8
        .value_kind:     hidden_global_offset_y
      - .offset:         184
        .size:           8
        .value_kind:     hidden_global_offset_z
      - .offset:         192
        .size:           2
        .value_kind:     hidden_grid_dims
    .group_segment_fixed_size: 0
    .kernarg_segment_align: 8
    .kernarg_segment_size: 384
    .language:       OpenCL C
    .language_version:
      - 2
      - 0
    .max_flat_workgroup_size: 1024
    .name:           _ZN4vllm38concat_and_cache_mla_rope_fused_kernelIfN3c108BFloat16ELb1EthLNS_18Fp8KVCacheDataTypeE1EEEvPKlPT_S7_PKS6_PKT0_illlliPT3_S5_iiiiPKf
    .private_segment_fixed_size: 0
    .sgpr_count:     54
    .sgpr_spill_count: 0
    .symbol:         _ZN4vllm38concat_and_cache_mla_rope_fused_kernelIfN3c108BFloat16ELb1EthLNS_18Fp8KVCacheDataTypeE1EEEvPKlPT_S7_PKS6_PKT0_illlliPT3_S5_iiiiPKf.kd
    .uniform_work_group_size: 1
    .uses_dynamic_stack: false
    .vgpr_count:     28
    .vgpr_spill_count: 0
    .wavefront_size: 64
  - .agpr_count:     0
    .args:
      - .actual_access:  read_only
        .address_space:  global
        .offset:         0
        .size:           8
        .value_kind:     global_buffer
      - .address_space:  global
        .offset:         8
        .size:           8
        .value_kind:     global_buffer
      - .address_space:  global
        .offset:         16
        .size:           8
        .value_kind:     global_buffer
      - .actual_access:  read_only
        .address_space:  global
        .offset:         24
        .size:           8
        .value_kind:     global_buffer
      - .actual_access:  read_only
        .address_space:  global
        .offset:         32
        .size:           8
        .value_kind:     global_buffer
      - .offset:         40
        .size:           4
        .value_kind:     by_value
      - .offset:         48
        .size:           8
        .value_kind:     by_value
      - .offset:         56
        .size:           8
        .value_kind:     by_value
      - .offset:         64
        .size:           8
        .value_kind:     by_value
      - .offset:         72
        .size:           8
        .value_kind:     by_value
      - .offset:         80
        .size:           4
        .value_kind:     by_value
      - .actual_access:  write_only
        .address_space:  global
        .offset:         88
        .size:           8
        .value_kind:     global_buffer
      - .actual_access:  read_only
        .address_space:  global
        .offset:         96
        .size:           8
        .value_kind:     global_buffer
      - .offset:         104
        .size:           4
        .value_kind:     by_value
      - .offset:         108
        .size:           4
        .value_kind:     by_value
      - .offset:         112
        .size:           4
        .value_kind:     by_value
      - .offset:         116
        .size:           4
        .value_kind:     by_value
      - .address_space:  global
        .offset:         120
        .size:           8
        .value_kind:     global_buffer
      - .offset:         128
        .size:           4
        .value_kind:     hidden_block_count_x
      - .offset:         132
        .size:           4
        .value_kind:     hidden_block_count_y
      - .offset:         136
        .size:           4
        .value_kind:     hidden_block_count_z
      - .offset:         140
        .size:           2
        .value_kind:     hidden_group_size_x
      - .offset:         142
        .size:           2
        .value_kind:     hidden_group_size_y
      - .offset:         144
        .size:           2
        .value_kind:     hidden_group_size_z
      - .offset:         146
        .size:           2
        .value_kind:     hidden_remainder_x
      - .offset:         148
        .size:           2
        .value_kind:     hidden_remainder_y
      - .offset:         150
        .size:           2
        .value_kind:     hidden_remainder_z
      - .offset:         168
        .size:           8
        .value_kind:     hidden_global_offset_x
      - .offset:         176
        .size:           8
        .value_kind:     hidden_global_offset_y
      - .offset:         184
        .size:           8
        .value_kind:     hidden_global_offset_z
      - .offset:         192
        .size:           2
        .value_kind:     hidden_grid_dims
    .group_segment_fixed_size: 0
    .kernarg_segment_align: 8
    .kernarg_segment_size: 384
    .language:       OpenCL C
    .language_version:
      - 2
      - 0
    .max_flat_workgroup_size: 1024
    .name:           _ZN4vllm38concat_and_cache_mla_rope_fused_kernelIfN3c108BFloat16ELb0EthLNS_18Fp8KVCacheDataTypeE1EEEvPKlPT_S7_PKS6_PKT0_illlliPT3_S5_iiiiPKf
    .private_segment_fixed_size: 0
    .sgpr_count:     49
    .sgpr_spill_count: 0
    .symbol:         _ZN4vllm38concat_and_cache_mla_rope_fused_kernelIfN3c108BFloat16ELb0EthLNS_18Fp8KVCacheDataTypeE1EEEvPKlPT_S7_PKS6_PKT0_illlliPT3_S5_iiiiPKf.kd
    .uniform_work_group_size: 1
    .uses_dynamic_stack: false
    .vgpr_count:     22
    .vgpr_spill_count: 0
    .wavefront_size: 64
  - .agpr_count:     0
    .args:
      - .actual_access:  read_only
        .address_space:  global
        .offset:         0
        .size:           8
        .value_kind:     global_buffer
      - .address_space:  global
        .offset:         8
        .size:           8
        .value_kind:     global_buffer
      - .address_space:  global
        .offset:         16
        .size:           8
        .value_kind:     global_buffer
      - .actual_access:  read_only
        .address_space:  global
        .offset:         24
        .size:           8
        .value_kind:     global_buffer
      - .actual_access:  read_only
        .address_space:  global
        .offset:         32
        .size:           8
        .value_kind:     global_buffer
      - .offset:         40
        .size:           4
        .value_kind:     by_value
      - .offset:         48
        .size:           8
        .value_kind:     by_value
      - .offset:         56
        .size:           8
        .value_kind:     by_value
      - .offset:         64
        .size:           8
        .value_kind:     by_value
      - .offset:         72
        .size:           8
        .value_kind:     by_value
      - .offset:         80
        .size:           4
        .value_kind:     by_value
      - .actual_access:  write_only
        .address_space:  global
        .offset:         88
        .size:           8
        .value_kind:     global_buffer
      - .actual_access:  read_only
        .address_space:  global
        .offset:         96
        .size:           8
        .value_kind:     global_buffer
      - .offset:         104
        .size:           4
        .value_kind:     by_value
      - .offset:         108
        .size:           4
        .value_kind:     by_value
      - .offset:         112
        .size:           4
        .value_kind:     by_value
      - .offset:         116
        .size:           4
        .value_kind:     by_value
      - .address_space:  global
        .offset:         120
        .size:           8
        .value_kind:     global_buffer
      - .offset:         128
        .size:           4
        .value_kind:     hidden_block_count_x
      - .offset:         132
        .size:           4
        .value_kind:     hidden_block_count_y
      - .offset:         136
        .size:           4
        .value_kind:     hidden_block_count_z
      - .offset:         140
        .size:           2
        .value_kind:     hidden_group_size_x
      - .offset:         142
        .size:           2
        .value_kind:     hidden_group_size_y
      - .offset:         144
        .size:           2
        .value_kind:     hidden_group_size_z
      - .offset:         146
        .size:           2
        .value_kind:     hidden_remainder_x
      - .offset:         148
        .size:           2
        .value_kind:     hidden_remainder_y
      - .offset:         150
        .size:           2
        .value_kind:     hidden_remainder_z
      - .offset:         168
        .size:           8
        .value_kind:     hidden_global_offset_x
      - .offset:         176
        .size:           8
        .value_kind:     hidden_global_offset_y
      - .offset:         184
        .size:           8
        .value_kind:     hidden_global_offset_z
      - .offset:         192
        .size:           2
        .value_kind:     hidden_grid_dims
    .group_segment_fixed_size: 0
    .kernarg_segment_align: 8
    .kernarg_segment_size: 384
    .language:       OpenCL C
    .language_version:
      - 2
      - 0
    .max_flat_workgroup_size: 1024
    .name:           _ZN4vllm38concat_and_cache_mla_rope_fused_kernelIN3c104HalfEfLb1EthLNS_18Fp8KVCacheDataTypeE1EEEvPKlPT_S7_PKS6_PKT0_illlliPT3_S5_iiiiPKf
    .private_segment_fixed_size: 0
    .sgpr_count:     56
    .sgpr_spill_count: 0
    .symbol:         _ZN4vllm38concat_and_cache_mla_rope_fused_kernelIN3c104HalfEfLb1EthLNS_18Fp8KVCacheDataTypeE1EEEvPKlPT_S7_PKS6_PKT0_illlliPT3_S5_iiiiPKf.kd
    .uniform_work_group_size: 1
    .uses_dynamic_stack: false
    .vgpr_count:     28
    .vgpr_spill_count: 0
    .wavefront_size: 64
  - .agpr_count:     0
    .args:
      - .actual_access:  read_only
        .address_space:  global
        .offset:         0
        .size:           8
        .value_kind:     global_buffer
      - .address_space:  global
        .offset:         8
        .size:           8
        .value_kind:     global_buffer
      - .address_space:  global
        .offset:         16
        .size:           8
        .value_kind:     global_buffer
      - .actual_access:  read_only
        .address_space:  global
        .offset:         24
        .size:           8
        .value_kind:     global_buffer
      - .actual_access:  read_only
        .address_space:  global
        .offset:         32
        .size:           8
        .value_kind:     global_buffer
      - .offset:         40
        .size:           4
        .value_kind:     by_value
      - .offset:         48
        .size:           8
        .value_kind:     by_value
      - .offset:         56
        .size:           8
        .value_kind:     by_value
      - .offset:         64
        .size:           8
        .value_kind:     by_value
      - .offset:         72
        .size:           8
        .value_kind:     by_value
      - .offset:         80
        .size:           4
        .value_kind:     by_value
      - .actual_access:  write_only
        .address_space:  global
        .offset:         88
        .size:           8
        .value_kind:     global_buffer
      - .actual_access:  read_only
        .address_space:  global
        .offset:         96
        .size:           8
        .value_kind:     global_buffer
      - .offset:         104
        .size:           4
        .value_kind:     by_value
      - .offset:         108
        .size:           4
        .value_kind:     by_value
      - .offset:         112
        .size:           4
        .value_kind:     by_value
      - .offset:         116
        .size:           4
        .value_kind:     by_value
      - .address_space:  global
        .offset:         120
        .size:           8
        .value_kind:     global_buffer
      - .offset:         128
        .size:           4
        .value_kind:     hidden_block_count_x
      - .offset:         132
        .size:           4
        .value_kind:     hidden_block_count_y
      - .offset:         136
        .size:           4
        .value_kind:     hidden_block_count_z
      - .offset:         140
        .size:           2
        .value_kind:     hidden_group_size_x
      - .offset:         142
        .size:           2
        .value_kind:     hidden_group_size_y
      - .offset:         144
        .size:           2
        .value_kind:     hidden_group_size_z
      - .offset:         146
        .size:           2
        .value_kind:     hidden_remainder_x
      - .offset:         148
        .size:           2
        .value_kind:     hidden_remainder_y
      - .offset:         150
        .size:           2
        .value_kind:     hidden_remainder_z
      - .offset:         168
        .size:           8
        .value_kind:     hidden_global_offset_x
      - .offset:         176
        .size:           8
        .value_kind:     hidden_global_offset_y
      - .offset:         184
        .size:           8
        .value_kind:     hidden_global_offset_z
      - .offset:         192
        .size:           2
        .value_kind:     hidden_grid_dims
    .group_segment_fixed_size: 0
    .kernarg_segment_align: 8
    .kernarg_segment_size: 384
    .language:       OpenCL C
    .language_version:
      - 2
      - 0
    .max_flat_workgroup_size: 1024
    .name:           _ZN4vllm38concat_and_cache_mla_rope_fused_kernelIN3c104HalfEfLb0EthLNS_18Fp8KVCacheDataTypeE1EEEvPKlPT_S7_PKS6_PKT0_illlliPT3_S5_iiiiPKf
    .private_segment_fixed_size: 0
    .sgpr_count:     49
    .sgpr_spill_count: 0
    .symbol:         _ZN4vllm38concat_and_cache_mla_rope_fused_kernelIN3c104HalfEfLb0EthLNS_18Fp8KVCacheDataTypeE1EEEvPKlPT_S7_PKS6_PKT0_illlliPT3_S5_iiiiPKf.kd
    .uniform_work_group_size: 1
    .uses_dynamic_stack: false
    .vgpr_count:     28
    .vgpr_spill_count: 0
    .wavefront_size: 64
  - .agpr_count:     0
    .args:
      - .actual_access:  read_only
        .address_space:  global
        .offset:         0
        .size:           8
        .value_kind:     global_buffer
      - .address_space:  global
        .offset:         8
        .size:           8
        .value_kind:     global_buffer
      - .address_space:  global
        .offset:         16
        .size:           8
        .value_kind:     global_buffer
      - .actual_access:  read_only
        .address_space:  global
        .offset:         24
        .size:           8
        .value_kind:     global_buffer
      - .actual_access:  read_only
        .address_space:  global
        .offset:         32
        .size:           8
        .value_kind:     global_buffer
      - .offset:         40
        .size:           4
        .value_kind:     by_value
      - .offset:         48
        .size:           8
        .value_kind:     by_value
      - .offset:         56
        .size:           8
        .value_kind:     by_value
      - .offset:         64
        .size:           8
        .value_kind:     by_value
      - .offset:         72
        .size:           8
        .value_kind:     by_value
      - .offset:         80
        .size:           4
        .value_kind:     by_value
      - .actual_access:  write_only
        .address_space:  global
        .offset:         88
        .size:           8
        .value_kind:     global_buffer
      - .actual_access:  read_only
        .address_space:  global
        .offset:         96
        .size:           8
        .value_kind:     global_buffer
      - .offset:         104
        .size:           4
        .value_kind:     by_value
      - .offset:         108
        .size:           4
        .value_kind:     by_value
      - .offset:         112
        .size:           4
        .value_kind:     by_value
      - .offset:         116
        .size:           4
        .value_kind:     by_value
      - .address_space:  global
        .offset:         120
        .size:           8
        .value_kind:     global_buffer
      - .offset:         128
        .size:           4
        .value_kind:     hidden_block_count_x
      - .offset:         132
        .size:           4
        .value_kind:     hidden_block_count_y
      - .offset:         136
        .size:           4
        .value_kind:     hidden_block_count_z
      - .offset:         140
        .size:           2
        .value_kind:     hidden_group_size_x
      - .offset:         142
        .size:           2
        .value_kind:     hidden_group_size_y
      - .offset:         144
        .size:           2
        .value_kind:     hidden_group_size_z
      - .offset:         146
        .size:           2
        .value_kind:     hidden_remainder_x
      - .offset:         148
        .size:           2
        .value_kind:     hidden_remainder_y
      - .offset:         150
        .size:           2
        .value_kind:     hidden_remainder_z
      - .offset:         168
        .size:           8
        .value_kind:     hidden_global_offset_x
      - .offset:         176
        .size:           8
        .value_kind:     hidden_global_offset_y
      - .offset:         184
        .size:           8
        .value_kind:     hidden_global_offset_z
      - .offset:         192
        .size:           2
        .value_kind:     hidden_grid_dims
    .group_segment_fixed_size: 0
    .kernarg_segment_align: 8
    .kernarg_segment_size: 384
    .language:       OpenCL C
    .language_version:
      - 2
      - 0
    .max_flat_workgroup_size: 1024
    .name:           _ZN4vllm38concat_and_cache_mla_rope_fused_kernelIN3c104HalfES2_Lb1EthLNS_18Fp8KVCacheDataTypeE1EEEvPKlPT_S7_PKS6_PKT0_illlliPT3_S5_iiiiPKf
    .private_segment_fixed_size: 0
    .sgpr_count:     54
    .sgpr_spill_count: 0
    .symbol:         _ZN4vllm38concat_and_cache_mla_rope_fused_kernelIN3c104HalfES2_Lb1EthLNS_18Fp8KVCacheDataTypeE1EEEvPKlPT_S7_PKS6_PKT0_illlliPT3_S5_iiiiPKf.kd
    .uniform_work_group_size: 1
    .uses_dynamic_stack: false
    .vgpr_count:     26
    .vgpr_spill_count: 0
    .wavefront_size: 64
  - .agpr_count:     0
    .args:
      - .actual_access:  read_only
        .address_space:  global
        .offset:         0
        .size:           8
        .value_kind:     global_buffer
      - .address_space:  global
        .offset:         8
        .size:           8
        .value_kind:     global_buffer
      - .address_space:  global
        .offset:         16
        .size:           8
        .value_kind:     global_buffer
      - .actual_access:  read_only
        .address_space:  global
        .offset:         24
        .size:           8
        .value_kind:     global_buffer
      - .actual_access:  read_only
        .address_space:  global
        .offset:         32
        .size:           8
        .value_kind:     global_buffer
      - .offset:         40
        .size:           4
        .value_kind:     by_value
      - .offset:         48
        .size:           8
        .value_kind:     by_value
      - .offset:         56
        .size:           8
        .value_kind:     by_value
      - .offset:         64
        .size:           8
        .value_kind:     by_value
      - .offset:         72
        .size:           8
        .value_kind:     by_value
      - .offset:         80
        .size:           4
        .value_kind:     by_value
      - .actual_access:  write_only
        .address_space:  global
        .offset:         88
        .size:           8
        .value_kind:     global_buffer
      - .actual_access:  read_only
        .address_space:  global
        .offset:         96
        .size:           8
        .value_kind:     global_buffer
      - .offset:         104
        .size:           4
        .value_kind:     by_value
      - .offset:         108
        .size:           4
        .value_kind:     by_value
      - .offset:         112
        .size:           4
        .value_kind:     by_value
      - .offset:         116
        .size:           4
        .value_kind:     by_value
      - .address_space:  global
        .offset:         120
        .size:           8
        .value_kind:     global_buffer
      - .offset:         128
        .size:           4
        .value_kind:     hidden_block_count_x
      - .offset:         132
        .size:           4
        .value_kind:     hidden_block_count_y
      - .offset:         136
        .size:           4
        .value_kind:     hidden_block_count_z
      - .offset:         140
        .size:           2
        .value_kind:     hidden_group_size_x
      - .offset:         142
        .size:           2
        .value_kind:     hidden_group_size_y
      - .offset:         144
        .size:           2
        .value_kind:     hidden_group_size_z
      - .offset:         146
        .size:           2
        .value_kind:     hidden_remainder_x
      - .offset:         148
        .size:           2
        .value_kind:     hidden_remainder_y
      - .offset:         150
        .size:           2
        .value_kind:     hidden_remainder_z
      - .offset:         168
        .size:           8
        .value_kind:     hidden_global_offset_x
      - .offset:         176
        .size:           8
        .value_kind:     hidden_global_offset_y
      - .offset:         184
        .size:           8
        .value_kind:     hidden_global_offset_z
      - .offset:         192
        .size:           2
        .value_kind:     hidden_grid_dims
    .group_segment_fixed_size: 0
    .kernarg_segment_align: 8
    .kernarg_segment_size: 384
    .language:       OpenCL C
    .language_version:
      - 2
      - 0
    .max_flat_workgroup_size: 1024
    .name:           _ZN4vllm38concat_and_cache_mla_rope_fused_kernelIN3c104HalfES2_Lb0EthLNS_18Fp8KVCacheDataTypeE1EEEvPKlPT_S7_PKS6_PKT0_illlliPT3_S5_iiiiPKf
    .private_segment_fixed_size: 0
    .sgpr_count:     49
    .sgpr_spill_count: 0
    .symbol:         _ZN4vllm38concat_and_cache_mla_rope_fused_kernelIN3c104HalfES2_Lb0EthLNS_18Fp8KVCacheDataTypeE1EEEvPKlPT_S7_PKS6_PKT0_illlliPT3_S5_iiiiPKf.kd
    .uniform_work_group_size: 1
    .uses_dynamic_stack: false
    .vgpr_count:     28
    .vgpr_spill_count: 0
    .wavefront_size: 64
  - .agpr_count:     0
    .args:
      - .actual_access:  read_only
        .address_space:  global
        .offset:         0
        .size:           8
        .value_kind:     global_buffer
      - .address_space:  global
        .offset:         8
        .size:           8
        .value_kind:     global_buffer
      - .address_space:  global
        .offset:         16
        .size:           8
        .value_kind:     global_buffer
      - .actual_access:  read_only
        .address_space:  global
        .offset:         24
        .size:           8
        .value_kind:     global_buffer
      - .actual_access:  read_only
        .address_space:  global
        .offset:         32
        .size:           8
        .value_kind:     global_buffer
      - .offset:         40
        .size:           4
        .value_kind:     by_value
      - .offset:         48
        .size:           8
        .value_kind:     by_value
      - .offset:         56
        .size:           8
        .value_kind:     by_value
      - .offset:         64
        .size:           8
        .value_kind:     by_value
      - .offset:         72
        .size:           8
        .value_kind:     by_value
      - .offset:         80
        .size:           4
        .value_kind:     by_value
      - .actual_access:  write_only
        .address_space:  global
        .offset:         88
        .size:           8
        .value_kind:     global_buffer
      - .actual_access:  read_only
        .address_space:  global
        .offset:         96
        .size:           8
        .value_kind:     global_buffer
      - .offset:         104
        .size:           4
        .value_kind:     by_value
      - .offset:         108
        .size:           4
        .value_kind:     by_value
      - .offset:         112
        .size:           4
        .value_kind:     by_value
      - .offset:         116
        .size:           4
        .value_kind:     by_value
      - .address_space:  global
        .offset:         120
        .size:           8
        .value_kind:     global_buffer
      - .offset:         128
        .size:           4
        .value_kind:     hidden_block_count_x
      - .offset:         132
        .size:           4
        .value_kind:     hidden_block_count_y
      - .offset:         136
        .size:           4
        .value_kind:     hidden_block_count_z
      - .offset:         140
        .size:           2
        .value_kind:     hidden_group_size_x
      - .offset:         142
        .size:           2
        .value_kind:     hidden_group_size_y
      - .offset:         144
        .size:           2
        .value_kind:     hidden_group_size_z
      - .offset:         146
        .size:           2
        .value_kind:     hidden_remainder_x
      - .offset:         148
        .size:           2
        .value_kind:     hidden_remainder_y
      - .offset:         150
        .size:           2
        .value_kind:     hidden_remainder_z
      - .offset:         168
        .size:           8
        .value_kind:     hidden_global_offset_x
      - .offset:         176
        .size:           8
        .value_kind:     hidden_global_offset_y
      - .offset:         184
        .size:           8
        .value_kind:     hidden_global_offset_z
      - .offset:         192
        .size:           2
        .value_kind:     hidden_grid_dims
    .group_segment_fixed_size: 0
    .kernarg_segment_align: 8
    .kernarg_segment_size: 384
    .language:       OpenCL C
    .language_version:
      - 2
      - 0
    .max_flat_workgroup_size: 1024
    .name:           _ZN4vllm38concat_and_cache_mla_rope_fused_kernelIN3c104HalfENS1_8BFloat16ELb1EthLNS_18Fp8KVCacheDataTypeE1EEEvPKlPT_S8_PKS7_PKT0_illlliPT3_S6_iiiiPKf
    .private_segment_fixed_size: 0
    .sgpr_count:     54
    .sgpr_spill_count: 0
    .symbol:         _ZN4vllm38concat_and_cache_mla_rope_fused_kernelIN3c104HalfENS1_8BFloat16ELb1EthLNS_18Fp8KVCacheDataTypeE1EEEvPKlPT_S8_PKS7_PKT0_illlliPT3_S6_iiiiPKf.kd
    .uniform_work_group_size: 1
    .uses_dynamic_stack: false
    .vgpr_count:     26
    .vgpr_spill_count: 0
    .wavefront_size: 64
  - .agpr_count:     0
    .args:
      - .actual_access:  read_only
        .address_space:  global
        .offset:         0
        .size:           8
        .value_kind:     global_buffer
      - .address_space:  global
        .offset:         8
        .size:           8
        .value_kind:     global_buffer
      - .address_space:  global
        .offset:         16
        .size:           8
        .value_kind:     global_buffer
      - .actual_access:  read_only
        .address_space:  global
        .offset:         24
        .size:           8
        .value_kind:     global_buffer
      - .actual_access:  read_only
        .address_space:  global
        .offset:         32
        .size:           8
        .value_kind:     global_buffer
      - .offset:         40
        .size:           4
        .value_kind:     by_value
      - .offset:         48
        .size:           8
        .value_kind:     by_value
      - .offset:         56
        .size:           8
        .value_kind:     by_value
      - .offset:         64
        .size:           8
        .value_kind:     by_value
      - .offset:         72
        .size:           8
        .value_kind:     by_value
      - .offset:         80
        .size:           4
        .value_kind:     by_value
      - .actual_access:  write_only
        .address_space:  global
        .offset:         88
        .size:           8
        .value_kind:     global_buffer
      - .actual_access:  read_only
        .address_space:  global
        .offset:         96
        .size:           8
        .value_kind:     global_buffer
      - .offset:         104
        .size:           4
        .value_kind:     by_value
      - .offset:         108
        .size:           4
        .value_kind:     by_value
      - .offset:         112
        .size:           4
        .value_kind:     by_value
      - .offset:         116
        .size:           4
        .value_kind:     by_value
      - .address_space:  global
        .offset:         120
        .size:           8
        .value_kind:     global_buffer
      - .offset:         128
        .size:           4
        .value_kind:     hidden_block_count_x
      - .offset:         132
        .size:           4
        .value_kind:     hidden_block_count_y
      - .offset:         136
        .size:           4
        .value_kind:     hidden_block_count_z
      - .offset:         140
        .size:           2
        .value_kind:     hidden_group_size_x
      - .offset:         142
        .size:           2
        .value_kind:     hidden_group_size_y
      - .offset:         144
        .size:           2
        .value_kind:     hidden_group_size_z
      - .offset:         146
        .size:           2
        .value_kind:     hidden_remainder_x
      - .offset:         148
        .size:           2
        .value_kind:     hidden_remainder_y
      - .offset:         150
        .size:           2
        .value_kind:     hidden_remainder_z
      - .offset:         168
        .size:           8
        .value_kind:     hidden_global_offset_x
      - .offset:         176
        .size:           8
        .value_kind:     hidden_global_offset_y
      - .offset:         184
        .size:           8
        .value_kind:     hidden_global_offset_z
      - .offset:         192
        .size:           2
        .value_kind:     hidden_grid_dims
    .group_segment_fixed_size: 0
    .kernarg_segment_align: 8
    .kernarg_segment_size: 384
    .language:       OpenCL C
    .language_version:
      - 2
      - 0
    .max_flat_workgroup_size: 1024
    .name:           _ZN4vllm38concat_and_cache_mla_rope_fused_kernelIN3c104HalfENS1_8BFloat16ELb0EthLNS_18Fp8KVCacheDataTypeE1EEEvPKlPT_S8_PKS7_PKT0_illlliPT3_S6_iiiiPKf
    .private_segment_fixed_size: 0
    .sgpr_count:     49
    .sgpr_spill_count: 0
    .symbol:         _ZN4vllm38concat_and_cache_mla_rope_fused_kernelIN3c104HalfENS1_8BFloat16ELb0EthLNS_18Fp8KVCacheDataTypeE1EEEvPKlPT_S8_PKS7_PKT0_illlliPT3_S6_iiiiPKf.kd
    .uniform_work_group_size: 1
    .uses_dynamic_stack: false
    .vgpr_count:     28
    .vgpr_spill_count: 0
    .wavefront_size: 64
  - .agpr_count:     0
    .args:
      - .actual_access:  read_only
        .address_space:  global
        .offset:         0
        .size:           8
        .value_kind:     global_buffer
      - .address_space:  global
        .offset:         8
        .size:           8
        .value_kind:     global_buffer
      - .address_space:  global
        .offset:         16
        .size:           8
        .value_kind:     global_buffer
      - .actual_access:  read_only
        .address_space:  global
        .offset:         24
        .size:           8
        .value_kind:     global_buffer
      - .actual_access:  read_only
        .address_space:  global
        .offset:         32
        .size:           8
        .value_kind:     global_buffer
      - .offset:         40
        .size:           4
        .value_kind:     by_value
      - .offset:         48
        .size:           8
        .value_kind:     by_value
      - .offset:         56
        .size:           8
        .value_kind:     by_value
      - .offset:         64
        .size:           8
        .value_kind:     by_value
      - .offset:         72
        .size:           8
        .value_kind:     by_value
      - .offset:         80
        .size:           4
        .value_kind:     by_value
      - .actual_access:  write_only
        .address_space:  global
        .offset:         88
        .size:           8
        .value_kind:     global_buffer
      - .actual_access:  read_only
        .address_space:  global
        .offset:         96
        .size:           8
        .value_kind:     global_buffer
      - .offset:         104
        .size:           4
        .value_kind:     by_value
      - .offset:         108
        .size:           4
        .value_kind:     by_value
      - .offset:         112
        .size:           4
        .value_kind:     by_value
      - .offset:         116
        .size:           4
        .value_kind:     by_value
      - .address_space:  global
        .offset:         120
        .size:           8
        .value_kind:     global_buffer
      - .offset:         128
        .size:           4
        .value_kind:     hidden_block_count_x
      - .offset:         132
        .size:           4
        .value_kind:     hidden_block_count_y
      - .offset:         136
        .size:           4
        .value_kind:     hidden_block_count_z
      - .offset:         140
        .size:           2
        .value_kind:     hidden_group_size_x
      - .offset:         142
        .size:           2
        .value_kind:     hidden_group_size_y
      - .offset:         144
        .size:           2
        .value_kind:     hidden_group_size_z
      - .offset:         146
        .size:           2
        .value_kind:     hidden_remainder_x
      - .offset:         148
        .size:           2
        .value_kind:     hidden_remainder_y
      - .offset:         150
        .size:           2
        .value_kind:     hidden_remainder_z
      - .offset:         168
        .size:           8
        .value_kind:     hidden_global_offset_x
      - .offset:         176
        .size:           8
        .value_kind:     hidden_global_offset_y
      - .offset:         184
        .size:           8
        .value_kind:     hidden_global_offset_z
      - .offset:         192
        .size:           2
        .value_kind:     hidden_grid_dims
    .group_segment_fixed_size: 0
    .kernarg_segment_align: 8
    .kernarg_segment_size: 384
    .language:       OpenCL C
    .language_version:
      - 2
      - 0
    .max_flat_workgroup_size: 1024
    .name:           _ZN4vllm38concat_and_cache_mla_rope_fused_kernelIN3c108BFloat16EfLb1EthLNS_18Fp8KVCacheDataTypeE1EEEvPKlPT_S7_PKS6_PKT0_illlliPT3_S5_iiiiPKf
    .private_segment_fixed_size: 0
    .sgpr_count:     59
    .sgpr_spill_count: 0
    .symbol:         _ZN4vllm38concat_and_cache_mla_rope_fused_kernelIN3c108BFloat16EfLb1EthLNS_18Fp8KVCacheDataTypeE1EEEvPKlPT_S7_PKS6_PKT0_illlliPT3_S5_iiiiPKf.kd
    .uniform_work_group_size: 1
    .uses_dynamic_stack: false
    .vgpr_count:     30
    .vgpr_spill_count: 0
    .wavefront_size: 64
  - .agpr_count:     0
    .args:
      - .actual_access:  read_only
        .address_space:  global
        .offset:         0
        .size:           8
        .value_kind:     global_buffer
      - .address_space:  global
        .offset:         8
        .size:           8
        .value_kind:     global_buffer
      - .address_space:  global
        .offset:         16
        .size:           8
        .value_kind:     global_buffer
      - .actual_access:  read_only
        .address_space:  global
        .offset:         24
        .size:           8
        .value_kind:     global_buffer
      - .actual_access:  read_only
        .address_space:  global
        .offset:         32
        .size:           8
        .value_kind:     global_buffer
      - .offset:         40
        .size:           4
        .value_kind:     by_value
      - .offset:         48
        .size:           8
        .value_kind:     by_value
      - .offset:         56
        .size:           8
        .value_kind:     by_value
      - .offset:         64
        .size:           8
        .value_kind:     by_value
      - .offset:         72
        .size:           8
        .value_kind:     by_value
      - .offset:         80
        .size:           4
        .value_kind:     by_value
      - .actual_access:  write_only
        .address_space:  global
        .offset:         88
        .size:           8
        .value_kind:     global_buffer
      - .actual_access:  read_only
        .address_space:  global
        .offset:         96
        .size:           8
        .value_kind:     global_buffer
      - .offset:         104
        .size:           4
        .value_kind:     by_value
      - .offset:         108
        .size:           4
        .value_kind:     by_value
      - .offset:         112
        .size:           4
        .value_kind:     by_value
      - .offset:         116
        .size:           4
        .value_kind:     by_value
      - .address_space:  global
        .offset:         120
        .size:           8
        .value_kind:     global_buffer
      - .offset:         128
        .size:           4
        .value_kind:     hidden_block_count_x
      - .offset:         132
        .size:           4
        .value_kind:     hidden_block_count_y
      - .offset:         136
        .size:           4
        .value_kind:     hidden_block_count_z
      - .offset:         140
        .size:           2
        .value_kind:     hidden_group_size_x
      - .offset:         142
        .size:           2
        .value_kind:     hidden_group_size_y
      - .offset:         144
        .size:           2
        .value_kind:     hidden_group_size_z
      - .offset:         146
        .size:           2
        .value_kind:     hidden_remainder_x
      - .offset:         148
        .size:           2
        .value_kind:     hidden_remainder_y
      - .offset:         150
        .size:           2
        .value_kind:     hidden_remainder_z
      - .offset:         168
        .size:           8
        .value_kind:     hidden_global_offset_x
      - .offset:         176
        .size:           8
        .value_kind:     hidden_global_offset_y
      - .offset:         184
        .size:           8
        .value_kind:     hidden_global_offset_z
      - .offset:         192
        .size:           2
        .value_kind:     hidden_grid_dims
    .group_segment_fixed_size: 0
    .kernarg_segment_align: 8
    .kernarg_segment_size: 384
    .language:       OpenCL C
    .language_version:
      - 2
      - 0
    .max_flat_workgroup_size: 1024
    .name:           _ZN4vllm38concat_and_cache_mla_rope_fused_kernelIN3c108BFloat16EfLb0EthLNS_18Fp8KVCacheDataTypeE1EEEvPKlPT_S7_PKS6_PKT0_illlliPT3_S5_iiiiPKf
    .private_segment_fixed_size: 0
    .sgpr_count:     51
    .sgpr_spill_count: 0
    .symbol:         _ZN4vllm38concat_and_cache_mla_rope_fused_kernelIN3c108BFloat16EfLb0EthLNS_18Fp8KVCacheDataTypeE1EEEvPKlPT_S7_PKS6_PKT0_illlliPT3_S5_iiiiPKf.kd
    .uniform_work_group_size: 1
    .uses_dynamic_stack: false
    .vgpr_count:     30
    .vgpr_spill_count: 0
    .wavefront_size: 64
  - .agpr_count:     0
    .args:
      - .actual_access:  read_only
        .address_space:  global
        .offset:         0
        .size:           8
        .value_kind:     global_buffer
      - .address_space:  global
        .offset:         8
        .size:           8
        .value_kind:     global_buffer
      - .address_space:  global
        .offset:         16
        .size:           8
        .value_kind:     global_buffer
      - .actual_access:  read_only
        .address_space:  global
        .offset:         24
        .size:           8
        .value_kind:     global_buffer
      - .actual_access:  read_only
        .address_space:  global
        .offset:         32
        .size:           8
        .value_kind:     global_buffer
      - .offset:         40
        .size:           4
        .value_kind:     by_value
      - .offset:         48
        .size:           8
        .value_kind:     by_value
      - .offset:         56
        .size:           8
        .value_kind:     by_value
      - .offset:         64
        .size:           8
        .value_kind:     by_value
      - .offset:         72
        .size:           8
        .value_kind:     by_value
      - .offset:         80
        .size:           4
        .value_kind:     by_value
      - .actual_access:  write_only
        .address_space:  global
        .offset:         88
        .size:           8
        .value_kind:     global_buffer
      - .actual_access:  read_only
        .address_space:  global
        .offset:         96
        .size:           8
        .value_kind:     global_buffer
      - .offset:         104
        .size:           4
        .value_kind:     by_value
      - .offset:         108
        .size:           4
        .value_kind:     by_value
      - .offset:         112
        .size:           4
        .value_kind:     by_value
      - .offset:         116
        .size:           4
        .value_kind:     by_value
      - .address_space:  global
        .offset:         120
        .size:           8
        .value_kind:     global_buffer
      - .offset:         128
        .size:           4
        .value_kind:     hidden_block_count_x
      - .offset:         132
        .size:           4
        .value_kind:     hidden_block_count_y
      - .offset:         136
        .size:           4
        .value_kind:     hidden_block_count_z
      - .offset:         140
        .size:           2
        .value_kind:     hidden_group_size_x
      - .offset:         142
        .size:           2
        .value_kind:     hidden_group_size_y
      - .offset:         144
        .size:           2
        .value_kind:     hidden_group_size_z
      - .offset:         146
        .size:           2
        .value_kind:     hidden_remainder_x
      - .offset:         148
        .size:           2
        .value_kind:     hidden_remainder_y
      - .offset:         150
        .size:           2
        .value_kind:     hidden_remainder_z
      - .offset:         168
        .size:           8
        .value_kind:     hidden_global_offset_x
      - .offset:         176
        .size:           8
        .value_kind:     hidden_global_offset_y
      - .offset:         184
        .size:           8
        .value_kind:     hidden_global_offset_z
      - .offset:         192
        .size:           2
        .value_kind:     hidden_grid_dims
    .group_segment_fixed_size: 0
    .kernarg_segment_align: 8
    .kernarg_segment_size: 384
    .language:       OpenCL C
    .language_version:
      - 2
      - 0
    .max_flat_workgroup_size: 1024
    .name:           _ZN4vllm38concat_and_cache_mla_rope_fused_kernelIN3c108BFloat16ENS1_4HalfELb1EthLNS_18Fp8KVCacheDataTypeE1EEEvPKlPT_S8_PKS7_PKT0_illlliPT3_S6_iiiiPKf
    .private_segment_fixed_size: 0
    .sgpr_count:     56
    .sgpr_spill_count: 0
    .symbol:         _ZN4vllm38concat_and_cache_mla_rope_fused_kernelIN3c108BFloat16ENS1_4HalfELb1EthLNS_18Fp8KVCacheDataTypeE1EEEvPKlPT_S8_PKS7_PKT0_illlliPT3_S6_iiiiPKf.kd
    .uniform_work_group_size: 1
    .uses_dynamic_stack: false
    .vgpr_count:     28
    .vgpr_spill_count: 0
    .wavefront_size: 64
  - .agpr_count:     0
    .args:
      - .actual_access:  read_only
        .address_space:  global
        .offset:         0
        .size:           8
        .value_kind:     global_buffer
      - .address_space:  global
        .offset:         8
        .size:           8
        .value_kind:     global_buffer
      - .address_space:  global
        .offset:         16
        .size:           8
        .value_kind:     global_buffer
      - .actual_access:  read_only
        .address_space:  global
        .offset:         24
        .size:           8
        .value_kind:     global_buffer
      - .actual_access:  read_only
        .address_space:  global
        .offset:         32
        .size:           8
        .value_kind:     global_buffer
      - .offset:         40
        .size:           4
        .value_kind:     by_value
      - .offset:         48
        .size:           8
        .value_kind:     by_value
      - .offset:         56
        .size:           8
        .value_kind:     by_value
      - .offset:         64
        .size:           8
        .value_kind:     by_value
      - .offset:         72
        .size:           8
        .value_kind:     by_value
      - .offset:         80
        .size:           4
        .value_kind:     by_value
      - .actual_access:  write_only
        .address_space:  global
        .offset:         88
        .size:           8
        .value_kind:     global_buffer
      - .actual_access:  read_only
        .address_space:  global
        .offset:         96
        .size:           8
        .value_kind:     global_buffer
      - .offset:         104
        .size:           4
        .value_kind:     by_value
      - .offset:         108
        .size:           4
        .value_kind:     by_value
      - .offset:         112
        .size:           4
        .value_kind:     by_value
      - .offset:         116
        .size:           4
        .value_kind:     by_value
      - .address_space:  global
        .offset:         120
        .size:           8
        .value_kind:     global_buffer
      - .offset:         128
        .size:           4
        .value_kind:     hidden_block_count_x
      - .offset:         132
        .size:           4
        .value_kind:     hidden_block_count_y
      - .offset:         136
        .size:           4
        .value_kind:     hidden_block_count_z
      - .offset:         140
        .size:           2
        .value_kind:     hidden_group_size_x
      - .offset:         142
        .size:           2
        .value_kind:     hidden_group_size_y
      - .offset:         144
        .size:           2
        .value_kind:     hidden_group_size_z
      - .offset:         146
        .size:           2
        .value_kind:     hidden_remainder_x
      - .offset:         148
        .size:           2
        .value_kind:     hidden_remainder_y
      - .offset:         150
        .size:           2
        .value_kind:     hidden_remainder_z
      - .offset:         168
        .size:           8
        .value_kind:     hidden_global_offset_x
      - .offset:         176
        .size:           8
        .value_kind:     hidden_global_offset_y
      - .offset:         184
        .size:           8
        .value_kind:     hidden_global_offset_z
      - .offset:         192
        .size:           2
        .value_kind:     hidden_grid_dims
    .group_segment_fixed_size: 0
    .kernarg_segment_align: 8
    .kernarg_segment_size: 384
    .language:       OpenCL C
    .language_version:
      - 2
      - 0
    .max_flat_workgroup_size: 1024
    .name:           _ZN4vllm38concat_and_cache_mla_rope_fused_kernelIN3c108BFloat16ENS1_4HalfELb0EthLNS_18Fp8KVCacheDataTypeE1EEEvPKlPT_S8_PKS7_PKT0_illlliPT3_S6_iiiiPKf
    .private_segment_fixed_size: 0
    .sgpr_count:     51
    .sgpr_spill_count: 0
    .symbol:         _ZN4vllm38concat_and_cache_mla_rope_fused_kernelIN3c108BFloat16ENS1_4HalfELb0EthLNS_18Fp8KVCacheDataTypeE1EEEvPKlPT_S8_PKS7_PKT0_illlliPT3_S6_iiiiPKf.kd
    .uniform_work_group_size: 1
    .uses_dynamic_stack: false
    .vgpr_count:     30
    .vgpr_spill_count: 0
    .wavefront_size: 64
  - .agpr_count:     0
    .args:
      - .actual_access:  read_only
        .address_space:  global
        .offset:         0
        .size:           8
        .value_kind:     global_buffer
      - .address_space:  global
        .offset:         8
        .size:           8
        .value_kind:     global_buffer
      - .address_space:  global
        .offset:         16
        .size:           8
        .value_kind:     global_buffer
      - .actual_access:  read_only
        .address_space:  global
        .offset:         24
        .size:           8
        .value_kind:     global_buffer
      - .actual_access:  read_only
        .address_space:  global
        .offset:         32
        .size:           8
        .value_kind:     global_buffer
      - .offset:         40
        .size:           4
        .value_kind:     by_value
      - .offset:         48
        .size:           8
        .value_kind:     by_value
      - .offset:         56
        .size:           8
        .value_kind:     by_value
      - .offset:         64
        .size:           8
        .value_kind:     by_value
      - .offset:         72
        .size:           8
        .value_kind:     by_value
      - .offset:         80
        .size:           4
        .value_kind:     by_value
      - .actual_access:  write_only
        .address_space:  global
        .offset:         88
        .size:           8
        .value_kind:     global_buffer
      - .actual_access:  read_only
        .address_space:  global
        .offset:         96
        .size:           8
        .value_kind:     global_buffer
      - .offset:         104
        .size:           4
        .value_kind:     by_value
      - .offset:         108
        .size:           4
        .value_kind:     by_value
      - .offset:         112
        .size:           4
        .value_kind:     by_value
      - .offset:         116
        .size:           4
        .value_kind:     by_value
      - .address_space:  global
        .offset:         120
        .size:           8
        .value_kind:     global_buffer
      - .offset:         128
        .size:           4
        .value_kind:     hidden_block_count_x
      - .offset:         132
        .size:           4
        .value_kind:     hidden_block_count_y
      - .offset:         136
        .size:           4
        .value_kind:     hidden_block_count_z
      - .offset:         140
        .size:           2
        .value_kind:     hidden_group_size_x
      - .offset:         142
        .size:           2
        .value_kind:     hidden_group_size_y
      - .offset:         144
        .size:           2
        .value_kind:     hidden_group_size_z
      - .offset:         146
        .size:           2
        .value_kind:     hidden_remainder_x
      - .offset:         148
        .size:           2
        .value_kind:     hidden_remainder_y
      - .offset:         150
        .size:           2
        .value_kind:     hidden_remainder_z
      - .offset:         168
        .size:           8
        .value_kind:     hidden_global_offset_x
      - .offset:         176
        .size:           8
        .value_kind:     hidden_global_offset_y
      - .offset:         184
        .size:           8
        .value_kind:     hidden_global_offset_z
      - .offset:         192
        .size:           2
        .value_kind:     hidden_grid_dims
    .group_segment_fixed_size: 0
    .kernarg_segment_align: 8
    .kernarg_segment_size: 384
    .language:       OpenCL C
    .language_version:
      - 2
      - 0
    .max_flat_workgroup_size: 1024
    .name:           _ZN4vllm38concat_and_cache_mla_rope_fused_kernelIN3c108BFloat16ES2_Lb1EthLNS_18Fp8KVCacheDataTypeE1EEEvPKlPT_S7_PKS6_PKT0_illlliPT3_S5_iiiiPKf
    .private_segment_fixed_size: 0
    .sgpr_count:     54
    .sgpr_spill_count: 0
    .symbol:         _ZN4vllm38concat_and_cache_mla_rope_fused_kernelIN3c108BFloat16ES2_Lb1EthLNS_18Fp8KVCacheDataTypeE1EEEvPKlPT_S7_PKS6_PKT0_illlliPT3_S5_iiiiPKf.kd
    .uniform_work_group_size: 1
    .uses_dynamic_stack: false
    .vgpr_count:     28
    .vgpr_spill_count: 0
    .wavefront_size: 64
  - .agpr_count:     0
    .args:
      - .actual_access:  read_only
        .address_space:  global
        .offset:         0
        .size:           8
        .value_kind:     global_buffer
      - .address_space:  global
        .offset:         8
        .size:           8
        .value_kind:     global_buffer
      - .address_space:  global
        .offset:         16
        .size:           8
        .value_kind:     global_buffer
      - .actual_access:  read_only
        .address_space:  global
        .offset:         24
        .size:           8
        .value_kind:     global_buffer
      - .actual_access:  read_only
        .address_space:  global
        .offset:         32
        .size:           8
        .value_kind:     global_buffer
      - .offset:         40
        .size:           4
        .value_kind:     by_value
      - .offset:         48
        .size:           8
        .value_kind:     by_value
      - .offset:         56
        .size:           8
        .value_kind:     by_value
      - .offset:         64
        .size:           8
        .value_kind:     by_value
      - .offset:         72
        .size:           8
        .value_kind:     by_value
      - .offset:         80
        .size:           4
        .value_kind:     by_value
      - .actual_access:  write_only
        .address_space:  global
        .offset:         88
        .size:           8
        .value_kind:     global_buffer
      - .actual_access:  read_only
        .address_space:  global
        .offset:         96
        .size:           8
        .value_kind:     global_buffer
      - .offset:         104
        .size:           4
        .value_kind:     by_value
      - .offset:         108
        .size:           4
        .value_kind:     by_value
      - .offset:         112
        .size:           4
        .value_kind:     by_value
      - .offset:         116
        .size:           4
        .value_kind:     by_value
      - .address_space:  global
        .offset:         120
        .size:           8
        .value_kind:     global_buffer
      - .offset:         128
        .size:           4
        .value_kind:     hidden_block_count_x
      - .offset:         132
        .size:           4
        .value_kind:     hidden_block_count_y
      - .offset:         136
        .size:           4
        .value_kind:     hidden_block_count_z
      - .offset:         140
        .size:           2
        .value_kind:     hidden_group_size_x
      - .offset:         142
        .size:           2
        .value_kind:     hidden_group_size_y
      - .offset:         144
        .size:           2
        .value_kind:     hidden_group_size_z
      - .offset:         146
        .size:           2
        .value_kind:     hidden_remainder_x
      - .offset:         148
        .size:           2
        .value_kind:     hidden_remainder_y
      - .offset:         150
        .size:           2
        .value_kind:     hidden_remainder_z
      - .offset:         168
        .size:           8
        .value_kind:     hidden_global_offset_x
      - .offset:         176
        .size:           8
        .value_kind:     hidden_global_offset_y
      - .offset:         184
        .size:           8
        .value_kind:     hidden_global_offset_z
      - .offset:         192
        .size:           2
        .value_kind:     hidden_grid_dims
    .group_segment_fixed_size: 0
    .kernarg_segment_align: 8
    .kernarg_segment_size: 384
    .language:       OpenCL C
    .language_version:
      - 2
      - 0
    .max_flat_workgroup_size: 1024
    .name:           _ZN4vllm38concat_and_cache_mla_rope_fused_kernelIN3c108BFloat16ES2_Lb0EthLNS_18Fp8KVCacheDataTypeE1EEEvPKlPT_S7_PKS6_PKT0_illlliPT3_S5_iiiiPKf
    .private_segment_fixed_size: 0
    .sgpr_count:     50
    .sgpr_spill_count: 0
    .symbol:         _ZN4vllm38concat_and_cache_mla_rope_fused_kernelIN3c108BFloat16ES2_Lb0EthLNS_18Fp8KVCacheDataTypeE1EEEvPKlPT_S7_PKS6_PKT0_illlliPT3_S5_iiiiPKf.kd
    .uniform_work_group_size: 1
    .uses_dynamic_stack: false
    .vgpr_count:     25
    .vgpr_spill_count: 0
    .wavefront_size: 64
  - .agpr_count:     0
    .args:
      - .actual_access:  read_only
        .address_space:  global
        .offset:         0
        .size:           8
        .value_kind:     global_buffer
      - .address_space:  global
        .offset:         8
        .size:           8
        .value_kind:     global_buffer
      - .address_space:  global
        .offset:         16
        .size:           8
        .value_kind:     global_buffer
      - .actual_access:  read_only
        .address_space:  global
        .offset:         24
        .size:           8
        .value_kind:     global_buffer
      - .actual_access:  read_only
        .address_space:  global
        .offset:         32
        .size:           8
        .value_kind:     global_buffer
      - .offset:         40
        .size:           4
        .value_kind:     by_value
      - .offset:         48
        .size:           8
        .value_kind:     by_value
      - .offset:         56
        .size:           8
        .value_kind:     by_value
      - .offset:         64
        .size:           8
        .value_kind:     by_value
      - .offset:         72
        .size:           8
        .value_kind:     by_value
      - .offset:         80
        .size:           4
        .value_kind:     by_value
      - .actual_access:  write_only
        .address_space:  global
        .offset:         88
        .size:           8
        .value_kind:     global_buffer
      - .actual_access:  read_only
        .address_space:  global
        .offset:         96
        .size:           8
        .value_kind:     global_buffer
      - .offset:         104
        .size:           4
        .value_kind:     by_value
      - .offset:         108
        .size:           4
        .value_kind:     by_value
      - .offset:         112
        .size:           4
        .value_kind:     by_value
      - .offset:         116
        .size:           4
        .value_kind:     by_value
      - .address_space:  global
        .offset:         120
        .size:           8
        .value_kind:     global_buffer
      - .offset:         128
        .size:           4
        .value_kind:     hidden_block_count_x
      - .offset:         132
        .size:           4
        .value_kind:     hidden_block_count_y
      - .offset:         136
        .size:           4
        .value_kind:     hidden_block_count_z
      - .offset:         140
        .size:           2
        .value_kind:     hidden_group_size_x
      - .offset:         142
        .size:           2
        .value_kind:     hidden_group_size_y
      - .offset:         144
        .size:           2
        .value_kind:     hidden_group_size_z
      - .offset:         146
        .size:           2
        .value_kind:     hidden_remainder_x
      - .offset:         148
        .size:           2
        .value_kind:     hidden_remainder_y
      - .offset:         150
        .size:           2
        .value_kind:     hidden_remainder_z
      - .offset:         168
        .size:           8
        .value_kind:     hidden_global_offset_x
      - .offset:         176
        .size:           8
        .value_kind:     hidden_global_offset_y
      - .offset:         184
        .size:           8
        .value_kind:     hidden_global_offset_z
      - .offset:         192
        .size:           2
        .value_kind:     hidden_grid_dims
    .group_segment_fixed_size: 0
    .kernarg_segment_align: 8
    .kernarg_segment_size: 384
    .language:       OpenCL C
    .language_version:
      - 2
      - 0
    .max_flat_workgroup_size: 1024
    .name:           _ZN4vllm38concat_and_cache_mla_rope_fused_kernelIffLb1E14__hip_bfloat16hLNS_18Fp8KVCacheDataTypeE1EEEvPKlPT_S6_PKS5_PKT0_illlliPT3_S4_iiiiPKf
    .private_segment_fixed_size: 0
    .sgpr_count:     54
    .sgpr_spill_count: 0
    .symbol:         _ZN4vllm38concat_and_cache_mla_rope_fused_kernelIffLb1E14__hip_bfloat16hLNS_18Fp8KVCacheDataTypeE1EEEvPKlPT_S6_PKS5_PKT0_illlliPT3_S4_iiiiPKf.kd
    .uniform_work_group_size: 1
    .uses_dynamic_stack: false
    .vgpr_count:     26
    .vgpr_spill_count: 0
    .wavefront_size: 64
  - .agpr_count:     0
    .args:
      - .actual_access:  read_only
        .address_space:  global
        .offset:         0
        .size:           8
        .value_kind:     global_buffer
      - .address_space:  global
        .offset:         8
        .size:           8
        .value_kind:     global_buffer
      - .address_space:  global
        .offset:         16
        .size:           8
        .value_kind:     global_buffer
      - .actual_access:  read_only
        .address_space:  global
        .offset:         24
        .size:           8
        .value_kind:     global_buffer
      - .actual_access:  read_only
        .address_space:  global
        .offset:         32
        .size:           8
        .value_kind:     global_buffer
      - .offset:         40
        .size:           4
        .value_kind:     by_value
      - .offset:         48
        .size:           8
        .value_kind:     by_value
      - .offset:         56
        .size:           8
        .value_kind:     by_value
      - .offset:         64
        .size:           8
        .value_kind:     by_value
      - .offset:         72
        .size:           8
        .value_kind:     by_value
      - .offset:         80
        .size:           4
        .value_kind:     by_value
      - .actual_access:  write_only
        .address_space:  global
        .offset:         88
        .size:           8
        .value_kind:     global_buffer
      - .actual_access:  read_only
        .address_space:  global
        .offset:         96
        .size:           8
        .value_kind:     global_buffer
      - .offset:         104
        .size:           4
        .value_kind:     by_value
      - .offset:         108
        .size:           4
        .value_kind:     by_value
      - .offset:         112
        .size:           4
        .value_kind:     by_value
      - .offset:         116
        .size:           4
        .value_kind:     by_value
      - .address_space:  global
        .offset:         120
        .size:           8
        .value_kind:     global_buffer
      - .offset:         128
        .size:           4
        .value_kind:     hidden_block_count_x
      - .offset:         132
        .size:           4
        .value_kind:     hidden_block_count_y
      - .offset:         136
        .size:           4
        .value_kind:     hidden_block_count_z
      - .offset:         140
        .size:           2
        .value_kind:     hidden_group_size_x
      - .offset:         142
        .size:           2
        .value_kind:     hidden_group_size_y
      - .offset:         144
        .size:           2
        .value_kind:     hidden_group_size_z
      - .offset:         146
        .size:           2
        .value_kind:     hidden_remainder_x
      - .offset:         148
        .size:           2
        .value_kind:     hidden_remainder_y
      - .offset:         150
        .size:           2
        .value_kind:     hidden_remainder_z
      - .offset:         168
        .size:           8
        .value_kind:     hidden_global_offset_x
      - .offset:         176
        .size:           8
        .value_kind:     hidden_global_offset_y
      - .offset:         184
        .size:           8
        .value_kind:     hidden_global_offset_z
      - .offset:         192
        .size:           2
        .value_kind:     hidden_grid_dims
    .group_segment_fixed_size: 0
    .kernarg_segment_align: 8
    .kernarg_segment_size: 384
    .language:       OpenCL C
    .language_version:
      - 2
      - 0
    .max_flat_workgroup_size: 1024
    .name:           _ZN4vllm38concat_and_cache_mla_rope_fused_kernelIffLb0E14__hip_bfloat16hLNS_18Fp8KVCacheDataTypeE1EEEvPKlPT_S6_PKS5_PKT0_illlliPT3_S4_iiiiPKf
    .private_segment_fixed_size: 0
    .sgpr_count:     50
    .sgpr_spill_count: 0
    .symbol:         _ZN4vllm38concat_and_cache_mla_rope_fused_kernelIffLb0E14__hip_bfloat16hLNS_18Fp8KVCacheDataTypeE1EEEvPKlPT_S6_PKS5_PKT0_illlliPT3_S4_iiiiPKf.kd
    .uniform_work_group_size: 1
    .uses_dynamic_stack: false
    .vgpr_count:     23
    .vgpr_spill_count: 0
    .wavefront_size: 64
  - .agpr_count:     0
    .args:
      - .actual_access:  read_only
        .address_space:  global
        .offset:         0
        .size:           8
        .value_kind:     global_buffer
      - .address_space:  global
        .offset:         8
        .size:           8
        .value_kind:     global_buffer
      - .address_space:  global
        .offset:         16
        .size:           8
        .value_kind:     global_buffer
      - .actual_access:  read_only
        .address_space:  global
        .offset:         24
        .size:           8
        .value_kind:     global_buffer
      - .actual_access:  read_only
        .address_space:  global
        .offset:         32
        .size:           8
        .value_kind:     global_buffer
      - .offset:         40
        .size:           4
        .value_kind:     by_value
      - .offset:         48
        .size:           8
        .value_kind:     by_value
      - .offset:         56
        .size:           8
        .value_kind:     by_value
      - .offset:         64
        .size:           8
        .value_kind:     by_value
      - .offset:         72
        .size:           8
        .value_kind:     by_value
      - .offset:         80
        .size:           4
        .value_kind:     by_value
      - .actual_access:  write_only
        .address_space:  global
        .offset:         88
        .size:           8
        .value_kind:     global_buffer
      - .actual_access:  read_only
        .address_space:  global
        .offset:         96
        .size:           8
        .value_kind:     global_buffer
      - .offset:         104
        .size:           4
        .value_kind:     by_value
      - .offset:         108
        .size:           4
        .value_kind:     by_value
      - .offset:         112
        .size:           4
        .value_kind:     by_value
      - .offset:         116
        .size:           4
        .value_kind:     by_value
      - .address_space:  global
        .offset:         120
        .size:           8
        .value_kind:     global_buffer
      - .offset:         128
        .size:           4
        .value_kind:     hidden_block_count_x
      - .offset:         132
        .size:           4
        .value_kind:     hidden_block_count_y
      - .offset:         136
        .size:           4
        .value_kind:     hidden_block_count_z
      - .offset:         140
        .size:           2
        .value_kind:     hidden_group_size_x
      - .offset:         142
        .size:           2
        .value_kind:     hidden_group_size_y
      - .offset:         144
        .size:           2
        .value_kind:     hidden_group_size_z
      - .offset:         146
        .size:           2
        .value_kind:     hidden_remainder_x
      - .offset:         148
        .size:           2
        .value_kind:     hidden_remainder_y
      - .offset:         150
        .size:           2
        .value_kind:     hidden_remainder_z
      - .offset:         168
        .size:           8
        .value_kind:     hidden_global_offset_x
      - .offset:         176
        .size:           8
        .value_kind:     hidden_global_offset_y
      - .offset:         184
        .size:           8
        .value_kind:     hidden_global_offset_z
      - .offset:         192
        .size:           2
        .value_kind:     hidden_grid_dims
    .group_segment_fixed_size: 0
    .kernarg_segment_align: 8
    .kernarg_segment_size: 384
    .language:       OpenCL C
    .language_version:
      - 2
      - 0
    .max_flat_workgroup_size: 1024
    .name:           _ZN4vllm38concat_and_cache_mla_rope_fused_kernelIfN3c104HalfELb1E14__hip_bfloat16hLNS_18Fp8KVCacheDataTypeE1EEEvPKlPT_S8_PKS7_PKT0_illlliPT3_S6_iiiiPKf
    .private_segment_fixed_size: 0
    .sgpr_count:     56
    .sgpr_spill_count: 0
    .symbol:         _ZN4vllm38concat_and_cache_mla_rope_fused_kernelIfN3c104HalfELb1E14__hip_bfloat16hLNS_18Fp8KVCacheDataTypeE1EEEvPKlPT_S8_PKS7_PKT0_illlliPT3_S6_iiiiPKf.kd
    .uniform_work_group_size: 1
    .uses_dynamic_stack: false
    .vgpr_count:     28
    .vgpr_spill_count: 0
    .wavefront_size: 64
  - .agpr_count:     0
    .args:
      - .actual_access:  read_only
        .address_space:  global
        .offset:         0
        .size:           8
        .value_kind:     global_buffer
      - .address_space:  global
        .offset:         8
        .size:           8
        .value_kind:     global_buffer
      - .address_space:  global
        .offset:         16
        .size:           8
        .value_kind:     global_buffer
      - .actual_access:  read_only
        .address_space:  global
        .offset:         24
        .size:           8
        .value_kind:     global_buffer
      - .actual_access:  read_only
        .address_space:  global
        .offset:         32
        .size:           8
        .value_kind:     global_buffer
      - .offset:         40
        .size:           4
        .value_kind:     by_value
      - .offset:         48
        .size:           8
        .value_kind:     by_value
      - .offset:         56
        .size:           8
        .value_kind:     by_value
      - .offset:         64
        .size:           8
        .value_kind:     by_value
      - .offset:         72
        .size:           8
        .value_kind:     by_value
      - .offset:         80
        .size:           4
        .value_kind:     by_value
      - .actual_access:  write_only
        .address_space:  global
        .offset:         88
        .size:           8
        .value_kind:     global_buffer
      - .actual_access:  read_only
        .address_space:  global
        .offset:         96
        .size:           8
        .value_kind:     global_buffer
      - .offset:         104
        .size:           4
        .value_kind:     by_value
      - .offset:         108
        .size:           4
        .value_kind:     by_value
      - .offset:         112
        .size:           4
        .value_kind:     by_value
      - .offset:         116
        .size:           4
        .value_kind:     by_value
      - .address_space:  global
        .offset:         120
        .size:           8
        .value_kind:     global_buffer
      - .offset:         128
        .size:           4
        .value_kind:     hidden_block_count_x
      - .offset:         132
        .size:           4
        .value_kind:     hidden_block_count_y
      - .offset:         136
        .size:           4
        .value_kind:     hidden_block_count_z
      - .offset:         140
        .size:           2
        .value_kind:     hidden_group_size_x
      - .offset:         142
        .size:           2
        .value_kind:     hidden_group_size_y
      - .offset:         144
        .size:           2
        .value_kind:     hidden_group_size_z
      - .offset:         146
        .size:           2
        .value_kind:     hidden_remainder_x
      - .offset:         148
        .size:           2
        .value_kind:     hidden_remainder_y
      - .offset:         150
        .size:           2
        .value_kind:     hidden_remainder_z
      - .offset:         168
        .size:           8
        .value_kind:     hidden_global_offset_x
      - .offset:         176
        .size:           8
        .value_kind:     hidden_global_offset_y
      - .offset:         184
        .size:           8
        .value_kind:     hidden_global_offset_z
      - .offset:         192
        .size:           2
        .value_kind:     hidden_grid_dims
    .group_segment_fixed_size: 0
    .kernarg_segment_align: 8
    .kernarg_segment_size: 384
    .language:       OpenCL C
    .language_version:
      - 2
      - 0
    .max_flat_workgroup_size: 1024
    .name:           _ZN4vllm38concat_and_cache_mla_rope_fused_kernelIfN3c104HalfELb0E14__hip_bfloat16hLNS_18Fp8KVCacheDataTypeE1EEEvPKlPT_S8_PKS7_PKT0_illlliPT3_S6_iiiiPKf
    .private_segment_fixed_size: 0
    .sgpr_count:     49
    .sgpr_spill_count: 0
    .symbol:         _ZN4vllm38concat_and_cache_mla_rope_fused_kernelIfN3c104HalfELb0E14__hip_bfloat16hLNS_18Fp8KVCacheDataTypeE1EEEvPKlPT_S8_PKS7_PKT0_illlliPT3_S6_iiiiPKf.kd
    .uniform_work_group_size: 1
    .uses_dynamic_stack: false
    .vgpr_count:     29
    .vgpr_spill_count: 0
    .wavefront_size: 64
  - .agpr_count:     0
    .args:
      - .actual_access:  read_only
        .address_space:  global
        .offset:         0
        .size:           8
        .value_kind:     global_buffer
      - .address_space:  global
        .offset:         8
        .size:           8
        .value_kind:     global_buffer
      - .address_space:  global
        .offset:         16
        .size:           8
        .value_kind:     global_buffer
      - .actual_access:  read_only
        .address_space:  global
        .offset:         24
        .size:           8
        .value_kind:     global_buffer
      - .actual_access:  read_only
        .address_space:  global
        .offset:         32
        .size:           8
        .value_kind:     global_buffer
      - .offset:         40
        .size:           4
        .value_kind:     by_value
      - .offset:         48
        .size:           8
        .value_kind:     by_value
      - .offset:         56
        .size:           8
        .value_kind:     by_value
      - .offset:         64
        .size:           8
        .value_kind:     by_value
      - .offset:         72
        .size:           8
        .value_kind:     by_value
      - .offset:         80
        .size:           4
        .value_kind:     by_value
      - .actual_access:  write_only
        .address_space:  global
        .offset:         88
        .size:           8
        .value_kind:     global_buffer
      - .actual_access:  read_only
        .address_space:  global
        .offset:         96
        .size:           8
        .value_kind:     global_buffer
      - .offset:         104
        .size:           4
        .value_kind:     by_value
      - .offset:         108
        .size:           4
        .value_kind:     by_value
      - .offset:         112
        .size:           4
        .value_kind:     by_value
      - .offset:         116
        .size:           4
        .value_kind:     by_value
      - .address_space:  global
        .offset:         120
        .size:           8
        .value_kind:     global_buffer
      - .offset:         128
        .size:           4
        .value_kind:     hidden_block_count_x
      - .offset:         132
        .size:           4
        .value_kind:     hidden_block_count_y
      - .offset:         136
        .size:           4
        .value_kind:     hidden_block_count_z
      - .offset:         140
        .size:           2
        .value_kind:     hidden_group_size_x
      - .offset:         142
        .size:           2
        .value_kind:     hidden_group_size_y
      - .offset:         144
        .size:           2
        .value_kind:     hidden_group_size_z
      - .offset:         146
        .size:           2
        .value_kind:     hidden_remainder_x
      - .offset:         148
        .size:           2
        .value_kind:     hidden_remainder_y
      - .offset:         150
        .size:           2
        .value_kind:     hidden_remainder_z
      - .offset:         168
        .size:           8
        .value_kind:     hidden_global_offset_x
      - .offset:         176
        .size:           8
        .value_kind:     hidden_global_offset_y
      - .offset:         184
        .size:           8
        .value_kind:     hidden_global_offset_z
      - .offset:         192
        .size:           2
        .value_kind:     hidden_grid_dims
    .group_segment_fixed_size: 0
    .kernarg_segment_align: 8
    .kernarg_segment_size: 384
    .language:       OpenCL C
    .language_version:
      - 2
      - 0
    .max_flat_workgroup_size: 1024
    .name:           _ZN4vllm38concat_and_cache_mla_rope_fused_kernelIfN3c108BFloat16ELb1E14__hip_bfloat16hLNS_18Fp8KVCacheDataTypeE1EEEvPKlPT_S8_PKS7_PKT0_illlliPT3_S6_iiiiPKf
    .private_segment_fixed_size: 0
    .sgpr_count:     54
    .sgpr_spill_count: 0
    .symbol:         _ZN4vllm38concat_and_cache_mla_rope_fused_kernelIfN3c108BFloat16ELb1E14__hip_bfloat16hLNS_18Fp8KVCacheDataTypeE1EEEvPKlPT_S8_PKS7_PKT0_illlliPT3_S6_iiiiPKf.kd
    .uniform_work_group_size: 1
    .uses_dynamic_stack: false
    .vgpr_count:     28
    .vgpr_spill_count: 0
    .wavefront_size: 64
  - .agpr_count:     0
    .args:
      - .actual_access:  read_only
        .address_space:  global
        .offset:         0
        .size:           8
        .value_kind:     global_buffer
      - .address_space:  global
        .offset:         8
        .size:           8
        .value_kind:     global_buffer
      - .address_space:  global
        .offset:         16
        .size:           8
        .value_kind:     global_buffer
      - .actual_access:  read_only
        .address_space:  global
        .offset:         24
        .size:           8
        .value_kind:     global_buffer
      - .actual_access:  read_only
        .address_space:  global
        .offset:         32
        .size:           8
        .value_kind:     global_buffer
      - .offset:         40
        .size:           4
        .value_kind:     by_value
      - .offset:         48
        .size:           8
        .value_kind:     by_value
      - .offset:         56
        .size:           8
        .value_kind:     by_value
      - .offset:         64
        .size:           8
        .value_kind:     by_value
      - .offset:         72
        .size:           8
        .value_kind:     by_value
      - .offset:         80
        .size:           4
        .value_kind:     by_value
      - .actual_access:  write_only
        .address_space:  global
        .offset:         88
        .size:           8
        .value_kind:     global_buffer
      - .actual_access:  read_only
        .address_space:  global
        .offset:         96
        .size:           8
        .value_kind:     global_buffer
      - .offset:         104
        .size:           4
        .value_kind:     by_value
      - .offset:         108
        .size:           4
        .value_kind:     by_value
      - .offset:         112
        .size:           4
        .value_kind:     by_value
      - .offset:         116
        .size:           4
        .value_kind:     by_value
      - .address_space:  global
        .offset:         120
        .size:           8
        .value_kind:     global_buffer
      - .offset:         128
        .size:           4
        .value_kind:     hidden_block_count_x
      - .offset:         132
        .size:           4
        .value_kind:     hidden_block_count_y
      - .offset:         136
        .size:           4
        .value_kind:     hidden_block_count_z
      - .offset:         140
        .size:           2
        .value_kind:     hidden_group_size_x
      - .offset:         142
        .size:           2
        .value_kind:     hidden_group_size_y
      - .offset:         144
        .size:           2
        .value_kind:     hidden_group_size_z
      - .offset:         146
        .size:           2
        .value_kind:     hidden_remainder_x
      - .offset:         148
        .size:           2
        .value_kind:     hidden_remainder_y
      - .offset:         150
        .size:           2
        .value_kind:     hidden_remainder_z
      - .offset:         168
        .size:           8
        .value_kind:     hidden_global_offset_x
      - .offset:         176
        .size:           8
        .value_kind:     hidden_global_offset_y
      - .offset:         184
        .size:           8
        .value_kind:     hidden_global_offset_z
      - .offset:         192
        .size:           2
        .value_kind:     hidden_grid_dims
    .group_segment_fixed_size: 0
    .kernarg_segment_align: 8
    .kernarg_segment_size: 384
    .language:       OpenCL C
    .language_version:
      - 2
      - 0
    .max_flat_workgroup_size: 1024
    .name:           _ZN4vllm38concat_and_cache_mla_rope_fused_kernelIfN3c108BFloat16ELb0E14__hip_bfloat16hLNS_18Fp8KVCacheDataTypeE1EEEvPKlPT_S8_PKS7_PKT0_illlliPT3_S6_iiiiPKf
    .private_segment_fixed_size: 0
    .sgpr_count:     49
    .sgpr_spill_count: 0
    .symbol:         _ZN4vllm38concat_and_cache_mla_rope_fused_kernelIfN3c108BFloat16ELb0E14__hip_bfloat16hLNS_18Fp8KVCacheDataTypeE1EEEvPKlPT_S8_PKS7_PKT0_illlliPT3_S6_iiiiPKf.kd
    .uniform_work_group_size: 1
    .uses_dynamic_stack: false
    .vgpr_count:     22
    .vgpr_spill_count: 0
    .wavefront_size: 64
  - .agpr_count:     0
    .args:
      - .actual_access:  read_only
        .address_space:  global
        .offset:         0
        .size:           8
        .value_kind:     global_buffer
      - .address_space:  global
        .offset:         8
        .size:           8
        .value_kind:     global_buffer
      - .address_space:  global
        .offset:         16
        .size:           8
        .value_kind:     global_buffer
      - .actual_access:  read_only
        .address_space:  global
        .offset:         24
        .size:           8
        .value_kind:     global_buffer
      - .actual_access:  read_only
        .address_space:  global
        .offset:         32
        .size:           8
        .value_kind:     global_buffer
      - .offset:         40
        .size:           4
        .value_kind:     by_value
      - .offset:         48
        .size:           8
        .value_kind:     by_value
      - .offset:         56
        .size:           8
        .value_kind:     by_value
      - .offset:         64
        .size:           8
        .value_kind:     by_value
      - .offset:         72
        .size:           8
        .value_kind:     by_value
      - .offset:         80
        .size:           4
        .value_kind:     by_value
      - .actual_access:  write_only
        .address_space:  global
        .offset:         88
        .size:           8
        .value_kind:     global_buffer
      - .actual_access:  read_only
        .address_space:  global
        .offset:         96
        .size:           8
        .value_kind:     global_buffer
      - .offset:         104
        .size:           4
        .value_kind:     by_value
      - .offset:         108
        .size:           4
        .value_kind:     by_value
      - .offset:         112
        .size:           4
        .value_kind:     by_value
      - .offset:         116
        .size:           4
        .value_kind:     by_value
      - .address_space:  global
        .offset:         120
        .size:           8
        .value_kind:     global_buffer
      - .offset:         128
        .size:           4
        .value_kind:     hidden_block_count_x
      - .offset:         132
        .size:           4
        .value_kind:     hidden_block_count_y
      - .offset:         136
        .size:           4
        .value_kind:     hidden_block_count_z
      - .offset:         140
        .size:           2
        .value_kind:     hidden_group_size_x
      - .offset:         142
        .size:           2
        .value_kind:     hidden_group_size_y
      - .offset:         144
        .size:           2
        .value_kind:     hidden_group_size_z
      - .offset:         146
        .size:           2
        .value_kind:     hidden_remainder_x
      - .offset:         148
        .size:           2
        .value_kind:     hidden_remainder_y
      - .offset:         150
        .size:           2
        .value_kind:     hidden_remainder_z
      - .offset:         168
        .size:           8
        .value_kind:     hidden_global_offset_x
      - .offset:         176
        .size:           8
        .value_kind:     hidden_global_offset_y
      - .offset:         184
        .size:           8
        .value_kind:     hidden_global_offset_z
      - .offset:         192
        .size:           2
        .value_kind:     hidden_grid_dims
    .group_segment_fixed_size: 0
    .kernarg_segment_align: 8
    .kernarg_segment_size: 384
    .language:       OpenCL C
    .language_version:
      - 2
      - 0
    .max_flat_workgroup_size: 1024
    .name:           _ZN4vllm38concat_and_cache_mla_rope_fused_kernelIN3c104HalfEfLb1E14__hip_bfloat16hLNS_18Fp8KVCacheDataTypeE1EEEvPKlPT_S8_PKS7_PKT0_illlliPT3_S6_iiiiPKf
    .private_segment_fixed_size: 0
    .sgpr_count:     56
    .sgpr_spill_count: 0
    .symbol:         _ZN4vllm38concat_and_cache_mla_rope_fused_kernelIN3c104HalfEfLb1E14__hip_bfloat16hLNS_18Fp8KVCacheDataTypeE1EEEvPKlPT_S8_PKS7_PKT0_illlliPT3_S6_iiiiPKf.kd
    .uniform_work_group_size: 1
    .uses_dynamic_stack: false
    .vgpr_count:     28
    .vgpr_spill_count: 0
    .wavefront_size: 64
  - .agpr_count:     0
    .args:
      - .actual_access:  read_only
        .address_space:  global
        .offset:         0
        .size:           8
        .value_kind:     global_buffer
      - .address_space:  global
        .offset:         8
        .size:           8
        .value_kind:     global_buffer
      - .address_space:  global
        .offset:         16
        .size:           8
        .value_kind:     global_buffer
      - .actual_access:  read_only
        .address_space:  global
        .offset:         24
        .size:           8
        .value_kind:     global_buffer
      - .actual_access:  read_only
        .address_space:  global
        .offset:         32
        .size:           8
        .value_kind:     global_buffer
      - .offset:         40
        .size:           4
        .value_kind:     by_value
      - .offset:         48
        .size:           8
        .value_kind:     by_value
      - .offset:         56
        .size:           8
        .value_kind:     by_value
      - .offset:         64
        .size:           8
        .value_kind:     by_value
      - .offset:         72
        .size:           8
        .value_kind:     by_value
      - .offset:         80
        .size:           4
        .value_kind:     by_value
      - .actual_access:  write_only
        .address_space:  global
        .offset:         88
        .size:           8
        .value_kind:     global_buffer
      - .actual_access:  read_only
        .address_space:  global
        .offset:         96
        .size:           8
        .value_kind:     global_buffer
      - .offset:         104
        .size:           4
        .value_kind:     by_value
      - .offset:         108
        .size:           4
        .value_kind:     by_value
      - .offset:         112
        .size:           4
        .value_kind:     by_value
      - .offset:         116
        .size:           4
        .value_kind:     by_value
      - .address_space:  global
        .offset:         120
        .size:           8
        .value_kind:     global_buffer
      - .offset:         128
        .size:           4
        .value_kind:     hidden_block_count_x
      - .offset:         132
        .size:           4
        .value_kind:     hidden_block_count_y
      - .offset:         136
        .size:           4
        .value_kind:     hidden_block_count_z
      - .offset:         140
        .size:           2
        .value_kind:     hidden_group_size_x
      - .offset:         142
        .size:           2
        .value_kind:     hidden_group_size_y
      - .offset:         144
        .size:           2
        .value_kind:     hidden_group_size_z
      - .offset:         146
        .size:           2
        .value_kind:     hidden_remainder_x
      - .offset:         148
        .size:           2
        .value_kind:     hidden_remainder_y
      - .offset:         150
        .size:           2
        .value_kind:     hidden_remainder_z
      - .offset:         168
        .size:           8
        .value_kind:     hidden_global_offset_x
      - .offset:         176
        .size:           8
        .value_kind:     hidden_global_offset_y
      - .offset:         184
        .size:           8
        .value_kind:     hidden_global_offset_z
      - .offset:         192
        .size:           2
        .value_kind:     hidden_grid_dims
    .group_segment_fixed_size: 0
    .kernarg_segment_align: 8
    .kernarg_segment_size: 384
    .language:       OpenCL C
    .language_version:
      - 2
      - 0
    .max_flat_workgroup_size: 1024
    .name:           _ZN4vllm38concat_and_cache_mla_rope_fused_kernelIN3c104HalfEfLb0E14__hip_bfloat16hLNS_18Fp8KVCacheDataTypeE1EEEvPKlPT_S8_PKS7_PKT0_illlliPT3_S6_iiiiPKf
    .private_segment_fixed_size: 0
    .sgpr_count:     49
    .sgpr_spill_count: 0
    .symbol:         _ZN4vllm38concat_and_cache_mla_rope_fused_kernelIN3c104HalfEfLb0E14__hip_bfloat16hLNS_18Fp8KVCacheDataTypeE1EEEvPKlPT_S8_PKS7_PKT0_illlliPT3_S6_iiiiPKf.kd
    .uniform_work_group_size: 1
    .uses_dynamic_stack: false
    .vgpr_count:     28
    .vgpr_spill_count: 0
    .wavefront_size: 64
  - .agpr_count:     0
    .args:
      - .actual_access:  read_only
        .address_space:  global
        .offset:         0
        .size:           8
        .value_kind:     global_buffer
      - .address_space:  global
        .offset:         8
        .size:           8
        .value_kind:     global_buffer
      - .address_space:  global
        .offset:         16
        .size:           8
        .value_kind:     global_buffer
      - .actual_access:  read_only
        .address_space:  global
        .offset:         24
        .size:           8
        .value_kind:     global_buffer
      - .actual_access:  read_only
        .address_space:  global
        .offset:         32
        .size:           8
        .value_kind:     global_buffer
      - .offset:         40
        .size:           4
        .value_kind:     by_value
      - .offset:         48
        .size:           8
        .value_kind:     by_value
      - .offset:         56
        .size:           8
        .value_kind:     by_value
      - .offset:         64
        .size:           8
        .value_kind:     by_value
      - .offset:         72
        .size:           8
        .value_kind:     by_value
      - .offset:         80
        .size:           4
        .value_kind:     by_value
      - .actual_access:  write_only
        .address_space:  global
        .offset:         88
        .size:           8
        .value_kind:     global_buffer
      - .actual_access:  read_only
        .address_space:  global
        .offset:         96
        .size:           8
        .value_kind:     global_buffer
      - .offset:         104
        .size:           4
        .value_kind:     by_value
      - .offset:         108
        .size:           4
        .value_kind:     by_value
      - .offset:         112
        .size:           4
        .value_kind:     by_value
      - .offset:         116
        .size:           4
        .value_kind:     by_value
      - .address_space:  global
        .offset:         120
        .size:           8
        .value_kind:     global_buffer
      - .offset:         128
        .size:           4
        .value_kind:     hidden_block_count_x
      - .offset:         132
        .size:           4
        .value_kind:     hidden_block_count_y
      - .offset:         136
        .size:           4
        .value_kind:     hidden_block_count_z
      - .offset:         140
        .size:           2
        .value_kind:     hidden_group_size_x
      - .offset:         142
        .size:           2
        .value_kind:     hidden_group_size_y
      - .offset:         144
        .size:           2
        .value_kind:     hidden_group_size_z
      - .offset:         146
        .size:           2
        .value_kind:     hidden_remainder_x
      - .offset:         148
        .size:           2
        .value_kind:     hidden_remainder_y
      - .offset:         150
        .size:           2
        .value_kind:     hidden_remainder_z
      - .offset:         168
        .size:           8
        .value_kind:     hidden_global_offset_x
      - .offset:         176
        .size:           8
        .value_kind:     hidden_global_offset_y
      - .offset:         184
        .size:           8
        .value_kind:     hidden_global_offset_z
      - .offset:         192
        .size:           2
        .value_kind:     hidden_grid_dims
    .group_segment_fixed_size: 0
    .kernarg_segment_align: 8
    .kernarg_segment_size: 384
    .language:       OpenCL C
    .language_version:
      - 2
      - 0
    .max_flat_workgroup_size: 1024
    .name:           _ZN4vllm38concat_and_cache_mla_rope_fused_kernelIN3c104HalfES2_Lb1E14__hip_bfloat16hLNS_18Fp8KVCacheDataTypeE1EEEvPKlPT_S8_PKS7_PKT0_illlliPT3_S6_iiiiPKf
    .private_segment_fixed_size: 0
    .sgpr_count:     54
    .sgpr_spill_count: 0
    .symbol:         _ZN4vllm38concat_and_cache_mla_rope_fused_kernelIN3c104HalfES2_Lb1E14__hip_bfloat16hLNS_18Fp8KVCacheDataTypeE1EEEvPKlPT_S8_PKS7_PKT0_illlliPT3_S6_iiiiPKf.kd
    .uniform_work_group_size: 1
    .uses_dynamic_stack: false
    .vgpr_count:     26
    .vgpr_spill_count: 0
    .wavefront_size: 64
  - .agpr_count:     0
    .args:
      - .actual_access:  read_only
        .address_space:  global
        .offset:         0
        .size:           8
        .value_kind:     global_buffer
      - .address_space:  global
        .offset:         8
        .size:           8
        .value_kind:     global_buffer
      - .address_space:  global
        .offset:         16
        .size:           8
        .value_kind:     global_buffer
      - .actual_access:  read_only
        .address_space:  global
        .offset:         24
        .size:           8
        .value_kind:     global_buffer
      - .actual_access:  read_only
        .address_space:  global
        .offset:         32
        .size:           8
        .value_kind:     global_buffer
      - .offset:         40
        .size:           4
        .value_kind:     by_value
      - .offset:         48
        .size:           8
        .value_kind:     by_value
      - .offset:         56
        .size:           8
        .value_kind:     by_value
      - .offset:         64
        .size:           8
        .value_kind:     by_value
      - .offset:         72
        .size:           8
        .value_kind:     by_value
      - .offset:         80
        .size:           4
        .value_kind:     by_value
      - .actual_access:  write_only
        .address_space:  global
        .offset:         88
        .size:           8
        .value_kind:     global_buffer
      - .actual_access:  read_only
        .address_space:  global
        .offset:         96
        .size:           8
        .value_kind:     global_buffer
      - .offset:         104
        .size:           4
        .value_kind:     by_value
      - .offset:         108
        .size:           4
        .value_kind:     by_value
      - .offset:         112
        .size:           4
        .value_kind:     by_value
      - .offset:         116
        .size:           4
        .value_kind:     by_value
      - .address_space:  global
        .offset:         120
        .size:           8
        .value_kind:     global_buffer
      - .offset:         128
        .size:           4
        .value_kind:     hidden_block_count_x
      - .offset:         132
        .size:           4
        .value_kind:     hidden_block_count_y
      - .offset:         136
        .size:           4
        .value_kind:     hidden_block_count_z
      - .offset:         140
        .size:           2
        .value_kind:     hidden_group_size_x
      - .offset:         142
        .size:           2
        .value_kind:     hidden_group_size_y
      - .offset:         144
        .size:           2
        .value_kind:     hidden_group_size_z
      - .offset:         146
        .size:           2
        .value_kind:     hidden_remainder_x
      - .offset:         148
        .size:           2
        .value_kind:     hidden_remainder_y
      - .offset:         150
        .size:           2
        .value_kind:     hidden_remainder_z
      - .offset:         168
        .size:           8
        .value_kind:     hidden_global_offset_x
      - .offset:         176
        .size:           8
        .value_kind:     hidden_global_offset_y
      - .offset:         184
        .size:           8
        .value_kind:     hidden_global_offset_z
      - .offset:         192
        .size:           2
        .value_kind:     hidden_grid_dims
    .group_segment_fixed_size: 0
    .kernarg_segment_align: 8
    .kernarg_segment_size: 384
    .language:       OpenCL C
    .language_version:
      - 2
      - 0
    .max_flat_workgroup_size: 1024
    .name:           _ZN4vllm38concat_and_cache_mla_rope_fused_kernelIN3c104HalfES2_Lb0E14__hip_bfloat16hLNS_18Fp8KVCacheDataTypeE1EEEvPKlPT_S8_PKS7_PKT0_illlliPT3_S6_iiiiPKf
    .private_segment_fixed_size: 0
    .sgpr_count:     49
    .sgpr_spill_count: 0
    .symbol:         _ZN4vllm38concat_and_cache_mla_rope_fused_kernelIN3c104HalfES2_Lb0E14__hip_bfloat16hLNS_18Fp8KVCacheDataTypeE1EEEvPKlPT_S8_PKS7_PKT0_illlliPT3_S6_iiiiPKf.kd
    .uniform_work_group_size: 1
    .uses_dynamic_stack: false
    .vgpr_count:     28
    .vgpr_spill_count: 0
    .wavefront_size: 64
  - .agpr_count:     0
    .args:
      - .actual_access:  read_only
        .address_space:  global
        .offset:         0
        .size:           8
        .value_kind:     global_buffer
      - .address_space:  global
        .offset:         8
        .size:           8
        .value_kind:     global_buffer
      - .address_space:  global
        .offset:         16
        .size:           8
        .value_kind:     global_buffer
      - .actual_access:  read_only
        .address_space:  global
        .offset:         24
        .size:           8
        .value_kind:     global_buffer
      - .actual_access:  read_only
        .address_space:  global
        .offset:         32
        .size:           8
        .value_kind:     global_buffer
      - .offset:         40
        .size:           4
        .value_kind:     by_value
      - .offset:         48
        .size:           8
        .value_kind:     by_value
      - .offset:         56
        .size:           8
        .value_kind:     by_value
      - .offset:         64
        .size:           8
        .value_kind:     by_value
      - .offset:         72
        .size:           8
        .value_kind:     by_value
      - .offset:         80
        .size:           4
        .value_kind:     by_value
      - .actual_access:  write_only
        .address_space:  global
        .offset:         88
        .size:           8
        .value_kind:     global_buffer
      - .actual_access:  read_only
        .address_space:  global
        .offset:         96
        .size:           8
        .value_kind:     global_buffer
      - .offset:         104
        .size:           4
        .value_kind:     by_value
      - .offset:         108
        .size:           4
        .value_kind:     by_value
      - .offset:         112
        .size:           4
        .value_kind:     by_value
      - .offset:         116
        .size:           4
        .value_kind:     by_value
      - .address_space:  global
        .offset:         120
        .size:           8
        .value_kind:     global_buffer
      - .offset:         128
        .size:           4
        .value_kind:     hidden_block_count_x
      - .offset:         132
        .size:           4
        .value_kind:     hidden_block_count_y
      - .offset:         136
        .size:           4
        .value_kind:     hidden_block_count_z
      - .offset:         140
        .size:           2
        .value_kind:     hidden_group_size_x
      - .offset:         142
        .size:           2
        .value_kind:     hidden_group_size_y
      - .offset:         144
        .size:           2
        .value_kind:     hidden_group_size_z
      - .offset:         146
        .size:           2
        .value_kind:     hidden_remainder_x
      - .offset:         148
        .size:           2
        .value_kind:     hidden_remainder_y
      - .offset:         150
        .size:           2
        .value_kind:     hidden_remainder_z
      - .offset:         168
        .size:           8
        .value_kind:     hidden_global_offset_x
      - .offset:         176
        .size:           8
        .value_kind:     hidden_global_offset_y
      - .offset:         184
        .size:           8
        .value_kind:     hidden_global_offset_z
      - .offset:         192
        .size:           2
        .value_kind:     hidden_grid_dims
    .group_segment_fixed_size: 0
    .kernarg_segment_align: 8
    .kernarg_segment_size: 384
    .language:       OpenCL C
    .language_version:
      - 2
      - 0
    .max_flat_workgroup_size: 1024
    .name:           _ZN4vllm38concat_and_cache_mla_rope_fused_kernelIN3c104HalfENS1_8BFloat16ELb1E14__hip_bfloat16hLNS_18Fp8KVCacheDataTypeE1EEEvPKlPT_S9_PKS8_PKT0_illlliPT3_S7_iiiiPKf
    .private_segment_fixed_size: 0
    .sgpr_count:     54
    .sgpr_spill_count: 0
    .symbol:         _ZN4vllm38concat_and_cache_mla_rope_fused_kernelIN3c104HalfENS1_8BFloat16ELb1E14__hip_bfloat16hLNS_18Fp8KVCacheDataTypeE1EEEvPKlPT_S9_PKS8_PKT0_illlliPT3_S7_iiiiPKf.kd
    .uniform_work_group_size: 1
    .uses_dynamic_stack: false
    .vgpr_count:     26
    .vgpr_spill_count: 0
    .wavefront_size: 64
  - .agpr_count:     0
    .args:
      - .actual_access:  read_only
        .address_space:  global
        .offset:         0
        .size:           8
        .value_kind:     global_buffer
      - .address_space:  global
        .offset:         8
        .size:           8
        .value_kind:     global_buffer
      - .address_space:  global
        .offset:         16
        .size:           8
        .value_kind:     global_buffer
      - .actual_access:  read_only
        .address_space:  global
        .offset:         24
        .size:           8
        .value_kind:     global_buffer
      - .actual_access:  read_only
        .address_space:  global
        .offset:         32
        .size:           8
        .value_kind:     global_buffer
      - .offset:         40
        .size:           4
        .value_kind:     by_value
      - .offset:         48
        .size:           8
        .value_kind:     by_value
      - .offset:         56
        .size:           8
        .value_kind:     by_value
      - .offset:         64
        .size:           8
        .value_kind:     by_value
      - .offset:         72
        .size:           8
        .value_kind:     by_value
      - .offset:         80
        .size:           4
        .value_kind:     by_value
      - .actual_access:  write_only
        .address_space:  global
        .offset:         88
        .size:           8
        .value_kind:     global_buffer
      - .actual_access:  read_only
        .address_space:  global
        .offset:         96
        .size:           8
        .value_kind:     global_buffer
      - .offset:         104
        .size:           4
        .value_kind:     by_value
      - .offset:         108
        .size:           4
        .value_kind:     by_value
      - .offset:         112
        .size:           4
        .value_kind:     by_value
      - .offset:         116
        .size:           4
        .value_kind:     by_value
      - .address_space:  global
        .offset:         120
        .size:           8
        .value_kind:     global_buffer
      - .offset:         128
        .size:           4
        .value_kind:     hidden_block_count_x
      - .offset:         132
        .size:           4
        .value_kind:     hidden_block_count_y
      - .offset:         136
        .size:           4
        .value_kind:     hidden_block_count_z
      - .offset:         140
        .size:           2
        .value_kind:     hidden_group_size_x
      - .offset:         142
        .size:           2
        .value_kind:     hidden_group_size_y
      - .offset:         144
        .size:           2
        .value_kind:     hidden_group_size_z
      - .offset:         146
        .size:           2
        .value_kind:     hidden_remainder_x
      - .offset:         148
        .size:           2
        .value_kind:     hidden_remainder_y
      - .offset:         150
        .size:           2
        .value_kind:     hidden_remainder_z
      - .offset:         168
        .size:           8
        .value_kind:     hidden_global_offset_x
      - .offset:         176
        .size:           8
        .value_kind:     hidden_global_offset_y
      - .offset:         184
        .size:           8
        .value_kind:     hidden_global_offset_z
      - .offset:         192
        .size:           2
        .value_kind:     hidden_grid_dims
    .group_segment_fixed_size: 0
    .kernarg_segment_align: 8
    .kernarg_segment_size: 384
    .language:       OpenCL C
    .language_version:
      - 2
      - 0
    .max_flat_workgroup_size: 1024
    .name:           _ZN4vllm38concat_and_cache_mla_rope_fused_kernelIN3c104HalfENS1_8BFloat16ELb0E14__hip_bfloat16hLNS_18Fp8KVCacheDataTypeE1EEEvPKlPT_S9_PKS8_PKT0_illlliPT3_S7_iiiiPKf
    .private_segment_fixed_size: 0
    .sgpr_count:     49
    .sgpr_spill_count: 0
    .symbol:         _ZN4vllm38concat_and_cache_mla_rope_fused_kernelIN3c104HalfENS1_8BFloat16ELb0E14__hip_bfloat16hLNS_18Fp8KVCacheDataTypeE1EEEvPKlPT_S9_PKS8_PKT0_illlliPT3_S7_iiiiPKf.kd
    .uniform_work_group_size: 1
    .uses_dynamic_stack: false
    .vgpr_count:     28
    .vgpr_spill_count: 0
    .wavefront_size: 64
  - .agpr_count:     0
    .args:
      - .actual_access:  read_only
        .address_space:  global
        .offset:         0
        .size:           8
        .value_kind:     global_buffer
      - .address_space:  global
        .offset:         8
        .size:           8
        .value_kind:     global_buffer
      - .address_space:  global
        .offset:         16
        .size:           8
        .value_kind:     global_buffer
      - .actual_access:  read_only
        .address_space:  global
        .offset:         24
        .size:           8
        .value_kind:     global_buffer
      - .actual_access:  read_only
        .address_space:  global
        .offset:         32
        .size:           8
        .value_kind:     global_buffer
      - .offset:         40
        .size:           4
        .value_kind:     by_value
      - .offset:         48
        .size:           8
        .value_kind:     by_value
      - .offset:         56
        .size:           8
        .value_kind:     by_value
      - .offset:         64
        .size:           8
        .value_kind:     by_value
      - .offset:         72
        .size:           8
        .value_kind:     by_value
      - .offset:         80
        .size:           4
        .value_kind:     by_value
      - .actual_access:  write_only
        .address_space:  global
        .offset:         88
        .size:           8
        .value_kind:     global_buffer
      - .actual_access:  read_only
        .address_space:  global
        .offset:         96
        .size:           8
        .value_kind:     global_buffer
      - .offset:         104
        .size:           4
        .value_kind:     by_value
      - .offset:         108
        .size:           4
        .value_kind:     by_value
      - .offset:         112
        .size:           4
        .value_kind:     by_value
      - .offset:         116
        .size:           4
        .value_kind:     by_value
      - .address_space:  global
        .offset:         120
        .size:           8
        .value_kind:     global_buffer
      - .offset:         128
        .size:           4
        .value_kind:     hidden_block_count_x
      - .offset:         132
        .size:           4
        .value_kind:     hidden_block_count_y
      - .offset:         136
        .size:           4
        .value_kind:     hidden_block_count_z
      - .offset:         140
        .size:           2
        .value_kind:     hidden_group_size_x
      - .offset:         142
        .size:           2
        .value_kind:     hidden_group_size_y
      - .offset:         144
        .size:           2
        .value_kind:     hidden_group_size_z
      - .offset:         146
        .size:           2
        .value_kind:     hidden_remainder_x
      - .offset:         148
        .size:           2
        .value_kind:     hidden_remainder_y
      - .offset:         150
        .size:           2
        .value_kind:     hidden_remainder_z
      - .offset:         168
        .size:           8
        .value_kind:     hidden_global_offset_x
      - .offset:         176
        .size:           8
        .value_kind:     hidden_global_offset_y
      - .offset:         184
        .size:           8
        .value_kind:     hidden_global_offset_z
      - .offset:         192
        .size:           2
        .value_kind:     hidden_grid_dims
    .group_segment_fixed_size: 0
    .kernarg_segment_align: 8
    .kernarg_segment_size: 384
    .language:       OpenCL C
    .language_version:
      - 2
      - 0
    .max_flat_workgroup_size: 1024
    .name:           _ZN4vllm38concat_and_cache_mla_rope_fused_kernelIN3c108BFloat16EfLb1E14__hip_bfloat16hLNS_18Fp8KVCacheDataTypeE1EEEvPKlPT_S8_PKS7_PKT0_illlliPT3_S6_iiiiPKf
    .private_segment_fixed_size: 0
    .sgpr_count:     59
    .sgpr_spill_count: 0
    .symbol:         _ZN4vllm38concat_and_cache_mla_rope_fused_kernelIN3c108BFloat16EfLb1E14__hip_bfloat16hLNS_18Fp8KVCacheDataTypeE1EEEvPKlPT_S8_PKS7_PKT0_illlliPT3_S6_iiiiPKf.kd
    .uniform_work_group_size: 1
    .uses_dynamic_stack: false
    .vgpr_count:     30
    .vgpr_spill_count: 0
    .wavefront_size: 64
  - .agpr_count:     0
    .args:
      - .actual_access:  read_only
        .address_space:  global
        .offset:         0
        .size:           8
        .value_kind:     global_buffer
      - .address_space:  global
        .offset:         8
        .size:           8
        .value_kind:     global_buffer
      - .address_space:  global
        .offset:         16
        .size:           8
        .value_kind:     global_buffer
      - .actual_access:  read_only
        .address_space:  global
        .offset:         24
        .size:           8
        .value_kind:     global_buffer
      - .actual_access:  read_only
        .address_space:  global
        .offset:         32
        .size:           8
        .value_kind:     global_buffer
      - .offset:         40
        .size:           4
        .value_kind:     by_value
      - .offset:         48
        .size:           8
        .value_kind:     by_value
      - .offset:         56
        .size:           8
        .value_kind:     by_value
      - .offset:         64
        .size:           8
        .value_kind:     by_value
      - .offset:         72
        .size:           8
        .value_kind:     by_value
      - .offset:         80
        .size:           4
        .value_kind:     by_value
      - .actual_access:  write_only
        .address_space:  global
        .offset:         88
        .size:           8
        .value_kind:     global_buffer
      - .actual_access:  read_only
        .address_space:  global
        .offset:         96
        .size:           8
        .value_kind:     global_buffer
      - .offset:         104
        .size:           4
        .value_kind:     by_value
      - .offset:         108
        .size:           4
        .value_kind:     by_value
      - .offset:         112
        .size:           4
        .value_kind:     by_value
      - .offset:         116
        .size:           4
        .value_kind:     by_value
      - .address_space:  global
        .offset:         120
        .size:           8
        .value_kind:     global_buffer
      - .offset:         128
        .size:           4
        .value_kind:     hidden_block_count_x
      - .offset:         132
        .size:           4
        .value_kind:     hidden_block_count_y
      - .offset:         136
        .size:           4
        .value_kind:     hidden_block_count_z
      - .offset:         140
        .size:           2
        .value_kind:     hidden_group_size_x
      - .offset:         142
        .size:           2
        .value_kind:     hidden_group_size_y
      - .offset:         144
        .size:           2
        .value_kind:     hidden_group_size_z
      - .offset:         146
        .size:           2
        .value_kind:     hidden_remainder_x
      - .offset:         148
        .size:           2
        .value_kind:     hidden_remainder_y
      - .offset:         150
        .size:           2
        .value_kind:     hidden_remainder_z
      - .offset:         168
        .size:           8
        .value_kind:     hidden_global_offset_x
      - .offset:         176
        .size:           8
        .value_kind:     hidden_global_offset_y
      - .offset:         184
        .size:           8
        .value_kind:     hidden_global_offset_z
      - .offset:         192
        .size:           2
        .value_kind:     hidden_grid_dims
    .group_segment_fixed_size: 0
    .kernarg_segment_align: 8
    .kernarg_segment_size: 384
    .language:       OpenCL C
    .language_version:
      - 2
      - 0
    .max_flat_workgroup_size: 1024
    .name:           _ZN4vllm38concat_and_cache_mla_rope_fused_kernelIN3c108BFloat16EfLb0E14__hip_bfloat16hLNS_18Fp8KVCacheDataTypeE1EEEvPKlPT_S8_PKS7_PKT0_illlliPT3_S6_iiiiPKf
    .private_segment_fixed_size: 0
    .sgpr_count:     51
    .sgpr_spill_count: 0
    .symbol:         _ZN4vllm38concat_and_cache_mla_rope_fused_kernelIN3c108BFloat16EfLb0E14__hip_bfloat16hLNS_18Fp8KVCacheDataTypeE1EEEvPKlPT_S8_PKS7_PKT0_illlliPT3_S6_iiiiPKf.kd
    .uniform_work_group_size: 1
    .uses_dynamic_stack: false
    .vgpr_count:     30
    .vgpr_spill_count: 0
    .wavefront_size: 64
  - .agpr_count:     0
    .args:
      - .actual_access:  read_only
        .address_space:  global
        .offset:         0
        .size:           8
        .value_kind:     global_buffer
      - .address_space:  global
        .offset:         8
        .size:           8
        .value_kind:     global_buffer
      - .address_space:  global
        .offset:         16
        .size:           8
        .value_kind:     global_buffer
      - .actual_access:  read_only
        .address_space:  global
        .offset:         24
        .size:           8
        .value_kind:     global_buffer
      - .actual_access:  read_only
        .address_space:  global
        .offset:         32
        .size:           8
        .value_kind:     global_buffer
      - .offset:         40
        .size:           4
        .value_kind:     by_value
      - .offset:         48
        .size:           8
        .value_kind:     by_value
      - .offset:         56
        .size:           8
        .value_kind:     by_value
      - .offset:         64
        .size:           8
        .value_kind:     by_value
      - .offset:         72
        .size:           8
        .value_kind:     by_value
      - .offset:         80
        .size:           4
        .value_kind:     by_value
      - .actual_access:  write_only
        .address_space:  global
        .offset:         88
        .size:           8
        .value_kind:     global_buffer
      - .actual_access:  read_only
        .address_space:  global
        .offset:         96
        .size:           8
        .value_kind:     global_buffer
      - .offset:         104
        .size:           4
        .value_kind:     by_value
      - .offset:         108
        .size:           4
        .value_kind:     by_value
      - .offset:         112
        .size:           4
        .value_kind:     by_value
      - .offset:         116
        .size:           4
        .value_kind:     by_value
      - .address_space:  global
        .offset:         120
        .size:           8
        .value_kind:     global_buffer
      - .offset:         128
        .size:           4
        .value_kind:     hidden_block_count_x
      - .offset:         132
        .size:           4
        .value_kind:     hidden_block_count_y
      - .offset:         136
        .size:           4
        .value_kind:     hidden_block_count_z
      - .offset:         140
        .size:           2
        .value_kind:     hidden_group_size_x
      - .offset:         142
        .size:           2
        .value_kind:     hidden_group_size_y
      - .offset:         144
        .size:           2
        .value_kind:     hidden_group_size_z
      - .offset:         146
        .size:           2
        .value_kind:     hidden_remainder_x
      - .offset:         148
        .size:           2
        .value_kind:     hidden_remainder_y
      - .offset:         150
        .size:           2
        .value_kind:     hidden_remainder_z
      - .offset:         168
        .size:           8
        .value_kind:     hidden_global_offset_x
      - .offset:         176
        .size:           8
        .value_kind:     hidden_global_offset_y
      - .offset:         184
        .size:           8
        .value_kind:     hidden_global_offset_z
      - .offset:         192
        .size:           2
        .value_kind:     hidden_grid_dims
    .group_segment_fixed_size: 0
    .kernarg_segment_align: 8
    .kernarg_segment_size: 384
    .language:       OpenCL C
    .language_version:
      - 2
      - 0
    .max_flat_workgroup_size: 1024
    .name:           _ZN4vllm38concat_and_cache_mla_rope_fused_kernelIN3c108BFloat16ENS1_4HalfELb1E14__hip_bfloat16hLNS_18Fp8KVCacheDataTypeE1EEEvPKlPT_S9_PKS8_PKT0_illlliPT3_S7_iiiiPKf
    .private_segment_fixed_size: 0
    .sgpr_count:     56
    .sgpr_spill_count: 0
    .symbol:         _ZN4vllm38concat_and_cache_mla_rope_fused_kernelIN3c108BFloat16ENS1_4HalfELb1E14__hip_bfloat16hLNS_18Fp8KVCacheDataTypeE1EEEvPKlPT_S9_PKS8_PKT0_illlliPT3_S7_iiiiPKf.kd
    .uniform_work_group_size: 1
    .uses_dynamic_stack: false
    .vgpr_count:     28
    .vgpr_spill_count: 0
    .wavefront_size: 64
  - .agpr_count:     0
    .args:
      - .actual_access:  read_only
        .address_space:  global
        .offset:         0
        .size:           8
        .value_kind:     global_buffer
      - .address_space:  global
        .offset:         8
        .size:           8
        .value_kind:     global_buffer
      - .address_space:  global
        .offset:         16
        .size:           8
        .value_kind:     global_buffer
      - .actual_access:  read_only
        .address_space:  global
        .offset:         24
        .size:           8
        .value_kind:     global_buffer
      - .actual_access:  read_only
        .address_space:  global
        .offset:         32
        .size:           8
        .value_kind:     global_buffer
      - .offset:         40
        .size:           4
        .value_kind:     by_value
      - .offset:         48
        .size:           8
        .value_kind:     by_value
      - .offset:         56
        .size:           8
        .value_kind:     by_value
      - .offset:         64
        .size:           8
        .value_kind:     by_value
      - .offset:         72
        .size:           8
        .value_kind:     by_value
      - .offset:         80
        .size:           4
        .value_kind:     by_value
      - .actual_access:  write_only
        .address_space:  global
        .offset:         88
        .size:           8
        .value_kind:     global_buffer
      - .actual_access:  read_only
        .address_space:  global
        .offset:         96
        .size:           8
        .value_kind:     global_buffer
      - .offset:         104
        .size:           4
        .value_kind:     by_value
      - .offset:         108
        .size:           4
        .value_kind:     by_value
      - .offset:         112
        .size:           4
        .value_kind:     by_value
      - .offset:         116
        .size:           4
        .value_kind:     by_value
      - .address_space:  global
        .offset:         120
        .size:           8
        .value_kind:     global_buffer
      - .offset:         128
        .size:           4
        .value_kind:     hidden_block_count_x
      - .offset:         132
        .size:           4
        .value_kind:     hidden_block_count_y
      - .offset:         136
        .size:           4
        .value_kind:     hidden_block_count_z
      - .offset:         140
        .size:           2
        .value_kind:     hidden_group_size_x
      - .offset:         142
        .size:           2
        .value_kind:     hidden_group_size_y
      - .offset:         144
        .size:           2
        .value_kind:     hidden_group_size_z
      - .offset:         146
        .size:           2
        .value_kind:     hidden_remainder_x
      - .offset:         148
        .size:           2
        .value_kind:     hidden_remainder_y
      - .offset:         150
        .size:           2
        .value_kind:     hidden_remainder_z
      - .offset:         168
        .size:           8
        .value_kind:     hidden_global_offset_x
      - .offset:         176
        .size:           8
        .value_kind:     hidden_global_offset_y
      - .offset:         184
        .size:           8
        .value_kind:     hidden_global_offset_z
      - .offset:         192
        .size:           2
        .value_kind:     hidden_grid_dims
    .group_segment_fixed_size: 0
    .kernarg_segment_align: 8
    .kernarg_segment_size: 384
    .language:       OpenCL C
    .language_version:
      - 2
      - 0
    .max_flat_workgroup_size: 1024
    .name:           _ZN4vllm38concat_and_cache_mla_rope_fused_kernelIN3c108BFloat16ENS1_4HalfELb0E14__hip_bfloat16hLNS_18Fp8KVCacheDataTypeE1EEEvPKlPT_S9_PKS8_PKT0_illlliPT3_S7_iiiiPKf
    .private_segment_fixed_size: 0
    .sgpr_count:     51
    .sgpr_spill_count: 0
    .symbol:         _ZN4vllm38concat_and_cache_mla_rope_fused_kernelIN3c108BFloat16ENS1_4HalfELb0E14__hip_bfloat16hLNS_18Fp8KVCacheDataTypeE1EEEvPKlPT_S9_PKS8_PKT0_illlliPT3_S7_iiiiPKf.kd
    .uniform_work_group_size: 1
    .uses_dynamic_stack: false
    .vgpr_count:     30
    .vgpr_spill_count: 0
    .wavefront_size: 64
  - .agpr_count:     0
    .args:
      - .actual_access:  read_only
        .address_space:  global
        .offset:         0
        .size:           8
        .value_kind:     global_buffer
      - .address_space:  global
        .offset:         8
        .size:           8
        .value_kind:     global_buffer
      - .address_space:  global
        .offset:         16
        .size:           8
        .value_kind:     global_buffer
      - .actual_access:  read_only
        .address_space:  global
        .offset:         24
        .size:           8
        .value_kind:     global_buffer
      - .actual_access:  read_only
        .address_space:  global
        .offset:         32
        .size:           8
        .value_kind:     global_buffer
      - .offset:         40
        .size:           4
        .value_kind:     by_value
      - .offset:         48
        .size:           8
        .value_kind:     by_value
      - .offset:         56
        .size:           8
        .value_kind:     by_value
      - .offset:         64
        .size:           8
        .value_kind:     by_value
      - .offset:         72
        .size:           8
        .value_kind:     by_value
      - .offset:         80
        .size:           4
        .value_kind:     by_value
      - .actual_access:  write_only
        .address_space:  global
        .offset:         88
        .size:           8
        .value_kind:     global_buffer
      - .actual_access:  read_only
        .address_space:  global
        .offset:         96
        .size:           8
        .value_kind:     global_buffer
      - .offset:         104
        .size:           4
        .value_kind:     by_value
      - .offset:         108
        .size:           4
        .value_kind:     by_value
      - .offset:         112
        .size:           4
        .value_kind:     by_value
      - .offset:         116
        .size:           4
        .value_kind:     by_value
      - .address_space:  global
        .offset:         120
        .size:           8
        .value_kind:     global_buffer
      - .offset:         128
        .size:           4
        .value_kind:     hidden_block_count_x
      - .offset:         132
        .size:           4
        .value_kind:     hidden_block_count_y
      - .offset:         136
        .size:           4
        .value_kind:     hidden_block_count_z
      - .offset:         140
        .size:           2
        .value_kind:     hidden_group_size_x
      - .offset:         142
        .size:           2
        .value_kind:     hidden_group_size_y
      - .offset:         144
        .size:           2
        .value_kind:     hidden_group_size_z
      - .offset:         146
        .size:           2
        .value_kind:     hidden_remainder_x
      - .offset:         148
        .size:           2
        .value_kind:     hidden_remainder_y
      - .offset:         150
        .size:           2
        .value_kind:     hidden_remainder_z
      - .offset:         168
        .size:           8
        .value_kind:     hidden_global_offset_x
      - .offset:         176
        .size:           8
        .value_kind:     hidden_global_offset_y
      - .offset:         184
        .size:           8
        .value_kind:     hidden_global_offset_z
      - .offset:         192
        .size:           2
        .value_kind:     hidden_grid_dims
    .group_segment_fixed_size: 0
    .kernarg_segment_align: 8
    .kernarg_segment_size: 384
    .language:       OpenCL C
    .language_version:
      - 2
      - 0
    .max_flat_workgroup_size: 1024
    .name:           _ZN4vllm38concat_and_cache_mla_rope_fused_kernelIN3c108BFloat16ES2_Lb1E14__hip_bfloat16hLNS_18Fp8KVCacheDataTypeE1EEEvPKlPT_S8_PKS7_PKT0_illlliPT3_S6_iiiiPKf
    .private_segment_fixed_size: 0
    .sgpr_count:     54
    .sgpr_spill_count: 0
    .symbol:         _ZN4vllm38concat_and_cache_mla_rope_fused_kernelIN3c108BFloat16ES2_Lb1E14__hip_bfloat16hLNS_18Fp8KVCacheDataTypeE1EEEvPKlPT_S8_PKS7_PKT0_illlliPT3_S6_iiiiPKf.kd
    .uniform_work_group_size: 1
    .uses_dynamic_stack: false
    .vgpr_count:     28
    .vgpr_spill_count: 0
    .wavefront_size: 64
  - .agpr_count:     0
    .args:
      - .actual_access:  read_only
        .address_space:  global
        .offset:         0
        .size:           8
        .value_kind:     global_buffer
      - .address_space:  global
        .offset:         8
        .size:           8
        .value_kind:     global_buffer
      - .address_space:  global
        .offset:         16
        .size:           8
        .value_kind:     global_buffer
      - .actual_access:  read_only
        .address_space:  global
        .offset:         24
        .size:           8
        .value_kind:     global_buffer
      - .actual_access:  read_only
        .address_space:  global
        .offset:         32
        .size:           8
        .value_kind:     global_buffer
      - .offset:         40
        .size:           4
        .value_kind:     by_value
      - .offset:         48
        .size:           8
        .value_kind:     by_value
      - .offset:         56
        .size:           8
        .value_kind:     by_value
      - .offset:         64
        .size:           8
        .value_kind:     by_value
      - .offset:         72
        .size:           8
        .value_kind:     by_value
      - .offset:         80
        .size:           4
        .value_kind:     by_value
      - .actual_access:  write_only
        .address_space:  global
        .offset:         88
        .size:           8
        .value_kind:     global_buffer
      - .actual_access:  read_only
        .address_space:  global
        .offset:         96
        .size:           8
        .value_kind:     global_buffer
      - .offset:         104
        .size:           4
        .value_kind:     by_value
      - .offset:         108
        .size:           4
        .value_kind:     by_value
      - .offset:         112
        .size:           4
        .value_kind:     by_value
      - .offset:         116
        .size:           4
        .value_kind:     by_value
      - .address_space:  global
        .offset:         120
        .size:           8
        .value_kind:     global_buffer
      - .offset:         128
        .size:           4
        .value_kind:     hidden_block_count_x
      - .offset:         132
        .size:           4
        .value_kind:     hidden_block_count_y
      - .offset:         136
        .size:           4
        .value_kind:     hidden_block_count_z
      - .offset:         140
        .size:           2
        .value_kind:     hidden_group_size_x
      - .offset:         142
        .size:           2
        .value_kind:     hidden_group_size_y
      - .offset:         144
        .size:           2
        .value_kind:     hidden_group_size_z
      - .offset:         146
        .size:           2
        .value_kind:     hidden_remainder_x
      - .offset:         148
        .size:           2
        .value_kind:     hidden_remainder_y
      - .offset:         150
        .size:           2
        .value_kind:     hidden_remainder_z
      - .offset:         168
        .size:           8
        .value_kind:     hidden_global_offset_x
      - .offset:         176
        .size:           8
        .value_kind:     hidden_global_offset_y
      - .offset:         184
        .size:           8
        .value_kind:     hidden_global_offset_z
      - .offset:         192
        .size:           2
        .value_kind:     hidden_grid_dims
    .group_segment_fixed_size: 0
    .kernarg_segment_align: 8
    .kernarg_segment_size: 384
    .language:       OpenCL C
    .language_version:
      - 2
      - 0
    .max_flat_workgroup_size: 1024
    .name:           _ZN4vllm38concat_and_cache_mla_rope_fused_kernelIN3c108BFloat16ES2_Lb0E14__hip_bfloat16hLNS_18Fp8KVCacheDataTypeE1EEEvPKlPT_S8_PKS7_PKT0_illlliPT3_S6_iiiiPKf
    .private_segment_fixed_size: 0
    .sgpr_count:     50
    .sgpr_spill_count: 0
    .symbol:         _ZN4vllm38concat_and_cache_mla_rope_fused_kernelIN3c108BFloat16ES2_Lb0E14__hip_bfloat16hLNS_18Fp8KVCacheDataTypeE1EEEvPKlPT_S8_PKS7_PKT0_illlliPT3_S6_iiiiPKf.kd
    .uniform_work_group_size: 1
    .uses_dynamic_stack: false
    .vgpr_count:     25
    .vgpr_spill_count: 0
    .wavefront_size: 64
amdhsa.target:   amdgcn-amd-amdhsa--gfx942
amdhsa.version:
  - 1
  - 2
...

	.end_amdgpu_metadata
